;; amdgpu-corpus repo=ROCm/rocBLAS kind=compiled arch=gfx1250 opt=O3
	.amdgcn_target "amdgcn-amd-amdhsa--gfx1250"
	.amdhsa_code_object_version 6
	.section	.text._ZL29rocblas_internal_gemmt_kernelIiLi16ELi32ELi8ELc78ELc78ELc85ELb0ELb0EfPKfS1_PfEviT_T9_T10_S3_lS5_S3_lS4_T11_S3_li,"axG",@progbits,_ZL29rocblas_internal_gemmt_kernelIiLi16ELi32ELi8ELc78ELc78ELc85ELb0ELb0EfPKfS1_PfEviT_T9_T10_S3_lS5_S3_lS4_T11_S3_li,comdat
	.globl	_ZL29rocblas_internal_gemmt_kernelIiLi16ELi32ELi8ELc78ELc78ELc85ELb0ELb0EfPKfS1_PfEviT_T9_T10_S3_lS5_S3_lS4_T11_S3_li ; -- Begin function _ZL29rocblas_internal_gemmt_kernelIiLi16ELi32ELi8ELc78ELc78ELc85ELb0ELb0EfPKfS1_PfEviT_T9_T10_S3_lS5_S3_lS4_T11_S3_li
	.p2align	8
	.type	_ZL29rocblas_internal_gemmt_kernelIiLi16ELi32ELi8ELc78ELc78ELc85ELb0ELb0EfPKfS1_PfEviT_T9_T10_S3_lS5_S3_lS4_T11_S3_li,@function
_ZL29rocblas_internal_gemmt_kernelIiLi16ELi32ELi8ELc78ELc78ELc85ELb0ELb0EfPKfS1_PfEviT_T9_T10_S3_lS5_S3_lS4_T11_S3_li: ; @_ZL29rocblas_internal_gemmt_kernelIiLi16ELi32ELi8ELc78ELc78ELc85ELb0ELb0EfPKfS1_PfEviT_T9_T10_S3_lS5_S3_lS4_T11_S3_li
; %bb.0:
	s_clause 0x1
	s_load_b128 s[4:7], s[0:1], 0x38
	s_load_b128 s[8:11], s[0:1], 0x8
	s_wait_kmcnt 0x0
	s_load_b32 s19, s[6:7], 0x0
	s_load_b64 s[20:21], s[0:1], 0x0
	s_load_b32 s24, s[8:9], 0x0
	s_wait_kmcnt 0x0
	s_cmp_neq_f32 s19, 1.0
	s_cselect_b32 s2, -1, 0
	s_delay_alu instid0(SALU_CYCLE_1)
	s_and_b32 vcc_lo, exec_lo, s2
	s_cbranch_vccnz .LBB0_2
; %bb.1:
	s_cmp_lg_u32 s21, 0
	s_cselect_b32 s2, -1, 0
	s_cmp_neq_f32 s24, 0
	s_cselect_b32 s3, -1, 0
	s_delay_alu instid0(SALU_CYCLE_1)
	s_and_b32 s2, s2, s3
.LBB0_2:
	s_delay_alu instid0(SALU_CYCLE_1)
	s_and_not1_b32 vcc_lo, exec_lo, s2
	s_cbranch_vccnz .LBB0_33
; %bb.3:
	s_load_b32 s25, s[0:1], 0x60
	s_bfe_u32 s2, ttmp6, 0x40014
	s_lshr_b32 s3, ttmp7, 16
	s_add_co_i32 s2, s2, 1
	s_bfe_u32 s6, ttmp6, 0x40008
	s_mul_i32 s2, s3, s2
	s_getreg_b32 s26, hwreg(HW_REG_IB_STS2, 6, 4)
	s_add_co_i32 s6, s6, s2
	s_cmp_eq_u32 s26, 0
	s_mov_b32 s7, 0
	s_cselect_b32 s6, s3, s6
	s_wait_kmcnt 0x0
	s_cmp_ge_u32 s6, s25
	s_cbranch_scc1 .LBB0_33
; %bb.4:
	s_clause 0x3
	s_load_b32 s22, s[0:1], 0x18
	s_load_b32 s2, s[0:1], 0x30
	s_load_b96 s[16:18], s[0:1], 0x48
	s_load_b128 s[12:15], s[0:1], 0x20
	v_and_b32_e32 v8, 0x3ff, v0
	v_bfe_u32 v9, v0, 10, 10
	s_load_b64 s[8:9], s[0:1], 0x58
	s_wait_xcnt 0x0
	s_bfe_u32 s1, ttmp6, 0x4000c
	s_bfe_u32 s3, ttmp6, 0x40010
	s_and_b32 s28, ttmp7, 0xffff
	s_add_co_i32 s1, s1, 1
	s_add_co_i32 s29, s3, 1
	v_lshl_add_u32 v1, v9, 4, v8
	s_and_b32 s0, ttmp6, 15
	s_mul_i32 s1, ttmp9, s1
	s_mul_i32 s29, s28, s29
	s_bfe_u32 s30, ttmp6, 0x40004
	s_add_co_i32 s0, s0, s1
	s_add_co_i32 s30, s30, s29
	v_dual_lshrrev_b32 v4, 3, v1 :: v_dual_bitop2_b32 v5, 31, v1 bitop3:0x40
	s_wait_kmcnt 0x0
	s_ashr_i32 s23, s22, 31
	s_ashr_i32 s3, s2, 31
	;; [unrolled: 1-line block ×3, first 2 shown]
	s_cmp_eq_u32 s26, 0
	v_dual_lshrrev_b32 v0, 5, v1 :: v_dual_bitop2_b32 v22, 7, v0 bitop3:0x40
	s_cselect_b32 s0, ttmp9, s0
	s_cselect_b32 s1, s28, s30
	s_lshl_b32 s28, s0, 5
	s_lshl_b32 s0, s1, 5
	s_delay_alu instid0(SALU_CYCLE_1) | instskip(SKIP_2) | instid1(VALU_DEP_3)
	v_dual_add_nc_u32 v2, s0, v4 :: v_dual_bitop2_b32 v10, s28, v5 bitop3:0x54
	v_dual_mov_b32 v1, 0 :: v_dual_add_nc_u32 v12, s0, v9
	v_dual_lshlrev_b32 v20, 2, v22 :: v_dual_lshlrev_b32 v5, 2, v5
	v_ashrrev_i32_e32 v3, 31, v2
	s_delay_alu instid0(VALU_DEP_3) | instskip(NEXT) | instid1(VALU_DEP_4)
	v_mul_u64_e32 v[14:15], s[22:23], v[0:1]
	v_dual_add_nc_u32 v18, 16, v12 :: v_dual_ashrrev_i32 v13, 31, v12
	s_mov_b32 s26, s18
	s_delay_alu instid0(VALU_DEP_3) | instskip(SKIP_1) | instid1(VALU_DEP_3)
	v_mul_u64_e32 v[16:17], s[2:3], v[2:3]
	v_lshl_or_b32 v23, v0, 7, v5
	v_ashrrev_i32_e32 v19, 31, v18
	v_lshl_or_b32 v3, v4, 5, v20
	v_mul_u64_e32 v[4:5], s[26:27], v[12:13]
	v_cmp_gt_i32_e64 s1, s20, v2
	v_dual_add_nc_u32 v2, s28, v8 :: v_dual_lshlrev_b32 v25, 2, v8
	v_mul_u64_e32 v[6:7], s[26:27], v[18:19]
	v_dual_mov_b32 v21, v1 :: v_dual_add_nc_u32 v24, 0x400, v3
	s_delay_alu instid0(VALU_DEP_3) | instskip(SKIP_3) | instid1(VALU_DEP_4)
	v_dual_add_nc_u32 v8, 16, v2 :: v_dual_ashrrev_i32 v3, 31, v2
	v_ashrrev_i32_e32 v11, 31, v10
	v_cmp_gt_i32_e64 s0, s20, v10
	v_lshl_add_u32 v26, v9, 5, 0x400
	v_ashrrev_i32_e32 v9, 31, v8
	s_cmp_neq_f32 s24, 0
	v_lshlrev_b64_e32 v[10:11], 2, v[10:11]
	v_cmp_gt_i32_e32 vcc_lo, s20, v12
	v_cmp_le_i32_e64 s2, v2, v12
	s_cselect_b32 s29, -1, 0
	s_cmp_gt_i32 s21, 0
	v_cmp_le_i32_e64 s3, v8, v12
	s_cselect_b32 s30, -1, 0
	s_cmp_neq_f32 s19, 0
	v_lshl_add_u64 v[10:11], v[14:15], 2, v[10:11]
	s_cselect_b32 s18, -1, 0
	s_and_b32 s26, vcc_lo, s2
	s_and_b32 s27, vcc_lo, s3
	v_lshl_add_u64 v[12:13], v[16:17], 2, v[20:21]
	v_cmp_gt_i32_e32 vcc_lo, s20, v18
	v_cmp_le_i32_e64 s2, v2, v18
	v_cmp_le_i32_e64 s3, v8, v18
	v_add_nc_u64_e32 v[10:11], s[10:11], v[10:11]
	v_add_nc_u64_e32 v[12:13], s[14:15], v[12:13]
	s_and_b32 s14, s29, s30
	s_and_b32 s20, vcc_lo, s2
	s_and_b32 s28, vcc_lo, s3
	s_lshl_b64 s[2:3], s[12:13], 2
	s_lshl_b64 s[10:11], s[22:23], 5
	;; [unrolled: 1-line block ×3, first 2 shown]
	s_branch .LBB0_6
.LBB0_5:                                ;   in Loop: Header=BB0_6 Depth=1
	s_wait_xcnt 0x0
	s_or_b32 exec_lo, exec_lo, s12
	s_add_co_i32 s6, s6, 0x10000
	s_delay_alu instid0(SALU_CYCLE_1)
	s_cmp_lt_u32 s6, s25
	s_cbranch_scc0 .LBB0_33
.LBB0_6:                                ; =>This Loop Header: Depth=1
                                        ;     Child Loop BB0_9 Depth 2
	v_dual_mov_b32 v21, 0 :: v_dual_mov_b32 v20, 0
	v_dual_mov_b32 v15, 0 :: v_dual_mov_b32 v14, 0
	s_and_not1_b32 vcc_lo, exec_lo, s14
	s_cbranch_vccnz .LBB0_13
; %bb.7:                                ;   in Loop: Header=BB0_6 Depth=1
	v_mad_nc_u64_u32 v[16:17], s2, s6, v[10:11]
	v_mad_nc_u64_u32 v[18:19], s4, s6, v[12:13]
	v_mov_b32_e32 v14, 0
	s_mov_b32 s12, 0
	s_delay_alu instid0(VALU_DEP_1)
	v_dual_mov_b32 v15, v14 :: v_dual_mov_b32 v20, v14
	v_mov_b32_e32 v21, v14
	v_mad_u32 v17, s3, s6, v17
	v_mad_u32 v19, s5, s6, v19
	s_branch .LBB0_9
.LBB0_8:                                ;   in Loop: Header=BB0_9 Depth=2
	s_wait_xcnt 0x0
	s_or_b32 exec_lo, exec_lo, s13
	s_wait_loadcnt 0x0
	ds_store_b32 v24, v27
	s_wait_dscnt 0x0
	s_barrier_signal -1
	s_barrier_wait -1
	ds_load_b128 v[28:31], v26
	ds_load_2addr_b32 v[44:45], v25 offset1:16
	ds_load_b128 v[32:35], v26 offset:512
	ds_load_2addr_b32 v[46:47], v25 offset0:32 offset1:48
	ds_load_2addr_b32 v[48:49], v25 offset0:64 offset1:80
	;; [unrolled: 1-line block ×3, first 2 shown]
	ds_load_b128 v[36:39], v26 offset:16
	ds_load_2addr_b32 v[52:53], v25 offset0:128 offset1:144
	ds_load_b128 v[40:43], v26 offset:528
	v_add_nc_u64_e32 v[16:17], s[10:11], v[16:17]
	v_add_nc_u64_e32 v[18:19], 32, v[18:19]
	s_add_co_i32 s12, s12, 8
	s_delay_alu instid0(SALU_CYCLE_1)
	s_cmp_lt_i32 s12, s21
	s_wait_dscnt 0x7
	v_pk_fma_f32 v[20:21], v[44:45], v[28:29], v[20:21] op_sel_hi:[1,0,1]
	s_wait_dscnt 0x6
	v_pk_fma_f32 v[14:15], v[44:45], v[32:33], v[14:15] op_sel_hi:[1,0,1]
	ds_load_2addr_b32 v[44:45], v25 offset0:160 offset1:176
	s_wait_dscnt 0x6
	v_pk_fma_f32 v[20:21], v[46:47], v[28:29], v[20:21] op_sel:[0,1,0]
	v_pk_fma_f32 v[14:15], v[46:47], v[32:33], v[14:15] op_sel:[0,1,0]
	ds_load_2addr_b32 v[28:29], v25 offset0:192 offset1:208
	v_dual_mov_b32 v32, v31 :: v_dual_mov_b32 v46, v35
	s_wait_dscnt 0x6
	v_pk_fma_f32 v[20:21], v[48:49], v[30:31], v[20:21] op_sel_hi:[1,0,1]
	v_pk_fma_f32 v[14:15], v[48:49], v[34:35], v[14:15] op_sel_hi:[1,0,1]
	ds_load_2addr_b32 v[30:31], v25 offset0:224 offset1:240
	s_wait_dscnt 0x3
	v_mov_b32_e32 v34, v43
	s_wait_dscnt 0x0
	v_pk_fma_f32 v[20:21], v[50:51], v[32:33], v[20:21] op_sel_hi:[1,0,1]
	v_pk_fma_f32 v[14:15], v[50:51], v[46:47], v[14:15] op_sel_hi:[1,0,1]
	v_mov_b32_e32 v32, v39
	s_barrier_signal -1
	s_barrier_wait -1
	v_pk_fma_f32 v[20:21], v[52:53], v[36:37], v[20:21] op_sel_hi:[1,0,1]
	v_pk_fma_f32 v[14:15], v[52:53], v[40:41], v[14:15] op_sel_hi:[1,0,1]
	s_delay_alu instid0(VALU_DEP_2) | instskip(NEXT) | instid1(VALU_DEP_2)
	v_pk_fma_f32 v[20:21], v[44:45], v[36:37], v[20:21] op_sel:[0,1,0]
	v_pk_fma_f32 v[14:15], v[44:45], v[40:41], v[14:15] op_sel:[0,1,0]
	s_delay_alu instid0(VALU_DEP_2) | instskip(NEXT) | instid1(VALU_DEP_2)
	v_pk_fma_f32 v[20:21], v[28:29], v[38:39], v[20:21] op_sel_hi:[1,0,1]
	v_pk_fma_f32 v[14:15], v[28:29], v[42:43], v[14:15] op_sel_hi:[1,0,1]
	s_delay_alu instid0(VALU_DEP_2) | instskip(NEXT) | instid1(VALU_DEP_2)
	v_pk_fma_f32 v[20:21], v[30:31], v[32:33], v[20:21] op_sel_hi:[1,0,1]
	v_pk_fma_f32 v[14:15], v[30:31], v[34:35], v[14:15] op_sel_hi:[1,0,1]
	s_cbranch_scc0 .LBB0_13
.LBB0_9:                                ;   Parent Loop BB0_6 Depth=1
                                        ; =>  This Inner Loop Header: Depth=2
	v_add_nc_u32_e32 v1, s12, v0
	s_delay_alu instid0(VALU_DEP_1) | instskip(SKIP_2) | instid1(SALU_CYCLE_1)
	v_cmp_gt_i32_e32 vcc_lo, s21, v1
	v_mov_b32_e32 v1, 0
	s_and_b32 s15, s0, vcc_lo
	s_and_saveexec_b32 s13, s15
	s_cbranch_execz .LBB0_11
; %bb.10:                               ;   in Loop: Header=BB0_9 Depth=2
	global_load_b32 v1, v[16:17], off
.LBB0_11:                               ;   in Loop: Header=BB0_9 Depth=2
	s_wait_xcnt 0x0
	s_or_b32 exec_lo, exec_lo, s13
	v_add_nc_u32_e32 v27, s12, v22
	s_wait_loadcnt 0x0
	ds_store_b32 v23, v1
	v_cmp_gt_i32_e32 vcc_lo, s21, v27
	v_mov_b32_e32 v27, 0
	s_and_b32 s15, vcc_lo, s1
	s_delay_alu instid0(SALU_CYCLE_1)
	s_and_saveexec_b32 s13, s15
	s_cbranch_execz .LBB0_8
; %bb.12:                               ;   in Loop: Header=BB0_9 Depth=2
	global_load_b32 v27, v[18:19], off
	s_branch .LBB0_8
.LBB0_13:                               ;   in Loop: Header=BB0_6 Depth=1
	s_mul_u64 s[12:13], s[8:9], s[6:7]
	s_delay_alu instid0(SALU_CYCLE_1) | instskip(NEXT) | instid1(SALU_CYCLE_1)
	s_lshl_b64 s[12:13], s[12:13], 2
	s_add_nc_u64 s[12:13], s[16:17], s[12:13]
	s_delay_alu instid0(SALU_CYCLE_1)
	v_lshl_add_u64 v[16:17], v[4:5], 2, s[12:13]
	s_and_saveexec_b32 s15, s26
	s_cbranch_execz .LBB0_17
; %bb.14:                               ;   in Loop: Header=BB0_6 Depth=1
	v_mul_f32_e32 v1, s24, v20
	s_delay_alu instid0(VALU_DEP_2)
	v_lshl_add_u64 v[18:19], v[2:3], 2, v[16:17]
	s_and_b32 vcc_lo, exec_lo, s18
	s_cbranch_vccz .LBB0_28
; %bb.15:                               ;   in Loop: Header=BB0_6 Depth=1
	global_load_b32 v20, v[18:19], off
	s_wait_loadcnt 0x0
	v_fma_f32 v20, s19, v20, v1
	global_store_b32 v[18:19], v20, off
	s_cbranch_execnz .LBB0_17
.LBB0_16:                               ;   in Loop: Header=BB0_6 Depth=1
	global_store_b32 v[18:19], v1, off
.LBB0_17:                               ;   in Loop: Header=BB0_6 Depth=1
	s_wait_xcnt 0x0
	s_or_b32 exec_lo, exec_lo, s15
	s_and_saveexec_b32 s15, s27
	s_cbranch_execz .LBB0_21
; %bb.18:                               ;   in Loop: Header=BB0_6 Depth=1
	v_mul_f32_e32 v1, s24, v21
	v_lshl_add_u64 v[16:17], v[8:9], 2, v[16:17]
	s_and_not1_b32 vcc_lo, exec_lo, s18
	s_cbranch_vccnz .LBB0_29
; %bb.19:                               ;   in Loop: Header=BB0_6 Depth=1
	global_load_b32 v18, v[16:17], off
	s_wait_loadcnt 0x0
	v_fma_f32 v18, s19, v18, v1
	global_store_b32 v[16:17], v18, off
	s_cbranch_execnz .LBB0_21
.LBB0_20:                               ;   in Loop: Header=BB0_6 Depth=1
	global_store_b32 v[16:17], v1, off
.LBB0_21:                               ;   in Loop: Header=BB0_6 Depth=1
	s_wait_xcnt 0x0
	s_or_b32 exec_lo, exec_lo, s15
	v_lshl_add_u64 v[16:17], v[6:7], 2, s[12:13]
	s_and_saveexec_b32 s12, s20
	s_cbranch_execz .LBB0_25
; %bb.22:                               ;   in Loop: Header=BB0_6 Depth=1
	v_mul_f32_e32 v1, s24, v14
	s_delay_alu instid0(VALU_DEP_2)
	v_lshl_add_u64 v[18:19], v[2:3], 2, v[16:17]
	s_and_not1_b32 vcc_lo, exec_lo, s18
	s_cbranch_vccnz .LBB0_30
; %bb.23:                               ;   in Loop: Header=BB0_6 Depth=1
	global_load_b32 v14, v[18:19], off
	s_wait_loadcnt 0x0
	v_fma_f32 v14, s19, v14, v1
	global_store_b32 v[18:19], v14, off
	s_cbranch_execnz .LBB0_25
.LBB0_24:                               ;   in Loop: Header=BB0_6 Depth=1
	global_store_b32 v[18:19], v1, off
.LBB0_25:                               ;   in Loop: Header=BB0_6 Depth=1
	s_wait_xcnt 0x0
	s_or_b32 exec_lo, exec_lo, s12
	s_and_saveexec_b32 s12, s28
	s_cbranch_execz .LBB0_5
; %bb.26:                               ;   in Loop: Header=BB0_6 Depth=1
	v_mul_f32_e32 v1, s24, v15
	v_lshl_add_u64 v[14:15], v[8:9], 2, v[16:17]
	s_and_not1_b32 vcc_lo, exec_lo, s18
	s_cbranch_vccnz .LBB0_31
; %bb.27:                               ;   in Loop: Header=BB0_6 Depth=1
	global_load_b32 v16, v[14:15], off
	s_wait_loadcnt 0x0
	v_fma_f32 v16, s19, v16, v1
	global_store_b32 v[14:15], v16, off
	s_cbranch_execnz .LBB0_5
	s_branch .LBB0_32
.LBB0_28:                               ;   in Loop: Header=BB0_6 Depth=1
	s_branch .LBB0_16
.LBB0_29:                               ;   in Loop: Header=BB0_6 Depth=1
	s_branch .LBB0_20
.LBB0_30:                               ;   in Loop: Header=BB0_6 Depth=1
	s_branch .LBB0_24
.LBB0_31:                               ;   in Loop: Header=BB0_6 Depth=1
.LBB0_32:                               ;   in Loop: Header=BB0_6 Depth=1
	global_store_b32 v[14:15], v1, off
	s_branch .LBB0_5
.LBB0_33:
	s_endpgm
	.section	.rodata,"a",@progbits
	.p2align	6, 0x0
	.amdhsa_kernel _ZL29rocblas_internal_gemmt_kernelIiLi16ELi32ELi8ELc78ELc78ELc85ELb0ELb0EfPKfS1_PfEviT_T9_T10_S3_lS5_S3_lS4_T11_S3_li
		.amdhsa_group_segment_fixed_size 2048
		.amdhsa_private_segment_fixed_size 0
		.amdhsa_kernarg_size 100
		.amdhsa_user_sgpr_count 2
		.amdhsa_user_sgpr_dispatch_ptr 0
		.amdhsa_user_sgpr_queue_ptr 0
		.amdhsa_user_sgpr_kernarg_segment_ptr 1
		.amdhsa_user_sgpr_dispatch_id 0
		.amdhsa_user_sgpr_kernarg_preload_length 0
		.amdhsa_user_sgpr_kernarg_preload_offset 0
		.amdhsa_user_sgpr_private_segment_size 0
		.amdhsa_wavefront_size32 1
		.amdhsa_uses_dynamic_stack 0
		.amdhsa_enable_private_segment 0
		.amdhsa_system_sgpr_workgroup_id_x 1
		.amdhsa_system_sgpr_workgroup_id_y 1
		.amdhsa_system_sgpr_workgroup_id_z 1
		.amdhsa_system_sgpr_workgroup_info 0
		.amdhsa_system_vgpr_workitem_id 1
		.amdhsa_next_free_vgpr 54
		.amdhsa_next_free_sgpr 31
		.amdhsa_named_barrier_count 0
		.amdhsa_reserve_vcc 1
		.amdhsa_float_round_mode_32 0
		.amdhsa_float_round_mode_16_64 0
		.amdhsa_float_denorm_mode_32 3
		.amdhsa_float_denorm_mode_16_64 3
		.amdhsa_fp16_overflow 0
		.amdhsa_memory_ordered 1
		.amdhsa_forward_progress 1
		.amdhsa_inst_pref_size 13
		.amdhsa_round_robin_scheduling 0
		.amdhsa_exception_fp_ieee_invalid_op 0
		.amdhsa_exception_fp_denorm_src 0
		.amdhsa_exception_fp_ieee_div_zero 0
		.amdhsa_exception_fp_ieee_overflow 0
		.amdhsa_exception_fp_ieee_underflow 0
		.amdhsa_exception_fp_ieee_inexact 0
		.amdhsa_exception_int_div_zero 0
	.end_amdhsa_kernel
	.section	.text._ZL29rocblas_internal_gemmt_kernelIiLi16ELi32ELi8ELc78ELc78ELc85ELb0ELb0EfPKfS1_PfEviT_T9_T10_S3_lS5_S3_lS4_T11_S3_li,"axG",@progbits,_ZL29rocblas_internal_gemmt_kernelIiLi16ELi32ELi8ELc78ELc78ELc85ELb0ELb0EfPKfS1_PfEviT_T9_T10_S3_lS5_S3_lS4_T11_S3_li,comdat
.Lfunc_end0:
	.size	_ZL29rocblas_internal_gemmt_kernelIiLi16ELi32ELi8ELc78ELc78ELc85ELb0ELb0EfPKfS1_PfEviT_T9_T10_S3_lS5_S3_lS4_T11_S3_li, .Lfunc_end0-_ZL29rocblas_internal_gemmt_kernelIiLi16ELi32ELi8ELc78ELc78ELc85ELb0ELb0EfPKfS1_PfEviT_T9_T10_S3_lS5_S3_lS4_T11_S3_li
                                        ; -- End function
	.set _ZL29rocblas_internal_gemmt_kernelIiLi16ELi32ELi8ELc78ELc78ELc85ELb0ELb0EfPKfS1_PfEviT_T9_T10_S3_lS5_S3_lS4_T11_S3_li.num_vgpr, 54
	.set _ZL29rocblas_internal_gemmt_kernelIiLi16ELi32ELi8ELc78ELc78ELc85ELb0ELb0EfPKfS1_PfEviT_T9_T10_S3_lS5_S3_lS4_T11_S3_li.num_agpr, 0
	.set _ZL29rocblas_internal_gemmt_kernelIiLi16ELi32ELi8ELc78ELc78ELc85ELb0ELb0EfPKfS1_PfEviT_T9_T10_S3_lS5_S3_lS4_T11_S3_li.numbered_sgpr, 31
	.set _ZL29rocblas_internal_gemmt_kernelIiLi16ELi32ELi8ELc78ELc78ELc85ELb0ELb0EfPKfS1_PfEviT_T9_T10_S3_lS5_S3_lS4_T11_S3_li.num_named_barrier, 0
	.set _ZL29rocblas_internal_gemmt_kernelIiLi16ELi32ELi8ELc78ELc78ELc85ELb0ELb0EfPKfS1_PfEviT_T9_T10_S3_lS5_S3_lS4_T11_S3_li.private_seg_size, 0
	.set _ZL29rocblas_internal_gemmt_kernelIiLi16ELi32ELi8ELc78ELc78ELc85ELb0ELb0EfPKfS1_PfEviT_T9_T10_S3_lS5_S3_lS4_T11_S3_li.uses_vcc, 1
	.set _ZL29rocblas_internal_gemmt_kernelIiLi16ELi32ELi8ELc78ELc78ELc85ELb0ELb0EfPKfS1_PfEviT_T9_T10_S3_lS5_S3_lS4_T11_S3_li.uses_flat_scratch, 0
	.set _ZL29rocblas_internal_gemmt_kernelIiLi16ELi32ELi8ELc78ELc78ELc85ELb0ELb0EfPKfS1_PfEviT_T9_T10_S3_lS5_S3_lS4_T11_S3_li.has_dyn_sized_stack, 0
	.set _ZL29rocblas_internal_gemmt_kernelIiLi16ELi32ELi8ELc78ELc78ELc85ELb0ELb0EfPKfS1_PfEviT_T9_T10_S3_lS5_S3_lS4_T11_S3_li.has_recursion, 0
	.set _ZL29rocblas_internal_gemmt_kernelIiLi16ELi32ELi8ELc78ELc78ELc85ELb0ELb0EfPKfS1_PfEviT_T9_T10_S3_lS5_S3_lS4_T11_S3_li.has_indirect_call, 0
	.section	.AMDGPU.csdata,"",@progbits
; Kernel info:
; codeLenInByte = 1644
; TotalNumSgprs: 33
; NumVgprs: 54
; ScratchSize: 0
; MemoryBound: 0
; FloatMode: 240
; IeeeMode: 1
; LDSByteSize: 2048 bytes/workgroup (compile time only)
; SGPRBlocks: 0
; VGPRBlocks: 3
; NumSGPRsForWavesPerEU: 33
; NumVGPRsForWavesPerEU: 54
; NamedBarCnt: 0
; Occupancy: 16
; WaveLimiterHint : 0
; COMPUTE_PGM_RSRC2:SCRATCH_EN: 0
; COMPUTE_PGM_RSRC2:USER_SGPR: 2
; COMPUTE_PGM_RSRC2:TRAP_HANDLER: 0
; COMPUTE_PGM_RSRC2:TGID_X_EN: 1
; COMPUTE_PGM_RSRC2:TGID_Y_EN: 1
; COMPUTE_PGM_RSRC2:TGID_Z_EN: 1
; COMPUTE_PGM_RSRC2:TIDIG_COMP_CNT: 1
	.section	.text._ZL29rocblas_internal_gemmt_kernelIiLi16ELi32ELi8ELc78ELc84ELc85ELb0ELb0EfPKfS1_PfEviT_T9_T10_S3_lS5_S3_lS4_T11_S3_li,"axG",@progbits,_ZL29rocblas_internal_gemmt_kernelIiLi16ELi32ELi8ELc78ELc84ELc85ELb0ELb0EfPKfS1_PfEviT_T9_T10_S3_lS5_S3_lS4_T11_S3_li,comdat
	.globl	_ZL29rocblas_internal_gemmt_kernelIiLi16ELi32ELi8ELc78ELc84ELc85ELb0ELb0EfPKfS1_PfEviT_T9_T10_S3_lS5_S3_lS4_T11_S3_li ; -- Begin function _ZL29rocblas_internal_gemmt_kernelIiLi16ELi32ELi8ELc78ELc84ELc85ELb0ELb0EfPKfS1_PfEviT_T9_T10_S3_lS5_S3_lS4_T11_S3_li
	.p2align	8
	.type	_ZL29rocblas_internal_gemmt_kernelIiLi16ELi32ELi8ELc78ELc84ELc85ELb0ELb0EfPKfS1_PfEviT_T9_T10_S3_lS5_S3_lS4_T11_S3_li,@function
_ZL29rocblas_internal_gemmt_kernelIiLi16ELi32ELi8ELc78ELc84ELc85ELb0ELb0EfPKfS1_PfEviT_T9_T10_S3_lS5_S3_lS4_T11_S3_li: ; @_ZL29rocblas_internal_gemmt_kernelIiLi16ELi32ELi8ELc78ELc84ELc85ELb0ELb0EfPKfS1_PfEviT_T9_T10_S3_lS5_S3_lS4_T11_S3_li
; %bb.0:
	s_clause 0x1
	s_load_b128 s[4:7], s[0:1], 0x38
	s_load_b128 s[8:11], s[0:1], 0x8
	s_wait_kmcnt 0x0
	s_load_b32 s19, s[6:7], 0x0
	s_load_b64 s[20:21], s[0:1], 0x0
	s_load_b32 s26, s[8:9], 0x0
	s_wait_kmcnt 0x0
	s_cmp_neq_f32 s19, 1.0
	s_cselect_b32 s2, -1, 0
	s_delay_alu instid0(SALU_CYCLE_1)
	s_and_b32 vcc_lo, exec_lo, s2
	s_cbranch_vccnz .LBB1_2
; %bb.1:
	s_cmp_lg_u32 s21, 0
	s_cselect_b32 s2, -1, 0
	s_cmp_neq_f32 s26, 0
	s_cselect_b32 s3, -1, 0
	s_delay_alu instid0(SALU_CYCLE_1)
	s_and_b32 s2, s2, s3
.LBB1_2:
	s_delay_alu instid0(SALU_CYCLE_1)
	s_and_not1_b32 vcc_lo, exec_lo, s2
	s_cbranch_vccnz .LBB1_33
; %bb.3:
	s_load_b32 s27, s[0:1], 0x60
	s_bfe_u32 s2, ttmp6, 0x40014
	s_lshr_b32 s3, ttmp7, 16
	s_add_co_i32 s2, s2, 1
	s_bfe_u32 s7, ttmp6, 0x40008
	s_mul_i32 s6, s3, s2
	s_getreg_b32 s2, hwreg(HW_REG_IB_STS2, 6, 4)
	s_add_co_i32 s7, s7, s6
	s_cmp_eq_u32 s2, 0
	s_cselect_b32 s6, s3, s7
	s_mov_b32 s7, 0
	s_wait_kmcnt 0x0
	s_cmp_ge_u32 s6, s27
	s_cbranch_scc1 .LBB1_33
; %bb.4:
	s_clause 0x3
	s_load_b32 s22, s[0:1], 0x18
	s_load_b32 s24, s[0:1], 0x30
	s_load_b96 s[16:18], s[0:1], 0x48
	s_load_b128 s[12:15], s[0:1], 0x20
	v_and_b32_e32 v5, 0x3ff, v0
	v_bfe_u32 v11, v0, 10, 10
	s_load_b64 s[8:9], s[0:1], 0x58
	s_wait_xcnt 0x0
	s_bfe_u32 s1, ttmp6, 0x4000c
	s_bfe_u32 s23, ttmp6, 0x40010
	s_and_b32 s3, ttmp7, 0xffff
	s_add_co_i32 s1, s1, 1
	s_add_co_i32 s30, s23, 1
	v_lshl_add_u32 v1, v11, 4, v5
	s_and_b32 s0, ttmp6, 15
	s_mul_i32 s1, ttmp9, s1
	v_and_b32_e32 v0, 7, v0
	s_add_co_i32 s0, s0, s1
	v_dual_lshrrev_b32 v6, 3, v1 :: v_dual_bitop2_b32 v4, 31, v1 bitop3:0x40
	v_lshrrev_b32_e32 v2, 5, v1
	s_wait_kmcnt 0x0
	s_ashr_i32 s23, s22, 31
	s_ashr_i32 s25, s24, 31
	;; [unrolled: 1-line block ×3, first 2 shown]
	s_mov_b32 s28, s18
	s_mul_i32 s18, s3, s30
	s_bfe_u32 s30, ttmp6, 0x40004
	v_lshl_add_u32 v25, v11, 5, 0x400
	s_add_co_i32 s30, s30, s18
	s_cmp_eq_u32 s2, 0
	v_mov_b32_e32 v3, 0
	s_cselect_b32 s0, ttmp9, s0
	s_cselect_b32 s1, s3, s30
	s_lshl_b32 s2, s0, 5
	s_lshl_b32 s0, s1, 5
	s_delay_alu instid0(SALU_CYCLE_1) | instskip(SKIP_3) | instid1(VALU_DEP_4)
	v_dual_add_nc_u32 v14, s0, v6 :: v_dual_bitop2_b32 v12, s2, v4 bitop3:0x54
	v_dual_mov_b32 v1, v3 :: v_dual_lshlrev_b32 v7, 2, v0
	v_add_nc_u32_e32 v16, s0, v11
	v_mul_u64_e32 v[18:19], s[22:23], v[2:3]
	v_ashrrev_i32_e32 v15, 31, v14
	s_delay_alu instid0(VALU_DEP_4)
	v_mul_u64_e32 v[20:21], s[24:25], v[0:1]
	v_cmp_gt_i32_e64 s0, s20, v12
	v_dual_add_nc_u32 v22, 16, v16 :: v_dual_ashrrev_i32 v17, 31, v16
	v_lshlrev_b32_e32 v3, 2, v4
	v_lshl_or_b32 v4, v6, 5, v7
	v_cmp_gt_i32_e64 s1, s20, v14
	s_delay_alu instid0(VALU_DEP_4)
	v_ashrrev_i32_e32 v23, 31, v22
	v_mul_u64_e32 v[6:7], s[28:29], v[16:17]
	v_lshl_or_b32 v1, v2, 7, v3
	v_add_nc_u32_e32 v3, 0x400, v4
	v_add_nc_u32_e32 v4, s2, v5
	v_mul_u64_e32 v[8:9], s[28:29], v[22:23]
	v_lshlrev_b32_e32 v24, 2, v5
	v_lshlrev_b64_e32 v[14:15], 2, v[14:15]
	s_cmp_neq_f32 s26, 0
	v_add_nc_u32_e32 v10, 16, v4
	v_ashrrev_i32_e32 v13, 31, v12
	v_cmp_gt_i32_e32 vcc_lo, s20, v16
	s_cselect_b32 s31, -1, 0
	s_cmp_gt_i32 s21, 0
	v_ashrrev_i32_e32 v11, 31, v10
	v_lshlrev_b64_e32 v[12:13], 2, v[12:13]
	v_cmp_le_i32_e64 s2, v4, v16
	v_cmp_le_i32_e64 s3, v10, v16
	s_cselect_b32 s33, -1, 0
	s_cmp_neq_f32 s19, 0
	v_ashrrev_i32_e32 v5, 31, v4
	v_lshl_add_u64 v[12:13], v[18:19], 2, v[12:13]
	s_cselect_b32 s18, -1, 0
	v_lshl_add_u64 v[14:15], v[20:21], 2, v[14:15]
	s_and_b32 s28, vcc_lo, s2
	s_and_b32 s29, vcc_lo, s3
	v_cmp_gt_i32_e32 vcc_lo, s20, v22
	v_cmp_le_i32_e64 s2, v4, v22
	v_cmp_le_i32_e64 s3, v10, v22
	v_add_nc_u64_e32 v[12:13], s[10:11], v[12:13]
	v_add_nc_u64_e32 v[14:15], s[14:15], v[14:15]
	s_and_b32 s31, s31, s33
	s_and_b32 s20, vcc_lo, s2
	s_and_b32 s30, vcc_lo, s3
	s_lshl_b64 s[2:3], s[12:13], 2
	s_lshl_b64 s[10:11], s[22:23], 5
	;; [unrolled: 1-line block ×4, first 2 shown]
	s_branch .LBB1_6
.LBB1_5:                                ;   in Loop: Header=BB1_6 Depth=1
	s_wait_xcnt 0x0
	s_or_b32 exec_lo, exec_lo, s14
	s_add_co_i32 s6, s6, 0x10000
	s_delay_alu instid0(SALU_CYCLE_1)
	s_cmp_lt_u32 s6, s27
	s_cbranch_scc0 .LBB1_33
.LBB1_6:                                ; =>This Loop Header: Depth=1
                                        ;     Child Loop BB1_9 Depth 2
	v_dual_mov_b32 v23, 0 :: v_dual_mov_b32 v22, 0
	v_dual_mov_b32 v17, 0 :: v_dual_mov_b32 v16, 0
	s_and_not1_b32 vcc_lo, exec_lo, s31
	s_cbranch_vccnz .LBB1_13
; %bb.7:                                ;   in Loop: Header=BB1_6 Depth=1
	v_mad_nc_u64_u32 v[18:19], s2, s6, v[12:13]
	v_mad_nc_u64_u32 v[20:21], s4, s6, v[14:15]
	v_mov_b32_e32 v16, 0
	s_mov_b32 s14, 0
	s_delay_alu instid0(VALU_DEP_1)
	v_dual_mov_b32 v17, v16 :: v_dual_mov_b32 v22, v16
	v_mov_b32_e32 v23, v16
	v_mad_u32 v19, s3, s6, v19
	v_mad_u32 v21, s5, s6, v21
	s_branch .LBB1_9
.LBB1_8:                                ;   in Loop: Header=BB1_9 Depth=2
	s_wait_xcnt 0x0
	s_or_b32 exec_lo, exec_lo, s15
	s_wait_loadcnt 0x0
	ds_store_b32 v3, v27
	s_wait_dscnt 0x0
	s_barrier_signal -1
	s_barrier_wait -1
	ds_load_b128 v[26:29], v25
	ds_load_2addr_b32 v[42:43], v24 offset1:16
	ds_load_b128 v[30:33], v25 offset:512
	ds_load_2addr_b32 v[44:45], v24 offset0:32 offset1:48
	ds_load_2addr_b32 v[46:47], v24 offset0:64 offset1:80
	;; [unrolled: 1-line block ×3, first 2 shown]
	ds_load_b128 v[34:37], v25 offset:16
	ds_load_2addr_b32 v[50:51], v24 offset0:128 offset1:144
	ds_load_b128 v[38:41], v25 offset:528
	v_add_nc_u64_e32 v[18:19], s[10:11], v[18:19]
	v_add_nc_u64_e32 v[20:21], s[12:13], v[20:21]
	s_add_co_i32 s14, s14, 8
	s_delay_alu instid0(SALU_CYCLE_1)
	s_cmp_lt_i32 s14, s21
	s_wait_dscnt 0x7
	v_pk_fma_f32 v[22:23], v[42:43], v[26:27], v[22:23] op_sel_hi:[1,0,1]
	s_wait_dscnt 0x6
	v_pk_fma_f32 v[16:17], v[42:43], v[30:31], v[16:17] op_sel_hi:[1,0,1]
	ds_load_2addr_b32 v[42:43], v24 offset0:160 offset1:176
	s_wait_dscnt 0x6
	v_pk_fma_f32 v[22:23], v[44:45], v[26:27], v[22:23] op_sel:[0,1,0]
	v_pk_fma_f32 v[16:17], v[44:45], v[30:31], v[16:17] op_sel:[0,1,0]
	ds_load_2addr_b32 v[26:27], v24 offset0:192 offset1:208
	v_dual_mov_b32 v30, v29 :: v_dual_mov_b32 v44, v33
	s_wait_dscnt 0x6
	v_pk_fma_f32 v[22:23], v[46:47], v[28:29], v[22:23] op_sel_hi:[1,0,1]
	v_pk_fma_f32 v[16:17], v[46:47], v[32:33], v[16:17] op_sel_hi:[1,0,1]
	ds_load_2addr_b32 v[28:29], v24 offset0:224 offset1:240
	s_wait_dscnt 0x3
	v_mov_b32_e32 v32, v41
	s_wait_dscnt 0x0
	v_pk_fma_f32 v[22:23], v[48:49], v[30:31], v[22:23] op_sel_hi:[1,0,1]
	v_pk_fma_f32 v[16:17], v[48:49], v[44:45], v[16:17] op_sel_hi:[1,0,1]
	v_mov_b32_e32 v30, v37
	s_barrier_signal -1
	s_barrier_wait -1
	v_pk_fma_f32 v[22:23], v[50:51], v[34:35], v[22:23] op_sel_hi:[1,0,1]
	v_pk_fma_f32 v[16:17], v[50:51], v[38:39], v[16:17] op_sel_hi:[1,0,1]
	s_delay_alu instid0(VALU_DEP_2) | instskip(NEXT) | instid1(VALU_DEP_2)
	v_pk_fma_f32 v[22:23], v[42:43], v[34:35], v[22:23] op_sel:[0,1,0]
	v_pk_fma_f32 v[16:17], v[42:43], v[38:39], v[16:17] op_sel:[0,1,0]
	s_delay_alu instid0(VALU_DEP_2) | instskip(NEXT) | instid1(VALU_DEP_2)
	v_pk_fma_f32 v[22:23], v[26:27], v[36:37], v[22:23] op_sel_hi:[1,0,1]
	v_pk_fma_f32 v[16:17], v[26:27], v[40:41], v[16:17] op_sel_hi:[1,0,1]
	s_delay_alu instid0(VALU_DEP_2) | instskip(NEXT) | instid1(VALU_DEP_2)
	v_pk_fma_f32 v[22:23], v[28:29], v[30:31], v[22:23] op_sel_hi:[1,0,1]
	v_pk_fma_f32 v[16:17], v[28:29], v[32:33], v[16:17] op_sel_hi:[1,0,1]
	s_cbranch_scc0 .LBB1_13
.LBB1_9:                                ;   Parent Loop BB1_6 Depth=1
                                        ; =>  This Inner Loop Header: Depth=2
	v_add_nc_u32_e32 v26, s14, v2
	s_delay_alu instid0(VALU_DEP_1) | instskip(SKIP_2) | instid1(SALU_CYCLE_1)
	v_cmp_gt_i32_e32 vcc_lo, s21, v26
	v_mov_b32_e32 v26, 0
	s_and_b32 s22, s0, vcc_lo
	s_and_saveexec_b32 s15, s22
	s_cbranch_execz .LBB1_11
; %bb.10:                               ;   in Loop: Header=BB1_9 Depth=2
	global_load_b32 v26, v[18:19], off
.LBB1_11:                               ;   in Loop: Header=BB1_9 Depth=2
	s_wait_xcnt 0x0
	s_or_b32 exec_lo, exec_lo, s15
	v_add_nc_u32_e32 v27, s14, v0
	s_wait_loadcnt 0x0
	ds_store_b32 v1, v26
	v_cmp_gt_i32_e32 vcc_lo, s21, v27
	v_mov_b32_e32 v27, 0
	s_and_b32 s22, vcc_lo, s1
	s_delay_alu instid0(SALU_CYCLE_1)
	s_and_saveexec_b32 s15, s22
	s_cbranch_execz .LBB1_8
; %bb.12:                               ;   in Loop: Header=BB1_9 Depth=2
	global_load_b32 v27, v[20:21], off
	s_branch .LBB1_8
.LBB1_13:                               ;   in Loop: Header=BB1_6 Depth=1
	s_mul_u64 s[14:15], s[8:9], s[6:7]
	s_delay_alu instid0(SALU_CYCLE_1) | instskip(NEXT) | instid1(SALU_CYCLE_1)
	s_lshl_b64 s[14:15], s[14:15], 2
	s_add_nc_u64 s[14:15], s[16:17], s[14:15]
	s_delay_alu instid0(SALU_CYCLE_1)
	v_lshl_add_u64 v[18:19], v[6:7], 2, s[14:15]
	s_and_saveexec_b32 s22, s28
	s_cbranch_execz .LBB1_17
; %bb.14:                               ;   in Loop: Header=BB1_6 Depth=1
	v_mul_f32_e32 v22, s26, v22
	s_delay_alu instid0(VALU_DEP_2)
	v_lshl_add_u64 v[20:21], v[4:5], 2, v[18:19]
	s_and_b32 vcc_lo, exec_lo, s18
	s_cbranch_vccz .LBB1_28
; %bb.15:                               ;   in Loop: Header=BB1_6 Depth=1
	global_load_b32 v26, v[20:21], off
	s_wait_loadcnt 0x0
	v_fma_f32 v26, s19, v26, v22
	global_store_b32 v[20:21], v26, off
	s_cbranch_execnz .LBB1_17
.LBB1_16:                               ;   in Loop: Header=BB1_6 Depth=1
	global_store_b32 v[20:21], v22, off
.LBB1_17:                               ;   in Loop: Header=BB1_6 Depth=1
	s_wait_xcnt 0x0
	s_or_b32 exec_lo, exec_lo, s22
	s_and_saveexec_b32 s22, s29
	s_cbranch_execz .LBB1_21
; %bb.18:                               ;   in Loop: Header=BB1_6 Depth=1
	v_mul_f32_e32 v20, s26, v23
	v_lshl_add_u64 v[18:19], v[10:11], 2, v[18:19]
	s_and_not1_b32 vcc_lo, exec_lo, s18
	s_cbranch_vccnz .LBB1_29
; %bb.19:                               ;   in Loop: Header=BB1_6 Depth=1
	global_load_b32 v21, v[18:19], off
	s_wait_loadcnt 0x0
	v_fma_f32 v21, s19, v21, v20
	global_store_b32 v[18:19], v21, off
	s_cbranch_execnz .LBB1_21
.LBB1_20:                               ;   in Loop: Header=BB1_6 Depth=1
	global_store_b32 v[18:19], v20, off
.LBB1_21:                               ;   in Loop: Header=BB1_6 Depth=1
	s_wait_xcnt 0x0
	s_or_b32 exec_lo, exec_lo, s22
	v_lshl_add_u64 v[18:19], v[8:9], 2, s[14:15]
	s_and_saveexec_b32 s14, s20
	s_cbranch_execz .LBB1_25
; %bb.22:                               ;   in Loop: Header=BB1_6 Depth=1
	v_mul_f32_e32 v16, s26, v16
	s_delay_alu instid0(VALU_DEP_2)
	v_lshl_add_u64 v[20:21], v[4:5], 2, v[18:19]
	s_and_not1_b32 vcc_lo, exec_lo, s18
	s_cbranch_vccnz .LBB1_30
; %bb.23:                               ;   in Loop: Header=BB1_6 Depth=1
	global_load_b32 v22, v[20:21], off
	s_wait_loadcnt 0x0
	v_fma_f32 v22, s19, v22, v16
	global_store_b32 v[20:21], v22, off
	s_cbranch_execnz .LBB1_25
.LBB1_24:                               ;   in Loop: Header=BB1_6 Depth=1
	global_store_b32 v[20:21], v16, off
.LBB1_25:                               ;   in Loop: Header=BB1_6 Depth=1
	s_wait_xcnt 0x0
	s_or_b32 exec_lo, exec_lo, s14
	s_and_saveexec_b32 s14, s30
	s_cbranch_execz .LBB1_5
; %bb.26:                               ;   in Loop: Header=BB1_6 Depth=1
	v_mul_f32_e32 v20, s26, v17
	v_lshl_add_u64 v[16:17], v[10:11], 2, v[18:19]
	s_and_not1_b32 vcc_lo, exec_lo, s18
	s_cbranch_vccnz .LBB1_31
; %bb.27:                               ;   in Loop: Header=BB1_6 Depth=1
	global_load_b32 v18, v[16:17], off
	s_wait_loadcnt 0x0
	v_fma_f32 v18, s19, v18, v20
	global_store_b32 v[16:17], v18, off
	s_cbranch_execnz .LBB1_5
	s_branch .LBB1_32
.LBB1_28:                               ;   in Loop: Header=BB1_6 Depth=1
	s_branch .LBB1_16
.LBB1_29:                               ;   in Loop: Header=BB1_6 Depth=1
	s_branch .LBB1_20
.LBB1_30:                               ;   in Loop: Header=BB1_6 Depth=1
	s_branch .LBB1_24
.LBB1_31:                               ;   in Loop: Header=BB1_6 Depth=1
.LBB1_32:                               ;   in Loop: Header=BB1_6 Depth=1
	global_store_b32 v[16:17], v20, off
	s_branch .LBB1_5
.LBB1_33:
	s_endpgm
	.section	.rodata,"a",@progbits
	.p2align	6, 0x0
	.amdhsa_kernel _ZL29rocblas_internal_gemmt_kernelIiLi16ELi32ELi8ELc78ELc84ELc85ELb0ELb0EfPKfS1_PfEviT_T9_T10_S3_lS5_S3_lS4_T11_S3_li
		.amdhsa_group_segment_fixed_size 2048
		.amdhsa_private_segment_fixed_size 0
		.amdhsa_kernarg_size 100
		.amdhsa_user_sgpr_count 2
		.amdhsa_user_sgpr_dispatch_ptr 0
		.amdhsa_user_sgpr_queue_ptr 0
		.amdhsa_user_sgpr_kernarg_segment_ptr 1
		.amdhsa_user_sgpr_dispatch_id 0
		.amdhsa_user_sgpr_kernarg_preload_length 0
		.amdhsa_user_sgpr_kernarg_preload_offset 0
		.amdhsa_user_sgpr_private_segment_size 0
		.amdhsa_wavefront_size32 1
		.amdhsa_uses_dynamic_stack 0
		.amdhsa_enable_private_segment 0
		.amdhsa_system_sgpr_workgroup_id_x 1
		.amdhsa_system_sgpr_workgroup_id_y 1
		.amdhsa_system_sgpr_workgroup_id_z 1
		.amdhsa_system_sgpr_workgroup_info 0
		.amdhsa_system_vgpr_workitem_id 1
		.amdhsa_next_free_vgpr 52
		.amdhsa_next_free_sgpr 34
		.amdhsa_named_barrier_count 0
		.amdhsa_reserve_vcc 1
		.amdhsa_float_round_mode_32 0
		.amdhsa_float_round_mode_16_64 0
		.amdhsa_float_denorm_mode_32 3
		.amdhsa_float_denorm_mode_16_64 3
		.amdhsa_fp16_overflow 0
		.amdhsa_memory_ordered 1
		.amdhsa_forward_progress 1
		.amdhsa_inst_pref_size 13
		.amdhsa_round_robin_scheduling 0
		.amdhsa_exception_fp_ieee_invalid_op 0
		.amdhsa_exception_fp_denorm_src 0
		.amdhsa_exception_fp_ieee_div_zero 0
		.amdhsa_exception_fp_ieee_overflow 0
		.amdhsa_exception_fp_ieee_underflow 0
		.amdhsa_exception_fp_ieee_inexact 0
		.amdhsa_exception_int_div_zero 0
	.end_amdhsa_kernel
	.section	.text._ZL29rocblas_internal_gemmt_kernelIiLi16ELi32ELi8ELc78ELc84ELc85ELb0ELb0EfPKfS1_PfEviT_T9_T10_S3_lS5_S3_lS4_T11_S3_li,"axG",@progbits,_ZL29rocblas_internal_gemmt_kernelIiLi16ELi32ELi8ELc78ELc84ELc85ELb0ELb0EfPKfS1_PfEviT_T9_T10_S3_lS5_S3_lS4_T11_S3_li,comdat
.Lfunc_end1:
	.size	_ZL29rocblas_internal_gemmt_kernelIiLi16ELi32ELi8ELc78ELc84ELc85ELb0ELb0EfPKfS1_PfEviT_T9_T10_S3_lS5_S3_lS4_T11_S3_li, .Lfunc_end1-_ZL29rocblas_internal_gemmt_kernelIiLi16ELi32ELi8ELc78ELc84ELc85ELb0ELb0EfPKfS1_PfEviT_T9_T10_S3_lS5_S3_lS4_T11_S3_li
                                        ; -- End function
	.set _ZL29rocblas_internal_gemmt_kernelIiLi16ELi32ELi8ELc78ELc84ELc85ELb0ELb0EfPKfS1_PfEviT_T9_T10_S3_lS5_S3_lS4_T11_S3_li.num_vgpr, 52
	.set _ZL29rocblas_internal_gemmt_kernelIiLi16ELi32ELi8ELc78ELc84ELc85ELb0ELb0EfPKfS1_PfEviT_T9_T10_S3_lS5_S3_lS4_T11_S3_li.num_agpr, 0
	.set _ZL29rocblas_internal_gemmt_kernelIiLi16ELi32ELi8ELc78ELc84ELc85ELb0ELb0EfPKfS1_PfEviT_T9_T10_S3_lS5_S3_lS4_T11_S3_li.numbered_sgpr, 34
	.set _ZL29rocblas_internal_gemmt_kernelIiLi16ELi32ELi8ELc78ELc84ELc85ELb0ELb0EfPKfS1_PfEviT_T9_T10_S3_lS5_S3_lS4_T11_S3_li.num_named_barrier, 0
	.set _ZL29rocblas_internal_gemmt_kernelIiLi16ELi32ELi8ELc78ELc84ELc85ELb0ELb0EfPKfS1_PfEviT_T9_T10_S3_lS5_S3_lS4_T11_S3_li.private_seg_size, 0
	.set _ZL29rocblas_internal_gemmt_kernelIiLi16ELi32ELi8ELc78ELc84ELc85ELb0ELb0EfPKfS1_PfEviT_T9_T10_S3_lS5_S3_lS4_T11_S3_li.uses_vcc, 1
	.set _ZL29rocblas_internal_gemmt_kernelIiLi16ELi32ELi8ELc78ELc84ELc85ELb0ELb0EfPKfS1_PfEviT_T9_T10_S3_lS5_S3_lS4_T11_S3_li.uses_flat_scratch, 0
	.set _ZL29rocblas_internal_gemmt_kernelIiLi16ELi32ELi8ELc78ELc84ELc85ELb0ELb0EfPKfS1_PfEviT_T9_T10_S3_lS5_S3_lS4_T11_S3_li.has_dyn_sized_stack, 0
	.set _ZL29rocblas_internal_gemmt_kernelIiLi16ELi32ELi8ELc78ELc84ELc85ELb0ELb0EfPKfS1_PfEviT_T9_T10_S3_lS5_S3_lS4_T11_S3_li.has_recursion, 0
	.set _ZL29rocblas_internal_gemmt_kernelIiLi16ELi32ELi8ELc78ELc84ELc85ELb0ELb0EfPKfS1_PfEviT_T9_T10_S3_lS5_S3_lS4_T11_S3_li.has_indirect_call, 0
	.section	.AMDGPU.csdata,"",@progbits
; Kernel info:
; codeLenInByte = 1636
; TotalNumSgprs: 36
; NumVgprs: 52
; ScratchSize: 0
; MemoryBound: 0
; FloatMode: 240
; IeeeMode: 1
; LDSByteSize: 2048 bytes/workgroup (compile time only)
; SGPRBlocks: 0
; VGPRBlocks: 3
; NumSGPRsForWavesPerEU: 36
; NumVGPRsForWavesPerEU: 52
; NamedBarCnt: 0
; Occupancy: 16
; WaveLimiterHint : 0
; COMPUTE_PGM_RSRC2:SCRATCH_EN: 0
; COMPUTE_PGM_RSRC2:USER_SGPR: 2
; COMPUTE_PGM_RSRC2:TRAP_HANDLER: 0
; COMPUTE_PGM_RSRC2:TGID_X_EN: 1
; COMPUTE_PGM_RSRC2:TGID_Y_EN: 1
; COMPUTE_PGM_RSRC2:TGID_Z_EN: 1
; COMPUTE_PGM_RSRC2:TIDIG_COMP_CNT: 1
	.section	.text._ZL29rocblas_internal_gemmt_kernelIiLi16ELi32ELi8ELc78ELc67ELc85ELb0ELb0EfPKfS1_PfEviT_T9_T10_S3_lS5_S3_lS4_T11_S3_li,"axG",@progbits,_ZL29rocblas_internal_gemmt_kernelIiLi16ELi32ELi8ELc78ELc67ELc85ELb0ELb0EfPKfS1_PfEviT_T9_T10_S3_lS5_S3_lS4_T11_S3_li,comdat
	.globl	_ZL29rocblas_internal_gemmt_kernelIiLi16ELi32ELi8ELc78ELc67ELc85ELb0ELb0EfPKfS1_PfEviT_T9_T10_S3_lS5_S3_lS4_T11_S3_li ; -- Begin function _ZL29rocblas_internal_gemmt_kernelIiLi16ELi32ELi8ELc78ELc67ELc85ELb0ELb0EfPKfS1_PfEviT_T9_T10_S3_lS5_S3_lS4_T11_S3_li
	.p2align	8
	.type	_ZL29rocblas_internal_gemmt_kernelIiLi16ELi32ELi8ELc78ELc67ELc85ELb0ELb0EfPKfS1_PfEviT_T9_T10_S3_lS5_S3_lS4_T11_S3_li,@function
_ZL29rocblas_internal_gemmt_kernelIiLi16ELi32ELi8ELc78ELc67ELc85ELb0ELb0EfPKfS1_PfEviT_T9_T10_S3_lS5_S3_lS4_T11_S3_li: ; @_ZL29rocblas_internal_gemmt_kernelIiLi16ELi32ELi8ELc78ELc67ELc85ELb0ELb0EfPKfS1_PfEviT_T9_T10_S3_lS5_S3_lS4_T11_S3_li
; %bb.0:
	s_clause 0x1
	s_load_b128 s[4:7], s[0:1], 0x38
	s_load_b128 s[8:11], s[0:1], 0x8
	s_wait_kmcnt 0x0
	s_load_b32 s19, s[6:7], 0x0
	s_load_b64 s[20:21], s[0:1], 0x0
	s_load_b32 s26, s[8:9], 0x0
	s_wait_kmcnt 0x0
	s_cmp_neq_f32 s19, 1.0
	s_cselect_b32 s2, -1, 0
	s_delay_alu instid0(SALU_CYCLE_1)
	s_and_b32 vcc_lo, exec_lo, s2
	s_cbranch_vccnz .LBB2_2
; %bb.1:
	s_cmp_lg_u32 s21, 0
	s_cselect_b32 s2, -1, 0
	s_cmp_neq_f32 s26, 0
	s_cselect_b32 s3, -1, 0
	s_delay_alu instid0(SALU_CYCLE_1)
	s_and_b32 s2, s2, s3
.LBB2_2:
	s_delay_alu instid0(SALU_CYCLE_1)
	s_and_not1_b32 vcc_lo, exec_lo, s2
	s_cbranch_vccnz .LBB2_33
; %bb.3:
	s_load_b32 s27, s[0:1], 0x60
	s_bfe_u32 s2, ttmp6, 0x40014
	s_lshr_b32 s3, ttmp7, 16
	s_add_co_i32 s2, s2, 1
	s_bfe_u32 s7, ttmp6, 0x40008
	s_mul_i32 s6, s3, s2
	s_getreg_b32 s2, hwreg(HW_REG_IB_STS2, 6, 4)
	s_add_co_i32 s7, s7, s6
	s_cmp_eq_u32 s2, 0
	s_cselect_b32 s6, s3, s7
	s_mov_b32 s7, 0
	s_wait_kmcnt 0x0
	s_cmp_ge_u32 s6, s27
	s_cbranch_scc1 .LBB2_33
; %bb.4:
	s_clause 0x3
	s_load_b32 s22, s[0:1], 0x18
	s_load_b32 s24, s[0:1], 0x30
	s_load_b96 s[16:18], s[0:1], 0x48
	s_load_b128 s[12:15], s[0:1], 0x20
	v_and_b32_e32 v5, 0x3ff, v0
	v_bfe_u32 v11, v0, 10, 10
	s_load_b64 s[8:9], s[0:1], 0x58
	s_wait_xcnt 0x0
	s_bfe_u32 s1, ttmp6, 0x4000c
	s_bfe_u32 s23, ttmp6, 0x40010
	s_and_b32 s3, ttmp7, 0xffff
	s_add_co_i32 s1, s1, 1
	s_add_co_i32 s30, s23, 1
	v_lshl_add_u32 v1, v11, 4, v5
	s_and_b32 s0, ttmp6, 15
	s_mul_i32 s1, ttmp9, s1
	v_and_b32_e32 v0, 7, v0
	s_add_co_i32 s0, s0, s1
	v_dual_lshrrev_b32 v6, 3, v1 :: v_dual_bitop2_b32 v4, 31, v1 bitop3:0x40
	v_lshrrev_b32_e32 v2, 5, v1
	s_wait_kmcnt 0x0
	s_ashr_i32 s23, s22, 31
	s_ashr_i32 s25, s24, 31
	;; [unrolled: 1-line block ×3, first 2 shown]
	s_mov_b32 s28, s18
	s_mul_i32 s18, s3, s30
	s_bfe_u32 s30, ttmp6, 0x40004
	v_lshl_add_u32 v25, v11, 5, 0x400
	s_add_co_i32 s30, s30, s18
	s_cmp_eq_u32 s2, 0
	v_mov_b32_e32 v3, 0
	s_cselect_b32 s0, ttmp9, s0
	s_cselect_b32 s1, s3, s30
	s_lshl_b32 s2, s0, 5
	s_lshl_b32 s0, s1, 5
	s_delay_alu instid0(SALU_CYCLE_1) | instskip(SKIP_3) | instid1(VALU_DEP_4)
	v_dual_add_nc_u32 v14, s0, v6 :: v_dual_bitop2_b32 v12, s2, v4 bitop3:0x54
	v_dual_mov_b32 v1, v3 :: v_dual_lshlrev_b32 v7, 2, v0
	v_add_nc_u32_e32 v16, s0, v11
	v_mul_u64_e32 v[18:19], s[22:23], v[2:3]
	v_ashrrev_i32_e32 v15, 31, v14
	s_delay_alu instid0(VALU_DEP_4)
	v_mul_u64_e32 v[20:21], s[24:25], v[0:1]
	v_cmp_gt_i32_e64 s0, s20, v12
	v_dual_add_nc_u32 v22, 16, v16 :: v_dual_ashrrev_i32 v17, 31, v16
	v_lshlrev_b32_e32 v3, 2, v4
	v_lshl_or_b32 v4, v6, 5, v7
	v_cmp_gt_i32_e64 s1, s20, v14
	s_delay_alu instid0(VALU_DEP_4)
	v_ashrrev_i32_e32 v23, 31, v22
	v_mul_u64_e32 v[6:7], s[28:29], v[16:17]
	v_lshl_or_b32 v1, v2, 7, v3
	v_add_nc_u32_e32 v3, 0x400, v4
	v_add_nc_u32_e32 v4, s2, v5
	v_mul_u64_e32 v[8:9], s[28:29], v[22:23]
	v_lshlrev_b32_e32 v24, 2, v5
	v_lshlrev_b64_e32 v[14:15], 2, v[14:15]
	s_cmp_neq_f32 s26, 0
	v_add_nc_u32_e32 v10, 16, v4
	v_ashrrev_i32_e32 v13, 31, v12
	v_cmp_gt_i32_e32 vcc_lo, s20, v16
	s_cselect_b32 s31, -1, 0
	s_cmp_gt_i32 s21, 0
	v_ashrrev_i32_e32 v11, 31, v10
	v_lshlrev_b64_e32 v[12:13], 2, v[12:13]
	v_cmp_le_i32_e64 s2, v4, v16
	v_cmp_le_i32_e64 s3, v10, v16
	s_cselect_b32 s33, -1, 0
	s_cmp_neq_f32 s19, 0
	v_ashrrev_i32_e32 v5, 31, v4
	v_lshl_add_u64 v[12:13], v[18:19], 2, v[12:13]
	s_cselect_b32 s18, -1, 0
	v_lshl_add_u64 v[14:15], v[20:21], 2, v[14:15]
	s_and_b32 s28, vcc_lo, s2
	s_and_b32 s29, vcc_lo, s3
	v_cmp_gt_i32_e32 vcc_lo, s20, v22
	v_cmp_le_i32_e64 s2, v4, v22
	v_cmp_le_i32_e64 s3, v10, v22
	v_add_nc_u64_e32 v[12:13], s[10:11], v[12:13]
	v_add_nc_u64_e32 v[14:15], s[14:15], v[14:15]
	s_and_b32 s31, s31, s33
	s_and_b32 s20, vcc_lo, s2
	s_and_b32 s30, vcc_lo, s3
	s_lshl_b64 s[2:3], s[12:13], 2
	s_lshl_b64 s[10:11], s[22:23], 5
	;; [unrolled: 1-line block ×4, first 2 shown]
	s_branch .LBB2_6
.LBB2_5:                                ;   in Loop: Header=BB2_6 Depth=1
	s_wait_xcnt 0x0
	s_or_b32 exec_lo, exec_lo, s14
	s_add_co_i32 s6, s6, 0x10000
	s_delay_alu instid0(SALU_CYCLE_1)
	s_cmp_lt_u32 s6, s27
	s_cbranch_scc0 .LBB2_33
.LBB2_6:                                ; =>This Loop Header: Depth=1
                                        ;     Child Loop BB2_9 Depth 2
	v_dual_mov_b32 v23, 0 :: v_dual_mov_b32 v22, 0
	v_dual_mov_b32 v17, 0 :: v_dual_mov_b32 v16, 0
	s_and_not1_b32 vcc_lo, exec_lo, s31
	s_cbranch_vccnz .LBB2_13
; %bb.7:                                ;   in Loop: Header=BB2_6 Depth=1
	v_mad_nc_u64_u32 v[18:19], s2, s6, v[12:13]
	v_mad_nc_u64_u32 v[20:21], s4, s6, v[14:15]
	v_mov_b32_e32 v16, 0
	s_mov_b32 s14, 0
	s_delay_alu instid0(VALU_DEP_1)
	v_dual_mov_b32 v17, v16 :: v_dual_mov_b32 v22, v16
	v_mov_b32_e32 v23, v16
	v_mad_u32 v19, s3, s6, v19
	v_mad_u32 v21, s5, s6, v21
	s_branch .LBB2_9
.LBB2_8:                                ;   in Loop: Header=BB2_9 Depth=2
	s_wait_xcnt 0x0
	s_or_b32 exec_lo, exec_lo, s15
	s_wait_loadcnt 0x0
	ds_store_b32 v3, v27
	s_wait_dscnt 0x0
	s_barrier_signal -1
	s_barrier_wait -1
	ds_load_b128 v[26:29], v25
	ds_load_2addr_b32 v[42:43], v24 offset1:16
	ds_load_b128 v[30:33], v25 offset:512
	ds_load_2addr_b32 v[44:45], v24 offset0:32 offset1:48
	ds_load_2addr_b32 v[46:47], v24 offset0:64 offset1:80
	;; [unrolled: 1-line block ×3, first 2 shown]
	ds_load_b128 v[34:37], v25 offset:16
	ds_load_2addr_b32 v[50:51], v24 offset0:128 offset1:144
	ds_load_b128 v[38:41], v25 offset:528
	v_add_nc_u64_e32 v[18:19], s[10:11], v[18:19]
	v_add_nc_u64_e32 v[20:21], s[12:13], v[20:21]
	s_add_co_i32 s14, s14, 8
	s_delay_alu instid0(SALU_CYCLE_1)
	s_cmp_lt_i32 s14, s21
	s_wait_dscnt 0x7
	v_pk_fma_f32 v[22:23], v[42:43], v[26:27], v[22:23] op_sel_hi:[1,0,1]
	s_wait_dscnt 0x6
	v_pk_fma_f32 v[16:17], v[42:43], v[30:31], v[16:17] op_sel_hi:[1,0,1]
	ds_load_2addr_b32 v[42:43], v24 offset0:160 offset1:176
	s_wait_dscnt 0x6
	v_pk_fma_f32 v[22:23], v[44:45], v[26:27], v[22:23] op_sel:[0,1,0]
	v_pk_fma_f32 v[16:17], v[44:45], v[30:31], v[16:17] op_sel:[0,1,0]
	ds_load_2addr_b32 v[26:27], v24 offset0:192 offset1:208
	v_dual_mov_b32 v30, v29 :: v_dual_mov_b32 v44, v33
	s_wait_dscnt 0x6
	v_pk_fma_f32 v[22:23], v[46:47], v[28:29], v[22:23] op_sel_hi:[1,0,1]
	v_pk_fma_f32 v[16:17], v[46:47], v[32:33], v[16:17] op_sel_hi:[1,0,1]
	ds_load_2addr_b32 v[28:29], v24 offset0:224 offset1:240
	s_wait_dscnt 0x3
	v_mov_b32_e32 v32, v41
	s_wait_dscnt 0x0
	v_pk_fma_f32 v[22:23], v[48:49], v[30:31], v[22:23] op_sel_hi:[1,0,1]
	v_pk_fma_f32 v[16:17], v[48:49], v[44:45], v[16:17] op_sel_hi:[1,0,1]
	v_mov_b32_e32 v30, v37
	s_barrier_signal -1
	s_barrier_wait -1
	v_pk_fma_f32 v[22:23], v[50:51], v[34:35], v[22:23] op_sel_hi:[1,0,1]
	v_pk_fma_f32 v[16:17], v[50:51], v[38:39], v[16:17] op_sel_hi:[1,0,1]
	s_delay_alu instid0(VALU_DEP_2) | instskip(NEXT) | instid1(VALU_DEP_2)
	v_pk_fma_f32 v[22:23], v[42:43], v[34:35], v[22:23] op_sel:[0,1,0]
	v_pk_fma_f32 v[16:17], v[42:43], v[38:39], v[16:17] op_sel:[0,1,0]
	s_delay_alu instid0(VALU_DEP_2) | instskip(NEXT) | instid1(VALU_DEP_2)
	v_pk_fma_f32 v[22:23], v[26:27], v[36:37], v[22:23] op_sel_hi:[1,0,1]
	v_pk_fma_f32 v[16:17], v[26:27], v[40:41], v[16:17] op_sel_hi:[1,0,1]
	s_delay_alu instid0(VALU_DEP_2) | instskip(NEXT) | instid1(VALU_DEP_2)
	v_pk_fma_f32 v[22:23], v[28:29], v[30:31], v[22:23] op_sel_hi:[1,0,1]
	v_pk_fma_f32 v[16:17], v[28:29], v[32:33], v[16:17] op_sel_hi:[1,0,1]
	s_cbranch_scc0 .LBB2_13
.LBB2_9:                                ;   Parent Loop BB2_6 Depth=1
                                        ; =>  This Inner Loop Header: Depth=2
	v_add_nc_u32_e32 v26, s14, v2
	s_delay_alu instid0(VALU_DEP_1) | instskip(SKIP_2) | instid1(SALU_CYCLE_1)
	v_cmp_gt_i32_e32 vcc_lo, s21, v26
	v_mov_b32_e32 v26, 0
	s_and_b32 s22, s0, vcc_lo
	s_and_saveexec_b32 s15, s22
	s_cbranch_execz .LBB2_11
; %bb.10:                               ;   in Loop: Header=BB2_9 Depth=2
	global_load_b32 v26, v[18:19], off
.LBB2_11:                               ;   in Loop: Header=BB2_9 Depth=2
	s_wait_xcnt 0x0
	s_or_b32 exec_lo, exec_lo, s15
	v_add_nc_u32_e32 v27, s14, v0
	s_wait_loadcnt 0x0
	ds_store_b32 v1, v26
	v_cmp_gt_i32_e32 vcc_lo, s21, v27
	v_mov_b32_e32 v27, 0
	s_and_b32 s22, vcc_lo, s1
	s_delay_alu instid0(SALU_CYCLE_1)
	s_and_saveexec_b32 s15, s22
	s_cbranch_execz .LBB2_8
; %bb.12:                               ;   in Loop: Header=BB2_9 Depth=2
	global_load_b32 v27, v[20:21], off
	s_branch .LBB2_8
.LBB2_13:                               ;   in Loop: Header=BB2_6 Depth=1
	s_mul_u64 s[14:15], s[8:9], s[6:7]
	s_delay_alu instid0(SALU_CYCLE_1) | instskip(NEXT) | instid1(SALU_CYCLE_1)
	s_lshl_b64 s[14:15], s[14:15], 2
	s_add_nc_u64 s[14:15], s[16:17], s[14:15]
	s_delay_alu instid0(SALU_CYCLE_1)
	v_lshl_add_u64 v[18:19], v[6:7], 2, s[14:15]
	s_and_saveexec_b32 s22, s28
	s_cbranch_execz .LBB2_17
; %bb.14:                               ;   in Loop: Header=BB2_6 Depth=1
	v_mul_f32_e32 v22, s26, v22
	s_delay_alu instid0(VALU_DEP_2)
	v_lshl_add_u64 v[20:21], v[4:5], 2, v[18:19]
	s_and_b32 vcc_lo, exec_lo, s18
	s_cbranch_vccz .LBB2_28
; %bb.15:                               ;   in Loop: Header=BB2_6 Depth=1
	global_load_b32 v26, v[20:21], off
	s_wait_loadcnt 0x0
	v_fma_f32 v26, s19, v26, v22
	global_store_b32 v[20:21], v26, off
	s_cbranch_execnz .LBB2_17
.LBB2_16:                               ;   in Loop: Header=BB2_6 Depth=1
	global_store_b32 v[20:21], v22, off
.LBB2_17:                               ;   in Loop: Header=BB2_6 Depth=1
	s_wait_xcnt 0x0
	s_or_b32 exec_lo, exec_lo, s22
	s_and_saveexec_b32 s22, s29
	s_cbranch_execz .LBB2_21
; %bb.18:                               ;   in Loop: Header=BB2_6 Depth=1
	v_mul_f32_e32 v20, s26, v23
	v_lshl_add_u64 v[18:19], v[10:11], 2, v[18:19]
	s_and_not1_b32 vcc_lo, exec_lo, s18
	s_cbranch_vccnz .LBB2_29
; %bb.19:                               ;   in Loop: Header=BB2_6 Depth=1
	global_load_b32 v21, v[18:19], off
	s_wait_loadcnt 0x0
	v_fma_f32 v21, s19, v21, v20
	global_store_b32 v[18:19], v21, off
	s_cbranch_execnz .LBB2_21
.LBB2_20:                               ;   in Loop: Header=BB2_6 Depth=1
	global_store_b32 v[18:19], v20, off
.LBB2_21:                               ;   in Loop: Header=BB2_6 Depth=1
	s_wait_xcnt 0x0
	s_or_b32 exec_lo, exec_lo, s22
	v_lshl_add_u64 v[18:19], v[8:9], 2, s[14:15]
	s_and_saveexec_b32 s14, s20
	s_cbranch_execz .LBB2_25
; %bb.22:                               ;   in Loop: Header=BB2_6 Depth=1
	v_mul_f32_e32 v16, s26, v16
	s_delay_alu instid0(VALU_DEP_2)
	v_lshl_add_u64 v[20:21], v[4:5], 2, v[18:19]
	s_and_not1_b32 vcc_lo, exec_lo, s18
	s_cbranch_vccnz .LBB2_30
; %bb.23:                               ;   in Loop: Header=BB2_6 Depth=1
	global_load_b32 v22, v[20:21], off
	s_wait_loadcnt 0x0
	v_fma_f32 v22, s19, v22, v16
	global_store_b32 v[20:21], v22, off
	s_cbranch_execnz .LBB2_25
.LBB2_24:                               ;   in Loop: Header=BB2_6 Depth=1
	global_store_b32 v[20:21], v16, off
.LBB2_25:                               ;   in Loop: Header=BB2_6 Depth=1
	s_wait_xcnt 0x0
	s_or_b32 exec_lo, exec_lo, s14
	s_and_saveexec_b32 s14, s30
	s_cbranch_execz .LBB2_5
; %bb.26:                               ;   in Loop: Header=BB2_6 Depth=1
	v_mul_f32_e32 v20, s26, v17
	v_lshl_add_u64 v[16:17], v[10:11], 2, v[18:19]
	s_and_not1_b32 vcc_lo, exec_lo, s18
	s_cbranch_vccnz .LBB2_31
; %bb.27:                               ;   in Loop: Header=BB2_6 Depth=1
	global_load_b32 v18, v[16:17], off
	s_wait_loadcnt 0x0
	v_fma_f32 v18, s19, v18, v20
	global_store_b32 v[16:17], v18, off
	s_cbranch_execnz .LBB2_5
	s_branch .LBB2_32
.LBB2_28:                               ;   in Loop: Header=BB2_6 Depth=1
	s_branch .LBB2_16
.LBB2_29:                               ;   in Loop: Header=BB2_6 Depth=1
	s_branch .LBB2_20
.LBB2_30:                               ;   in Loop: Header=BB2_6 Depth=1
	s_branch .LBB2_24
.LBB2_31:                               ;   in Loop: Header=BB2_6 Depth=1
.LBB2_32:                               ;   in Loop: Header=BB2_6 Depth=1
	global_store_b32 v[16:17], v20, off
	s_branch .LBB2_5
.LBB2_33:
	s_endpgm
	.section	.rodata,"a",@progbits
	.p2align	6, 0x0
	.amdhsa_kernel _ZL29rocblas_internal_gemmt_kernelIiLi16ELi32ELi8ELc78ELc67ELc85ELb0ELb0EfPKfS1_PfEviT_T9_T10_S3_lS5_S3_lS4_T11_S3_li
		.amdhsa_group_segment_fixed_size 2048
		.amdhsa_private_segment_fixed_size 0
		.amdhsa_kernarg_size 100
		.amdhsa_user_sgpr_count 2
		.amdhsa_user_sgpr_dispatch_ptr 0
		.amdhsa_user_sgpr_queue_ptr 0
		.amdhsa_user_sgpr_kernarg_segment_ptr 1
		.amdhsa_user_sgpr_dispatch_id 0
		.amdhsa_user_sgpr_kernarg_preload_length 0
		.amdhsa_user_sgpr_kernarg_preload_offset 0
		.amdhsa_user_sgpr_private_segment_size 0
		.amdhsa_wavefront_size32 1
		.amdhsa_uses_dynamic_stack 0
		.amdhsa_enable_private_segment 0
		.amdhsa_system_sgpr_workgroup_id_x 1
		.amdhsa_system_sgpr_workgroup_id_y 1
		.amdhsa_system_sgpr_workgroup_id_z 1
		.amdhsa_system_sgpr_workgroup_info 0
		.amdhsa_system_vgpr_workitem_id 1
		.amdhsa_next_free_vgpr 52
		.amdhsa_next_free_sgpr 34
		.amdhsa_named_barrier_count 0
		.amdhsa_reserve_vcc 1
		.amdhsa_float_round_mode_32 0
		.amdhsa_float_round_mode_16_64 0
		.amdhsa_float_denorm_mode_32 3
		.amdhsa_float_denorm_mode_16_64 3
		.amdhsa_fp16_overflow 0
		.amdhsa_memory_ordered 1
		.amdhsa_forward_progress 1
		.amdhsa_inst_pref_size 13
		.amdhsa_round_robin_scheduling 0
		.amdhsa_exception_fp_ieee_invalid_op 0
		.amdhsa_exception_fp_denorm_src 0
		.amdhsa_exception_fp_ieee_div_zero 0
		.amdhsa_exception_fp_ieee_overflow 0
		.amdhsa_exception_fp_ieee_underflow 0
		.amdhsa_exception_fp_ieee_inexact 0
		.amdhsa_exception_int_div_zero 0
	.end_amdhsa_kernel
	.section	.text._ZL29rocblas_internal_gemmt_kernelIiLi16ELi32ELi8ELc78ELc67ELc85ELb0ELb0EfPKfS1_PfEviT_T9_T10_S3_lS5_S3_lS4_T11_S3_li,"axG",@progbits,_ZL29rocblas_internal_gemmt_kernelIiLi16ELi32ELi8ELc78ELc67ELc85ELb0ELb0EfPKfS1_PfEviT_T9_T10_S3_lS5_S3_lS4_T11_S3_li,comdat
.Lfunc_end2:
	.size	_ZL29rocblas_internal_gemmt_kernelIiLi16ELi32ELi8ELc78ELc67ELc85ELb0ELb0EfPKfS1_PfEviT_T9_T10_S3_lS5_S3_lS4_T11_S3_li, .Lfunc_end2-_ZL29rocblas_internal_gemmt_kernelIiLi16ELi32ELi8ELc78ELc67ELc85ELb0ELb0EfPKfS1_PfEviT_T9_T10_S3_lS5_S3_lS4_T11_S3_li
                                        ; -- End function
	.set _ZL29rocblas_internal_gemmt_kernelIiLi16ELi32ELi8ELc78ELc67ELc85ELb0ELb0EfPKfS1_PfEviT_T9_T10_S3_lS5_S3_lS4_T11_S3_li.num_vgpr, 52
	.set _ZL29rocblas_internal_gemmt_kernelIiLi16ELi32ELi8ELc78ELc67ELc85ELb0ELb0EfPKfS1_PfEviT_T9_T10_S3_lS5_S3_lS4_T11_S3_li.num_agpr, 0
	.set _ZL29rocblas_internal_gemmt_kernelIiLi16ELi32ELi8ELc78ELc67ELc85ELb0ELb0EfPKfS1_PfEviT_T9_T10_S3_lS5_S3_lS4_T11_S3_li.numbered_sgpr, 34
	.set _ZL29rocblas_internal_gemmt_kernelIiLi16ELi32ELi8ELc78ELc67ELc85ELb0ELb0EfPKfS1_PfEviT_T9_T10_S3_lS5_S3_lS4_T11_S3_li.num_named_barrier, 0
	.set _ZL29rocblas_internal_gemmt_kernelIiLi16ELi32ELi8ELc78ELc67ELc85ELb0ELb0EfPKfS1_PfEviT_T9_T10_S3_lS5_S3_lS4_T11_S3_li.private_seg_size, 0
	.set _ZL29rocblas_internal_gemmt_kernelIiLi16ELi32ELi8ELc78ELc67ELc85ELb0ELb0EfPKfS1_PfEviT_T9_T10_S3_lS5_S3_lS4_T11_S3_li.uses_vcc, 1
	.set _ZL29rocblas_internal_gemmt_kernelIiLi16ELi32ELi8ELc78ELc67ELc85ELb0ELb0EfPKfS1_PfEviT_T9_T10_S3_lS5_S3_lS4_T11_S3_li.uses_flat_scratch, 0
	.set _ZL29rocblas_internal_gemmt_kernelIiLi16ELi32ELi8ELc78ELc67ELc85ELb0ELb0EfPKfS1_PfEviT_T9_T10_S3_lS5_S3_lS4_T11_S3_li.has_dyn_sized_stack, 0
	.set _ZL29rocblas_internal_gemmt_kernelIiLi16ELi32ELi8ELc78ELc67ELc85ELb0ELb0EfPKfS1_PfEviT_T9_T10_S3_lS5_S3_lS4_T11_S3_li.has_recursion, 0
	.set _ZL29rocblas_internal_gemmt_kernelIiLi16ELi32ELi8ELc78ELc67ELc85ELb0ELb0EfPKfS1_PfEviT_T9_T10_S3_lS5_S3_lS4_T11_S3_li.has_indirect_call, 0
	.section	.AMDGPU.csdata,"",@progbits
; Kernel info:
; codeLenInByte = 1636
; TotalNumSgprs: 36
; NumVgprs: 52
; ScratchSize: 0
; MemoryBound: 0
; FloatMode: 240
; IeeeMode: 1
; LDSByteSize: 2048 bytes/workgroup (compile time only)
; SGPRBlocks: 0
; VGPRBlocks: 3
; NumSGPRsForWavesPerEU: 36
; NumVGPRsForWavesPerEU: 52
; NamedBarCnt: 0
; Occupancy: 16
; WaveLimiterHint : 0
; COMPUTE_PGM_RSRC2:SCRATCH_EN: 0
; COMPUTE_PGM_RSRC2:USER_SGPR: 2
; COMPUTE_PGM_RSRC2:TRAP_HANDLER: 0
; COMPUTE_PGM_RSRC2:TGID_X_EN: 1
; COMPUTE_PGM_RSRC2:TGID_Y_EN: 1
; COMPUTE_PGM_RSRC2:TGID_Z_EN: 1
; COMPUTE_PGM_RSRC2:TIDIG_COMP_CNT: 1
	.section	.text._ZL29rocblas_internal_gemmt_kernelIiLi16ELi32ELi8ELc84ELc78ELc85ELb0ELb0EfPKfS1_PfEviT_T9_T10_S3_lS5_S3_lS4_T11_S3_li,"axG",@progbits,_ZL29rocblas_internal_gemmt_kernelIiLi16ELi32ELi8ELc84ELc78ELc85ELb0ELb0EfPKfS1_PfEviT_T9_T10_S3_lS5_S3_lS4_T11_S3_li,comdat
	.globl	_ZL29rocblas_internal_gemmt_kernelIiLi16ELi32ELi8ELc84ELc78ELc85ELb0ELb0EfPKfS1_PfEviT_T9_T10_S3_lS5_S3_lS4_T11_S3_li ; -- Begin function _ZL29rocblas_internal_gemmt_kernelIiLi16ELi32ELi8ELc84ELc78ELc85ELb0ELb0EfPKfS1_PfEviT_T9_T10_S3_lS5_S3_lS4_T11_S3_li
	.p2align	8
	.type	_ZL29rocblas_internal_gemmt_kernelIiLi16ELi32ELi8ELc84ELc78ELc85ELb0ELb0EfPKfS1_PfEviT_T9_T10_S3_lS5_S3_lS4_T11_S3_li,@function
_ZL29rocblas_internal_gemmt_kernelIiLi16ELi32ELi8ELc84ELc78ELc85ELb0ELb0EfPKfS1_PfEviT_T9_T10_S3_lS5_S3_lS4_T11_S3_li: ; @_ZL29rocblas_internal_gemmt_kernelIiLi16ELi32ELi8ELc84ELc78ELc85ELb0ELb0EfPKfS1_PfEviT_T9_T10_S3_lS5_S3_lS4_T11_S3_li
; %bb.0:
	s_clause 0x1
	s_load_b128 s[8:11], s[0:1], 0x38
	s_load_b128 s[4:7], s[0:1], 0x8
	s_wait_kmcnt 0x0
	s_load_b32 s19, s[10:11], 0x0
	s_load_b64 s[20:21], s[0:1], 0x0
	s_load_b32 s24, s[4:5], 0x0
	s_wait_kmcnt 0x0
	s_cmp_neq_f32 s19, 1.0
	s_cselect_b32 s2, -1, 0
	s_delay_alu instid0(SALU_CYCLE_1)
	s_and_b32 vcc_lo, exec_lo, s2
	s_cbranch_vccnz .LBB3_2
; %bb.1:
	s_cmp_lg_u32 s21, 0
	s_cselect_b32 s2, -1, 0
	s_cmp_neq_f32 s24, 0
	s_cselect_b32 s3, -1, 0
	s_delay_alu instid0(SALU_CYCLE_1)
	s_and_b32 s2, s2, s3
.LBB3_2:
	s_delay_alu instid0(SALU_CYCLE_1)
	s_and_not1_b32 vcc_lo, exec_lo, s2
	s_cbranch_vccnz .LBB3_33
; %bb.3:
	s_load_b32 s25, s[0:1], 0x60
	s_bfe_u32 s2, ttmp6, 0x40014
	s_lshr_b32 s3, ttmp7, 16
	s_add_co_i32 s2, s2, 1
	s_bfe_u32 s4, ttmp6, 0x40008
	s_mul_i32 s2, s3, s2
	s_getreg_b32 s26, hwreg(HW_REG_IB_STS2, 6, 4)
	s_add_co_i32 s4, s4, s2
	s_cmp_eq_u32 s26, 0
	s_mov_b32 s11, 0
	s_cselect_b32 s10, s3, s4
	s_wait_kmcnt 0x0
	s_cmp_ge_u32 s10, s25
	s_cbranch_scc1 .LBB3_33
; %bb.4:
	s_clause 0x3
	s_load_b32 s4, s[0:1], 0x18
	s_load_b32 s2, s[0:1], 0x30
	s_load_b96 s[16:18], s[0:1], 0x48
	s_load_b128 s[12:15], s[0:1], 0x20
	v_and_b32_e32 v6, 0x3ff, v0
	v_bfe_u32 v7, v0, 10, 10
	s_load_b64 s[22:23], s[0:1], 0x58
	s_wait_xcnt 0x0
	s_bfe_u32 s1, ttmp6, 0x4000c
	s_bfe_u32 s3, ttmp6, 0x40010
	s_and_b32 s28, ttmp7, 0xffff
	s_add_co_i32 s1, s1, 1
	s_add_co_i32 s3, s3, 1
	v_lshl_add_u32 v1, v7, 4, v6
	s_and_b32 s0, ttmp6, 15
	s_mul_i32 s1, ttmp9, s1
	s_mul_i32 s29, s28, s3
	s_bfe_u32 s30, ttmp6, 0x40004
	s_add_co_i32 s0, s0, s1
	s_add_co_i32 s30, s30, s29
	v_dual_lshrrev_b32 v20, 5, v1 :: v_dual_lshrrev_b32 v17, 3, v1
	s_wait_kmcnt 0x0
	s_ashr_i32 s5, s4, 31
	s_ashr_i32 s3, s2, 31
	;; [unrolled: 1-line block ×3, first 2 shown]
	s_cmp_eq_u32 s26, 0
	v_and_b32_e32 v1, 31, v1
	s_cselect_b32 s0, ttmp9, s0
	s_cselect_b32 s1, s28, s30
	s_lshl_b32 s28, s0, 5
	s_lshl_b32 s0, s1, 5
	s_delay_alu instid0(SALU_CYCLE_1) | instskip(SKIP_4) | instid1(VALU_DEP_2)
	v_dual_add_nc_u32 v4, s0, v17 :: v_dual_bitop2_b32 v21, 7, v0 bitop3:0x40
	v_or_b32_e32 v2, s28, v1
	s_mov_b32 s26, s18
	s_cmp_neq_f32 s24, 0
	v_lshl_add_u32 v25, v7, 5, 0x400
	v_dual_ashrrev_i32 v5, 31, v4 :: v_dual_ashrrev_i32 v3, 31, v2
	v_dual_add_nc_u32 v8, s0, v7 :: v_dual_lshlrev_b32 v0, 2, v1
	v_lshlrev_b32_e32 v16, 2, v21
	s_delay_alu instid0(VALU_DEP_3) | instskip(NEXT) | instid1(VALU_DEP_4)
	v_mul_u64_e32 v[12:13], s[2:3], v[4:5]
	v_mul_u64_e32 v[10:11], s[4:5], v[2:3]
	s_delay_alu instid0(VALU_DEP_4) | instskip(SKIP_3) | instid1(VALU_DEP_4)
	v_dual_add_nc_u32 v14, 16, v8 :: v_dual_ashrrev_i32 v9, 31, v8
	v_cmp_gt_i32_e64 s0, s20, v2
	v_lshl_or_b32 v22, v20, 7, v0
	v_cmp_gt_i32_e64 s1, s20, v4
	v_ashrrev_i32_e32 v15, 31, v14
	v_mul_u64_e32 v[0:1], s[26:27], v[8:9]
	v_dual_add_nc_u32 v4, s28, v6 :: v_dual_lshlrev_b32 v24, 2, v6
	s_cselect_b32 s29, -1, 0
	s_delay_alu instid0(VALU_DEP_3)
	v_mul_u64_e32 v[2:3], s[26:27], v[14:15]
	s_cmp_gt_i32 s21, 0
	v_lshl_or_b32 v5, v17, 5, v16
	v_cmp_gt_i32_e32 vcc_lo, s20, v8
	v_cmp_le_i32_e64 s2, v4, v8
	v_dual_mov_b32 v9, 0 :: v_dual_add_nc_u32 v6, 16, v4
	s_cselect_b32 s5, -1, 0
	s_cmp_neq_f32 s19, 0
	v_add_nc_u32_e32 v23, 0x400, v5
	s_delay_alu instid0(VALU_DEP_2)
	v_dual_ashrrev_i32 v5, 31, v4 :: v_dual_mov_b32 v17, v9
	s_cselect_b32 s18, -1, 0
	s_and_b32 s26, vcc_lo, s2
	v_cmp_le_i32_e64 s2, v6, v8
	v_dual_lshlrev_b32 v8, 2, v20 :: v_dual_ashrrev_i32 v7, 31, v6
	v_cmp_gt_i32_e64 s3, s20, v14
	v_cmp_le_i32_e64 s4, v4, v14
	s_and_b32 s20, vcc_lo, s2
	v_cmp_le_i32_e32 vcc_lo, v6, v14
	v_lshl_add_u64 v[8:9], v[10:11], 2, v[8:9]
	v_lshl_add_u64 v[10:11], v[12:13], 2, v[16:17]
	s_and_b32 s27, s3, s4
	s_delay_alu instid0(VALU_DEP_2) | instskip(NEXT) | instid1(VALU_DEP_2)
	v_add_nc_u64_e32 v[8:9], s[6:7], v[8:9]
	v_add_nc_u64_e32 v[10:11], s[14:15], v[10:11]
	s_and_b32 s14, s29, s5
	s_and_b32 s15, s3, vcc_lo
	s_lshl_b64 s[2:3], s[12:13], 2
	s_lshl_b64 s[4:5], s[8:9], 2
	s_branch .LBB3_6
.LBB3_5:                                ;   in Loop: Header=BB3_6 Depth=1
	s_wait_xcnt 0x0
	s_or_b32 exec_lo, exec_lo, s6
	s_add_co_i32 s10, s10, 0x10000
	s_delay_alu instid0(SALU_CYCLE_1)
	s_cmp_lt_u32 s10, s25
	s_cbranch_scc0 .LBB3_33
.LBB3_6:                                ; =>This Loop Header: Depth=1
                                        ;     Child Loop BB3_9 Depth 2
	v_dual_mov_b32 v19, 0 :: v_dual_mov_b32 v18, 0
	v_dual_mov_b32 v13, 0 :: v_dual_mov_b32 v12, 0
	s_and_not1_b32 vcc_lo, exec_lo, s14
	s_cbranch_vccnz .LBB3_13
; %bb.7:                                ;   in Loop: Header=BB3_6 Depth=1
	v_mad_nc_u64_u32 v[14:15], s2, s10, v[8:9]
	v_mad_nc_u64_u32 v[16:17], s4, s10, v[10:11]
	v_mov_b32_e32 v12, 0
	s_mov_b32 s6, 0
	s_delay_alu instid0(VALU_DEP_1)
	v_dual_mov_b32 v13, v12 :: v_dual_mov_b32 v18, v12
	v_mov_b32_e32 v19, v12
	v_mad_u32 v15, s3, s10, v15
	v_mad_u32 v17, s5, s10, v17
	s_branch .LBB3_9
.LBB3_8:                                ;   in Loop: Header=BB3_9 Depth=2
	s_wait_xcnt 0x0
	s_or_b32 exec_lo, exec_lo, s7
	s_wait_loadcnt 0x0
	ds_store_b32 v23, v27
	s_wait_dscnt 0x0
	s_barrier_signal -1
	s_barrier_wait -1
	ds_load_b128 v[26:29], v25
	ds_load_2addr_b32 v[42:43], v24 offset1:16
	ds_load_b128 v[30:33], v25 offset:512
	ds_load_2addr_b32 v[44:45], v24 offset0:32 offset1:48
	ds_load_2addr_b32 v[46:47], v24 offset0:64 offset1:80
	;; [unrolled: 1-line block ×3, first 2 shown]
	ds_load_b128 v[34:37], v25 offset:16
	ds_load_2addr_b32 v[50:51], v24 offset0:128 offset1:144
	ds_load_b128 v[38:41], v25 offset:528
	v_add_nc_u64_e32 v[14:15], 32, v[14:15]
	v_add_nc_u64_e32 v[16:17], 32, v[16:17]
	s_add_co_i32 s6, s6, 8
	s_delay_alu instid0(SALU_CYCLE_1)
	s_cmp_lt_i32 s6, s21
	s_wait_dscnt 0x7
	v_pk_fma_f32 v[18:19], v[42:43], v[26:27], v[18:19] op_sel_hi:[1,0,1]
	s_wait_dscnt 0x6
	v_pk_fma_f32 v[12:13], v[42:43], v[30:31], v[12:13] op_sel_hi:[1,0,1]
	ds_load_2addr_b32 v[42:43], v24 offset0:160 offset1:176
	s_wait_dscnt 0x6
	v_pk_fma_f32 v[18:19], v[44:45], v[26:27], v[18:19] op_sel:[0,1,0]
	v_pk_fma_f32 v[12:13], v[44:45], v[30:31], v[12:13] op_sel:[0,1,0]
	ds_load_2addr_b32 v[26:27], v24 offset0:192 offset1:208
	v_dual_mov_b32 v30, v29 :: v_dual_mov_b32 v44, v33
	s_wait_dscnt 0x6
	v_pk_fma_f32 v[18:19], v[46:47], v[28:29], v[18:19] op_sel_hi:[1,0,1]
	v_pk_fma_f32 v[12:13], v[46:47], v[32:33], v[12:13] op_sel_hi:[1,0,1]
	ds_load_2addr_b32 v[28:29], v24 offset0:224 offset1:240
	s_wait_dscnt 0x3
	v_mov_b32_e32 v32, v41
	s_wait_dscnt 0x0
	v_pk_fma_f32 v[18:19], v[48:49], v[30:31], v[18:19] op_sel_hi:[1,0,1]
	v_pk_fma_f32 v[12:13], v[48:49], v[44:45], v[12:13] op_sel_hi:[1,0,1]
	v_mov_b32_e32 v30, v37
	s_barrier_signal -1
	s_barrier_wait -1
	v_pk_fma_f32 v[18:19], v[50:51], v[34:35], v[18:19] op_sel_hi:[1,0,1]
	v_pk_fma_f32 v[12:13], v[50:51], v[38:39], v[12:13] op_sel_hi:[1,0,1]
	s_delay_alu instid0(VALU_DEP_2) | instskip(NEXT) | instid1(VALU_DEP_2)
	v_pk_fma_f32 v[18:19], v[42:43], v[34:35], v[18:19] op_sel:[0,1,0]
	v_pk_fma_f32 v[12:13], v[42:43], v[38:39], v[12:13] op_sel:[0,1,0]
	s_delay_alu instid0(VALU_DEP_2) | instskip(NEXT) | instid1(VALU_DEP_2)
	v_pk_fma_f32 v[18:19], v[26:27], v[36:37], v[18:19] op_sel_hi:[1,0,1]
	v_pk_fma_f32 v[12:13], v[26:27], v[40:41], v[12:13] op_sel_hi:[1,0,1]
	s_delay_alu instid0(VALU_DEP_2) | instskip(NEXT) | instid1(VALU_DEP_2)
	v_pk_fma_f32 v[18:19], v[28:29], v[30:31], v[18:19] op_sel_hi:[1,0,1]
	v_pk_fma_f32 v[12:13], v[28:29], v[32:33], v[12:13] op_sel_hi:[1,0,1]
	s_cbranch_scc0 .LBB3_13
.LBB3_9:                                ;   Parent Loop BB3_6 Depth=1
                                        ; =>  This Inner Loop Header: Depth=2
	v_add_nc_u32_e32 v26, s6, v20
	s_delay_alu instid0(VALU_DEP_1) | instskip(SKIP_2) | instid1(SALU_CYCLE_1)
	v_cmp_gt_i32_e32 vcc_lo, s21, v26
	v_mov_b32_e32 v26, 0
	s_and_b32 s8, s0, vcc_lo
	s_and_saveexec_b32 s7, s8
	s_cbranch_execz .LBB3_11
; %bb.10:                               ;   in Loop: Header=BB3_9 Depth=2
	global_load_b32 v26, v[14:15], off
.LBB3_11:                               ;   in Loop: Header=BB3_9 Depth=2
	s_wait_xcnt 0x0
	s_or_b32 exec_lo, exec_lo, s7
	v_add_nc_u32_e32 v27, s6, v21
	s_wait_loadcnt 0x0
	ds_store_b32 v22, v26
	v_cmp_gt_i32_e32 vcc_lo, s21, v27
	v_mov_b32_e32 v27, 0
	s_and_b32 s8, vcc_lo, s1
	s_delay_alu instid0(SALU_CYCLE_1)
	s_and_saveexec_b32 s7, s8
	s_cbranch_execz .LBB3_8
; %bb.12:                               ;   in Loop: Header=BB3_9 Depth=2
	global_load_b32 v27, v[16:17], off
	s_branch .LBB3_8
.LBB3_13:                               ;   in Loop: Header=BB3_6 Depth=1
	s_mul_u64 s[6:7], s[22:23], s[10:11]
	s_delay_alu instid0(SALU_CYCLE_1) | instskip(NEXT) | instid1(SALU_CYCLE_1)
	s_lshl_b64 s[6:7], s[6:7], 2
	s_add_nc_u64 s[6:7], s[16:17], s[6:7]
	s_delay_alu instid0(SALU_CYCLE_1)
	v_lshl_add_u64 v[14:15], v[0:1], 2, s[6:7]
	s_and_saveexec_b32 s8, s26
	s_cbranch_execz .LBB3_17
; %bb.14:                               ;   in Loop: Header=BB3_6 Depth=1
	v_mul_f32_e32 v18, s24, v18
	s_delay_alu instid0(VALU_DEP_2)
	v_lshl_add_u64 v[16:17], v[4:5], 2, v[14:15]
	s_and_b32 vcc_lo, exec_lo, s18
	s_cbranch_vccz .LBB3_28
; %bb.15:                               ;   in Loop: Header=BB3_6 Depth=1
	global_load_b32 v26, v[16:17], off
	s_wait_loadcnt 0x0
	v_fma_f32 v26, s19, v26, v18
	global_store_b32 v[16:17], v26, off
	s_cbranch_execnz .LBB3_17
.LBB3_16:                               ;   in Loop: Header=BB3_6 Depth=1
	global_store_b32 v[16:17], v18, off
.LBB3_17:                               ;   in Loop: Header=BB3_6 Depth=1
	s_wait_xcnt 0x0
	s_or_b32 exec_lo, exec_lo, s8
	s_and_saveexec_b32 s8, s20
	s_cbranch_execz .LBB3_21
; %bb.18:                               ;   in Loop: Header=BB3_6 Depth=1
	v_mul_f32_e32 v16, s24, v19
	v_lshl_add_u64 v[14:15], v[6:7], 2, v[14:15]
	s_and_not1_b32 vcc_lo, exec_lo, s18
	s_cbranch_vccnz .LBB3_29
; %bb.19:                               ;   in Loop: Header=BB3_6 Depth=1
	global_load_b32 v17, v[14:15], off
	s_wait_loadcnt 0x0
	v_fma_f32 v17, s19, v17, v16
	global_store_b32 v[14:15], v17, off
	s_cbranch_execnz .LBB3_21
.LBB3_20:                               ;   in Loop: Header=BB3_6 Depth=1
	global_store_b32 v[14:15], v16, off
.LBB3_21:                               ;   in Loop: Header=BB3_6 Depth=1
	s_wait_xcnt 0x0
	s_or_b32 exec_lo, exec_lo, s8
	v_lshl_add_u64 v[14:15], v[2:3], 2, s[6:7]
	s_and_saveexec_b32 s6, s27
	s_cbranch_execz .LBB3_25
; %bb.22:                               ;   in Loop: Header=BB3_6 Depth=1
	v_mul_f32_e32 v12, s24, v12
	s_delay_alu instid0(VALU_DEP_2)
	v_lshl_add_u64 v[16:17], v[4:5], 2, v[14:15]
	s_and_not1_b32 vcc_lo, exec_lo, s18
	s_cbranch_vccnz .LBB3_30
; %bb.23:                               ;   in Loop: Header=BB3_6 Depth=1
	global_load_b32 v18, v[16:17], off
	s_wait_loadcnt 0x0
	v_fma_f32 v18, s19, v18, v12
	global_store_b32 v[16:17], v18, off
	s_cbranch_execnz .LBB3_25
.LBB3_24:                               ;   in Loop: Header=BB3_6 Depth=1
	global_store_b32 v[16:17], v12, off
.LBB3_25:                               ;   in Loop: Header=BB3_6 Depth=1
	s_wait_xcnt 0x0
	s_or_b32 exec_lo, exec_lo, s6
	s_and_saveexec_b32 s6, s15
	s_cbranch_execz .LBB3_5
; %bb.26:                               ;   in Loop: Header=BB3_6 Depth=1
	v_mul_f32_e32 v16, s24, v13
	v_lshl_add_u64 v[12:13], v[6:7], 2, v[14:15]
	s_and_not1_b32 vcc_lo, exec_lo, s18
	s_cbranch_vccnz .LBB3_31
; %bb.27:                               ;   in Loop: Header=BB3_6 Depth=1
	global_load_b32 v14, v[12:13], off
	s_wait_loadcnt 0x0
	v_fma_f32 v14, s19, v14, v16
	global_store_b32 v[12:13], v14, off
	s_cbranch_execnz .LBB3_5
	s_branch .LBB3_32
.LBB3_28:                               ;   in Loop: Header=BB3_6 Depth=1
	s_branch .LBB3_16
.LBB3_29:                               ;   in Loop: Header=BB3_6 Depth=1
	s_branch .LBB3_20
.LBB3_30:                               ;   in Loop: Header=BB3_6 Depth=1
	s_branch .LBB3_24
.LBB3_31:                               ;   in Loop: Header=BB3_6 Depth=1
.LBB3_32:                               ;   in Loop: Header=BB3_6 Depth=1
	global_store_b32 v[12:13], v16, off
	s_branch .LBB3_5
.LBB3_33:
	s_endpgm
	.section	.rodata,"a",@progbits
	.p2align	6, 0x0
	.amdhsa_kernel _ZL29rocblas_internal_gemmt_kernelIiLi16ELi32ELi8ELc84ELc78ELc85ELb0ELb0EfPKfS1_PfEviT_T9_T10_S3_lS5_S3_lS4_T11_S3_li
		.amdhsa_group_segment_fixed_size 2048
		.amdhsa_private_segment_fixed_size 0
		.amdhsa_kernarg_size 100
		.amdhsa_user_sgpr_count 2
		.amdhsa_user_sgpr_dispatch_ptr 0
		.amdhsa_user_sgpr_queue_ptr 0
		.amdhsa_user_sgpr_kernarg_segment_ptr 1
		.amdhsa_user_sgpr_dispatch_id 0
		.amdhsa_user_sgpr_kernarg_preload_length 0
		.amdhsa_user_sgpr_kernarg_preload_offset 0
		.amdhsa_user_sgpr_private_segment_size 0
		.amdhsa_wavefront_size32 1
		.amdhsa_uses_dynamic_stack 0
		.amdhsa_enable_private_segment 0
		.amdhsa_system_sgpr_workgroup_id_x 1
		.amdhsa_system_sgpr_workgroup_id_y 1
		.amdhsa_system_sgpr_workgroup_id_z 1
		.amdhsa_system_sgpr_workgroup_info 0
		.amdhsa_system_vgpr_workitem_id 1
		.amdhsa_next_free_vgpr 52
		.amdhsa_next_free_sgpr 31
		.amdhsa_named_barrier_count 0
		.amdhsa_reserve_vcc 1
		.amdhsa_float_round_mode_32 0
		.amdhsa_float_round_mode_16_64 0
		.amdhsa_float_denorm_mode_32 3
		.amdhsa_float_denorm_mode_16_64 3
		.amdhsa_fp16_overflow 0
		.amdhsa_memory_ordered 1
		.amdhsa_forward_progress 1
		.amdhsa_inst_pref_size 13
		.amdhsa_round_robin_scheduling 0
		.amdhsa_exception_fp_ieee_invalid_op 0
		.amdhsa_exception_fp_denorm_src 0
		.amdhsa_exception_fp_ieee_div_zero 0
		.amdhsa_exception_fp_ieee_overflow 0
		.amdhsa_exception_fp_ieee_underflow 0
		.amdhsa_exception_fp_ieee_inexact 0
		.amdhsa_exception_int_div_zero 0
	.end_amdhsa_kernel
	.section	.text._ZL29rocblas_internal_gemmt_kernelIiLi16ELi32ELi8ELc84ELc78ELc85ELb0ELb0EfPKfS1_PfEviT_T9_T10_S3_lS5_S3_lS4_T11_S3_li,"axG",@progbits,_ZL29rocblas_internal_gemmt_kernelIiLi16ELi32ELi8ELc84ELc78ELc85ELb0ELb0EfPKfS1_PfEviT_T9_T10_S3_lS5_S3_lS4_T11_S3_li,comdat
.Lfunc_end3:
	.size	_ZL29rocblas_internal_gemmt_kernelIiLi16ELi32ELi8ELc84ELc78ELc85ELb0ELb0EfPKfS1_PfEviT_T9_T10_S3_lS5_S3_lS4_T11_S3_li, .Lfunc_end3-_ZL29rocblas_internal_gemmt_kernelIiLi16ELi32ELi8ELc84ELc78ELc85ELb0ELb0EfPKfS1_PfEviT_T9_T10_S3_lS5_S3_lS4_T11_S3_li
                                        ; -- End function
	.set _ZL29rocblas_internal_gemmt_kernelIiLi16ELi32ELi8ELc84ELc78ELc85ELb0ELb0EfPKfS1_PfEviT_T9_T10_S3_lS5_S3_lS4_T11_S3_li.num_vgpr, 52
	.set _ZL29rocblas_internal_gemmt_kernelIiLi16ELi32ELi8ELc84ELc78ELc85ELb0ELb0EfPKfS1_PfEviT_T9_T10_S3_lS5_S3_lS4_T11_S3_li.num_agpr, 0
	.set _ZL29rocblas_internal_gemmt_kernelIiLi16ELi32ELi8ELc84ELc78ELc85ELb0ELb0EfPKfS1_PfEviT_T9_T10_S3_lS5_S3_lS4_T11_S3_li.numbered_sgpr, 31
	.set _ZL29rocblas_internal_gemmt_kernelIiLi16ELi32ELi8ELc84ELc78ELc85ELb0ELb0EfPKfS1_PfEviT_T9_T10_S3_lS5_S3_lS4_T11_S3_li.num_named_barrier, 0
	.set _ZL29rocblas_internal_gemmt_kernelIiLi16ELi32ELi8ELc84ELc78ELc85ELb0ELb0EfPKfS1_PfEviT_T9_T10_S3_lS5_S3_lS4_T11_S3_li.private_seg_size, 0
	.set _ZL29rocblas_internal_gemmt_kernelIiLi16ELi32ELi8ELc84ELc78ELc85ELb0ELb0EfPKfS1_PfEviT_T9_T10_S3_lS5_S3_lS4_T11_S3_li.uses_vcc, 1
	.set _ZL29rocblas_internal_gemmt_kernelIiLi16ELi32ELi8ELc84ELc78ELc85ELb0ELb0EfPKfS1_PfEviT_T9_T10_S3_lS5_S3_lS4_T11_S3_li.uses_flat_scratch, 0
	.set _ZL29rocblas_internal_gemmt_kernelIiLi16ELi32ELi8ELc84ELc78ELc85ELb0ELb0EfPKfS1_PfEviT_T9_T10_S3_lS5_S3_lS4_T11_S3_li.has_dyn_sized_stack, 0
	.set _ZL29rocblas_internal_gemmt_kernelIiLi16ELi32ELi8ELc84ELc78ELc85ELb0ELb0EfPKfS1_PfEviT_T9_T10_S3_lS5_S3_lS4_T11_S3_li.has_recursion, 0
	.set _ZL29rocblas_internal_gemmt_kernelIiLi16ELi32ELi8ELc84ELc78ELc85ELb0ELb0EfPKfS1_PfEviT_T9_T10_S3_lS5_S3_lS4_T11_S3_li.has_indirect_call, 0
	.section	.AMDGPU.csdata,"",@progbits
; Kernel info:
; codeLenInByte = 1652
; TotalNumSgprs: 33
; NumVgprs: 52
; ScratchSize: 0
; MemoryBound: 0
; FloatMode: 240
; IeeeMode: 1
; LDSByteSize: 2048 bytes/workgroup (compile time only)
; SGPRBlocks: 0
; VGPRBlocks: 3
; NumSGPRsForWavesPerEU: 33
; NumVGPRsForWavesPerEU: 52
; NamedBarCnt: 0
; Occupancy: 16
; WaveLimiterHint : 0
; COMPUTE_PGM_RSRC2:SCRATCH_EN: 0
; COMPUTE_PGM_RSRC2:USER_SGPR: 2
; COMPUTE_PGM_RSRC2:TRAP_HANDLER: 0
; COMPUTE_PGM_RSRC2:TGID_X_EN: 1
; COMPUTE_PGM_RSRC2:TGID_Y_EN: 1
; COMPUTE_PGM_RSRC2:TGID_Z_EN: 1
; COMPUTE_PGM_RSRC2:TIDIG_COMP_CNT: 1
	.section	.text._ZL29rocblas_internal_gemmt_kernelIiLi16ELi32ELi8ELc84ELc84ELc85ELb0ELb0EfPKfS1_PfEviT_T9_T10_S3_lS5_S3_lS4_T11_S3_li,"axG",@progbits,_ZL29rocblas_internal_gemmt_kernelIiLi16ELi32ELi8ELc84ELc84ELc85ELb0ELb0EfPKfS1_PfEviT_T9_T10_S3_lS5_S3_lS4_T11_S3_li,comdat
	.globl	_ZL29rocblas_internal_gemmt_kernelIiLi16ELi32ELi8ELc84ELc84ELc85ELb0ELb0EfPKfS1_PfEviT_T9_T10_S3_lS5_S3_lS4_T11_S3_li ; -- Begin function _ZL29rocblas_internal_gemmt_kernelIiLi16ELi32ELi8ELc84ELc84ELc85ELb0ELb0EfPKfS1_PfEviT_T9_T10_S3_lS5_S3_lS4_T11_S3_li
	.p2align	8
	.type	_ZL29rocblas_internal_gemmt_kernelIiLi16ELi32ELi8ELc84ELc84ELc85ELb0ELb0EfPKfS1_PfEviT_T9_T10_S3_lS5_S3_lS4_T11_S3_li,@function
_ZL29rocblas_internal_gemmt_kernelIiLi16ELi32ELi8ELc84ELc84ELc85ELb0ELb0EfPKfS1_PfEviT_T9_T10_S3_lS5_S3_lS4_T11_S3_li: ; @_ZL29rocblas_internal_gemmt_kernelIiLi16ELi32ELi8ELc84ELc84ELc85ELb0ELb0EfPKfS1_PfEviT_T9_T10_S3_lS5_S3_lS4_T11_S3_li
; %bb.0:
	s_clause 0x1
	s_load_b128 s[4:7], s[0:1], 0x38
	s_load_b128 s[8:11], s[0:1], 0x8
	s_wait_kmcnt 0x0
	s_load_b32 s19, s[6:7], 0x0
	s_load_b64 s[20:21], s[0:1], 0x0
	s_load_b32 s24, s[8:9], 0x0
	s_wait_kmcnt 0x0
	s_cmp_neq_f32 s19, 1.0
	s_cselect_b32 s2, -1, 0
	s_delay_alu instid0(SALU_CYCLE_1)
	s_and_b32 vcc_lo, exec_lo, s2
	s_cbranch_vccnz .LBB4_2
; %bb.1:
	s_cmp_lg_u32 s21, 0
	s_cselect_b32 s2, -1, 0
	s_cmp_neq_f32 s24, 0
	s_cselect_b32 s3, -1, 0
	s_delay_alu instid0(SALU_CYCLE_1)
	s_and_b32 s2, s2, s3
.LBB4_2:
	s_delay_alu instid0(SALU_CYCLE_1)
	s_and_not1_b32 vcc_lo, exec_lo, s2
	s_cbranch_vccnz .LBB4_33
; %bb.3:
	s_load_b32 s25, s[0:1], 0x60
	s_bfe_u32 s2, ttmp6, 0x40014
	s_lshr_b32 s3, ttmp7, 16
	s_add_co_i32 s2, s2, 1
	s_bfe_u32 s6, ttmp6, 0x40008
	s_mul_i32 s2, s3, s2
	s_getreg_b32 s26, hwreg(HW_REG_IB_STS2, 6, 4)
	s_add_co_i32 s6, s6, s2
	s_cmp_eq_u32 s26, 0
	s_mov_b32 s7, 0
	s_cselect_b32 s6, s3, s6
	s_wait_kmcnt 0x0
	s_cmp_ge_u32 s6, s25
	s_cbranch_scc1 .LBB4_33
; %bb.4:
	s_clause 0x3
	s_load_b32 s2, s[0:1], 0x18
	s_load_b32 s22, s[0:1], 0x30
	s_load_b96 s[16:18], s[0:1], 0x48
	s_load_b128 s[12:15], s[0:1], 0x20
	v_and_b32_e32 v9, 0x3ff, v0
	v_bfe_u32 v10, v0, 10, 10
	s_load_b64 s[8:9], s[0:1], 0x58
	s_wait_xcnt 0x0
	s_bfe_u32 s1, ttmp6, 0x4000c
	s_bfe_u32 s3, ttmp6, 0x40010
	s_and_b32 s28, ttmp7, 0xffff
	s_add_co_i32 s1, s1, 1
	s_add_co_i32 s3, s3, 1
	v_lshl_add_u32 v1, v10, 4, v9
	s_and_b32 s0, ttmp6, 15
	s_mul_i32 s1, ttmp9, s1
	s_mul_i32 s29, s28, s3
	s_bfe_u32 s30, ttmp6, 0x40004
	s_add_co_i32 s0, s0, s1
	s_add_co_i32 s30, s30, s29
	v_dual_lshrrev_b32 v5, 3, v1 :: v_dual_bitop2_b32 v4, 31, v1 bitop3:0x40
	s_wait_kmcnt 0x0
	s_ashr_i32 s3, s2, 31
	s_ashr_i32 s23, s22, 31
	;; [unrolled: 1-line block ×3, first 2 shown]
	s_cmp_eq_u32 s26, 0
	v_dual_lshrrev_b32 v22, 5, v1 :: v_dual_bitop2_b32 v0, 7, v0 bitop3:0x40
	s_cselect_b32 s0, ttmp9, s0
	s_cselect_b32 s1, s28, s30
	s_lshl_b32 s28, s0, 5
	s_delay_alu instid0(SALU_CYCLE_1) | instskip(SKIP_2) | instid1(VALU_DEP_1)
	v_dual_mov_b32 v11, 0 :: v_dual_bitop2_b32 v2, s28, v4 bitop3:0x54
	s_lshl_b32 s0, s1, 5
	s_mov_b32 s26, s18
	v_dual_mov_b32 v1, v11 :: v_dual_add_nc_u32 v12, s0, v5
	v_add_nc_u32_e32 v14, s0, v10
	v_dual_ashrrev_i32 v3, 31, v2 :: v_dual_lshlrev_b32 v4, 2, v4
	v_cmp_gt_i32_e64 s0, s20, v2
	s_delay_alu instid0(VALU_DEP_4) | instskip(NEXT) | instid1(VALU_DEP_4)
	v_mul_u64_e32 v[18:19], s[22:23], v[0:1]
	v_add_nc_u32_e32 v20, 16, v14
	s_delay_alu instid0(VALU_DEP_4) | instskip(SKIP_2) | instid1(VALU_DEP_4)
	v_mul_u64_e32 v[16:17], s[2:3], v[2:3]
	v_dual_lshlrev_b32 v3, 2, v0 :: v_dual_ashrrev_i32 v15, 31, v14
	v_lshl_or_b32 v1, v22, 7, v4
	v_dual_ashrrev_i32 v21, 31, v20 :: v_dual_add_nc_u32 v2, s28, v9
	s_delay_alu instid0(VALU_DEP_3) | instskip(NEXT) | instid1(VALU_DEP_4)
	v_lshl_or_b32 v3, v5, 5, v3
	v_mul_u64_e32 v[4:5], s[26:27], v[14:15]
	v_ashrrev_i32_e32 v13, 31, v12
	s_delay_alu instid0(VALU_DEP_4)
	v_mul_u64_e32 v[6:7], s[26:27], v[20:21]
	v_cmp_gt_i32_e64 s1, s20, v12
	v_add_nc_u32_e32 v8, 16, v2
	s_cmp_neq_f32 s24, 0
	v_lshlrev_b64_e32 v[12:13], 2, v[12:13]
	v_lshl_add_u32 v25, v10, 5, 0x400
	v_lshlrev_b32_e32 v10, 2, v22
	s_cselect_b32 s29, -1, 0
	s_cmp_gt_i32 s21, 0
	v_cmp_gt_i32_e32 vcc_lo, s20, v14
	v_cmp_le_i32_e64 s2, v2, v14
	v_lshlrev_b32_e32 v24, 2, v9
	v_cmp_le_i32_e64 s3, v8, v14
	v_ashrrev_i32_e32 v9, 31, v8
	s_cselect_b32 s30, -1, 0
	s_cmp_neq_f32 s19, 0
	v_add_nc_u32_e32 v23, 0x400, v3
	v_ashrrev_i32_e32 v3, 31, v2
	s_cselect_b32 s18, -1, 0
	s_and_b32 s26, vcc_lo, s2
	v_lshl_add_u64 v[12:13], v[18:19], 2, v[12:13]
	s_and_b32 s27, vcc_lo, s3
	v_lshl_add_u64 v[10:11], v[16:17], 2, v[10:11]
	v_cmp_gt_i32_e32 vcc_lo, s20, v20
	v_cmp_le_i32_e64 s2, v2, v20
	v_cmp_le_i32_e64 s3, v8, v20
	v_add_nc_u64_e32 v[12:13], s[14:15], v[12:13]
	v_add_nc_u64_e32 v[10:11], s[10:11], v[10:11]
	s_and_b32 s14, s29, s30
	s_and_b32 s20, vcc_lo, s2
	s_and_b32 s28, vcc_lo, s3
	s_lshl_b64 s[2:3], s[12:13], 2
	s_lshl_b64 s[4:5], s[4:5], 2
	s_lshl_b64 s[10:11], s[22:23], 5
	s_branch .LBB4_6
.LBB4_5:                                ;   in Loop: Header=BB4_6 Depth=1
	s_wait_xcnt 0x0
	s_or_b32 exec_lo, exec_lo, s12
	s_add_co_i32 s6, s6, 0x10000
	s_delay_alu instid0(SALU_CYCLE_1)
	s_cmp_lt_u32 s6, s25
	s_cbranch_scc0 .LBB4_33
.LBB4_6:                                ; =>This Loop Header: Depth=1
                                        ;     Child Loop BB4_9 Depth 2
	v_dual_mov_b32 v21, 0 :: v_dual_mov_b32 v20, 0
	v_dual_mov_b32 v15, 0 :: v_dual_mov_b32 v14, 0
	s_and_not1_b32 vcc_lo, exec_lo, s14
	s_cbranch_vccnz .LBB4_13
; %bb.7:                                ;   in Loop: Header=BB4_6 Depth=1
	v_mad_nc_u64_u32 v[16:17], s2, s6, v[10:11]
	v_mad_nc_u64_u32 v[18:19], s4, s6, v[12:13]
	v_mov_b32_e32 v14, 0
	s_mov_b32 s12, 0
	s_delay_alu instid0(VALU_DEP_1)
	v_dual_mov_b32 v15, v14 :: v_dual_mov_b32 v20, v14
	v_mov_b32_e32 v21, v14
	v_mad_u32 v17, s3, s6, v17
	v_mad_u32 v19, s5, s6, v19
	s_branch .LBB4_9
.LBB4_8:                                ;   in Loop: Header=BB4_9 Depth=2
	s_wait_xcnt 0x0
	s_or_b32 exec_lo, exec_lo, s13
	s_wait_loadcnt 0x0
	ds_store_b32 v23, v27
	s_wait_dscnt 0x0
	s_barrier_signal -1
	s_barrier_wait -1
	ds_load_b128 v[26:29], v25
	ds_load_2addr_b32 v[42:43], v24 offset1:16
	ds_load_b128 v[30:33], v25 offset:512
	ds_load_2addr_b32 v[44:45], v24 offset0:32 offset1:48
	ds_load_2addr_b32 v[46:47], v24 offset0:64 offset1:80
	;; [unrolled: 1-line block ×3, first 2 shown]
	ds_load_b128 v[34:37], v25 offset:16
	ds_load_2addr_b32 v[50:51], v24 offset0:128 offset1:144
	ds_load_b128 v[38:41], v25 offset:528
	v_add_nc_u64_e32 v[16:17], 32, v[16:17]
	v_add_nc_u64_e32 v[18:19], s[10:11], v[18:19]
	s_add_co_i32 s12, s12, 8
	s_delay_alu instid0(SALU_CYCLE_1)
	s_cmp_lt_i32 s12, s21
	s_wait_dscnt 0x7
	v_pk_fma_f32 v[20:21], v[42:43], v[26:27], v[20:21] op_sel_hi:[1,0,1]
	s_wait_dscnt 0x6
	v_pk_fma_f32 v[14:15], v[42:43], v[30:31], v[14:15] op_sel_hi:[1,0,1]
	ds_load_2addr_b32 v[42:43], v24 offset0:160 offset1:176
	s_wait_dscnt 0x6
	v_pk_fma_f32 v[20:21], v[44:45], v[26:27], v[20:21] op_sel:[0,1,0]
	v_pk_fma_f32 v[14:15], v[44:45], v[30:31], v[14:15] op_sel:[0,1,0]
	ds_load_2addr_b32 v[26:27], v24 offset0:192 offset1:208
	v_dual_mov_b32 v30, v29 :: v_dual_mov_b32 v44, v33
	s_wait_dscnt 0x6
	v_pk_fma_f32 v[20:21], v[46:47], v[28:29], v[20:21] op_sel_hi:[1,0,1]
	v_pk_fma_f32 v[14:15], v[46:47], v[32:33], v[14:15] op_sel_hi:[1,0,1]
	ds_load_2addr_b32 v[28:29], v24 offset0:224 offset1:240
	s_wait_dscnt 0x3
	v_mov_b32_e32 v32, v41
	s_wait_dscnt 0x0
	v_pk_fma_f32 v[20:21], v[48:49], v[30:31], v[20:21] op_sel_hi:[1,0,1]
	v_pk_fma_f32 v[14:15], v[48:49], v[44:45], v[14:15] op_sel_hi:[1,0,1]
	v_mov_b32_e32 v30, v37
	s_barrier_signal -1
	s_barrier_wait -1
	v_pk_fma_f32 v[20:21], v[50:51], v[34:35], v[20:21] op_sel_hi:[1,0,1]
	v_pk_fma_f32 v[14:15], v[50:51], v[38:39], v[14:15] op_sel_hi:[1,0,1]
	s_delay_alu instid0(VALU_DEP_2) | instskip(NEXT) | instid1(VALU_DEP_2)
	v_pk_fma_f32 v[20:21], v[42:43], v[34:35], v[20:21] op_sel:[0,1,0]
	v_pk_fma_f32 v[14:15], v[42:43], v[38:39], v[14:15] op_sel:[0,1,0]
	s_delay_alu instid0(VALU_DEP_2) | instskip(NEXT) | instid1(VALU_DEP_2)
	v_pk_fma_f32 v[20:21], v[26:27], v[36:37], v[20:21] op_sel_hi:[1,0,1]
	v_pk_fma_f32 v[14:15], v[26:27], v[40:41], v[14:15] op_sel_hi:[1,0,1]
	s_delay_alu instid0(VALU_DEP_2) | instskip(NEXT) | instid1(VALU_DEP_2)
	v_pk_fma_f32 v[20:21], v[28:29], v[30:31], v[20:21] op_sel_hi:[1,0,1]
	v_pk_fma_f32 v[14:15], v[28:29], v[32:33], v[14:15] op_sel_hi:[1,0,1]
	s_cbranch_scc0 .LBB4_13
.LBB4_9:                                ;   Parent Loop BB4_6 Depth=1
                                        ; =>  This Inner Loop Header: Depth=2
	v_add_nc_u32_e32 v26, s12, v22
	s_delay_alu instid0(VALU_DEP_1) | instskip(SKIP_2) | instid1(SALU_CYCLE_1)
	v_cmp_gt_i32_e32 vcc_lo, s21, v26
	v_mov_b32_e32 v26, 0
	s_and_b32 s15, s0, vcc_lo
	s_and_saveexec_b32 s13, s15
	s_cbranch_execz .LBB4_11
; %bb.10:                               ;   in Loop: Header=BB4_9 Depth=2
	global_load_b32 v26, v[16:17], off
.LBB4_11:                               ;   in Loop: Header=BB4_9 Depth=2
	s_wait_xcnt 0x0
	s_or_b32 exec_lo, exec_lo, s13
	v_add_nc_u32_e32 v27, s12, v0
	s_wait_loadcnt 0x0
	ds_store_b32 v1, v26
	v_cmp_gt_i32_e32 vcc_lo, s21, v27
	v_mov_b32_e32 v27, 0
	s_and_b32 s15, vcc_lo, s1
	s_delay_alu instid0(SALU_CYCLE_1)
	s_and_saveexec_b32 s13, s15
	s_cbranch_execz .LBB4_8
; %bb.12:                               ;   in Loop: Header=BB4_9 Depth=2
	global_load_b32 v27, v[18:19], off
	s_branch .LBB4_8
.LBB4_13:                               ;   in Loop: Header=BB4_6 Depth=1
	s_mul_u64 s[12:13], s[8:9], s[6:7]
	s_delay_alu instid0(SALU_CYCLE_1) | instskip(NEXT) | instid1(SALU_CYCLE_1)
	s_lshl_b64 s[12:13], s[12:13], 2
	s_add_nc_u64 s[12:13], s[16:17], s[12:13]
	s_delay_alu instid0(SALU_CYCLE_1)
	v_lshl_add_u64 v[16:17], v[4:5], 2, s[12:13]
	s_and_saveexec_b32 s15, s26
	s_cbranch_execz .LBB4_17
; %bb.14:                               ;   in Loop: Header=BB4_6 Depth=1
	v_mul_f32_e32 v20, s24, v20
	s_delay_alu instid0(VALU_DEP_2)
	v_lshl_add_u64 v[18:19], v[2:3], 2, v[16:17]
	s_and_b32 vcc_lo, exec_lo, s18
	s_cbranch_vccz .LBB4_28
; %bb.15:                               ;   in Loop: Header=BB4_6 Depth=1
	global_load_b32 v26, v[18:19], off
	s_wait_loadcnt 0x0
	v_fma_f32 v26, s19, v26, v20
	global_store_b32 v[18:19], v26, off
	s_cbranch_execnz .LBB4_17
.LBB4_16:                               ;   in Loop: Header=BB4_6 Depth=1
	global_store_b32 v[18:19], v20, off
.LBB4_17:                               ;   in Loop: Header=BB4_6 Depth=1
	s_wait_xcnt 0x0
	s_or_b32 exec_lo, exec_lo, s15
	s_and_saveexec_b32 s15, s27
	s_cbranch_execz .LBB4_21
; %bb.18:                               ;   in Loop: Header=BB4_6 Depth=1
	v_mul_f32_e32 v18, s24, v21
	v_lshl_add_u64 v[16:17], v[8:9], 2, v[16:17]
	s_and_not1_b32 vcc_lo, exec_lo, s18
	s_cbranch_vccnz .LBB4_29
; %bb.19:                               ;   in Loop: Header=BB4_6 Depth=1
	global_load_b32 v19, v[16:17], off
	s_wait_loadcnt 0x0
	v_fma_f32 v19, s19, v19, v18
	global_store_b32 v[16:17], v19, off
	s_cbranch_execnz .LBB4_21
.LBB4_20:                               ;   in Loop: Header=BB4_6 Depth=1
	global_store_b32 v[16:17], v18, off
.LBB4_21:                               ;   in Loop: Header=BB4_6 Depth=1
	s_wait_xcnt 0x0
	s_or_b32 exec_lo, exec_lo, s15
	v_lshl_add_u64 v[16:17], v[6:7], 2, s[12:13]
	s_and_saveexec_b32 s12, s20
	s_cbranch_execz .LBB4_25
; %bb.22:                               ;   in Loop: Header=BB4_6 Depth=1
	v_mul_f32_e32 v14, s24, v14
	s_delay_alu instid0(VALU_DEP_2)
	v_lshl_add_u64 v[18:19], v[2:3], 2, v[16:17]
	s_and_not1_b32 vcc_lo, exec_lo, s18
	s_cbranch_vccnz .LBB4_30
; %bb.23:                               ;   in Loop: Header=BB4_6 Depth=1
	global_load_b32 v20, v[18:19], off
	s_wait_loadcnt 0x0
	v_fma_f32 v20, s19, v20, v14
	global_store_b32 v[18:19], v20, off
	s_cbranch_execnz .LBB4_25
.LBB4_24:                               ;   in Loop: Header=BB4_6 Depth=1
	global_store_b32 v[18:19], v14, off
.LBB4_25:                               ;   in Loop: Header=BB4_6 Depth=1
	s_wait_xcnt 0x0
	s_or_b32 exec_lo, exec_lo, s12
	s_and_saveexec_b32 s12, s28
	s_cbranch_execz .LBB4_5
; %bb.26:                               ;   in Loop: Header=BB4_6 Depth=1
	v_mul_f32_e32 v18, s24, v15
	v_lshl_add_u64 v[14:15], v[8:9], 2, v[16:17]
	s_and_not1_b32 vcc_lo, exec_lo, s18
	s_cbranch_vccnz .LBB4_31
; %bb.27:                               ;   in Loop: Header=BB4_6 Depth=1
	global_load_b32 v16, v[14:15], off
	s_wait_loadcnt 0x0
	v_fma_f32 v16, s19, v16, v18
	global_store_b32 v[14:15], v16, off
	s_cbranch_execnz .LBB4_5
	s_branch .LBB4_32
.LBB4_28:                               ;   in Loop: Header=BB4_6 Depth=1
	s_branch .LBB4_16
.LBB4_29:                               ;   in Loop: Header=BB4_6 Depth=1
	s_branch .LBB4_20
.LBB4_30:                               ;   in Loop: Header=BB4_6 Depth=1
	s_branch .LBB4_24
.LBB4_31:                               ;   in Loop: Header=BB4_6 Depth=1
.LBB4_32:                               ;   in Loop: Header=BB4_6 Depth=1
	global_store_b32 v[14:15], v18, off
	s_branch .LBB4_5
.LBB4_33:
	s_endpgm
	.section	.rodata,"a",@progbits
	.p2align	6, 0x0
	.amdhsa_kernel _ZL29rocblas_internal_gemmt_kernelIiLi16ELi32ELi8ELc84ELc84ELc85ELb0ELb0EfPKfS1_PfEviT_T9_T10_S3_lS5_S3_lS4_T11_S3_li
		.amdhsa_group_segment_fixed_size 2048
		.amdhsa_private_segment_fixed_size 0
		.amdhsa_kernarg_size 100
		.amdhsa_user_sgpr_count 2
		.amdhsa_user_sgpr_dispatch_ptr 0
		.amdhsa_user_sgpr_queue_ptr 0
		.amdhsa_user_sgpr_kernarg_segment_ptr 1
		.amdhsa_user_sgpr_dispatch_id 0
		.amdhsa_user_sgpr_kernarg_preload_length 0
		.amdhsa_user_sgpr_kernarg_preload_offset 0
		.amdhsa_user_sgpr_private_segment_size 0
		.amdhsa_wavefront_size32 1
		.amdhsa_uses_dynamic_stack 0
		.amdhsa_enable_private_segment 0
		.amdhsa_system_sgpr_workgroup_id_x 1
		.amdhsa_system_sgpr_workgroup_id_y 1
		.amdhsa_system_sgpr_workgroup_id_z 1
		.amdhsa_system_sgpr_workgroup_info 0
		.amdhsa_system_vgpr_workitem_id 1
		.amdhsa_next_free_vgpr 52
		.amdhsa_next_free_sgpr 31
		.amdhsa_named_barrier_count 0
		.amdhsa_reserve_vcc 1
		.amdhsa_float_round_mode_32 0
		.amdhsa_float_round_mode_16_64 0
		.amdhsa_float_denorm_mode_32 3
		.amdhsa_float_denorm_mode_16_64 3
		.amdhsa_fp16_overflow 0
		.amdhsa_memory_ordered 1
		.amdhsa_forward_progress 1
		.amdhsa_inst_pref_size 13
		.amdhsa_round_robin_scheduling 0
		.amdhsa_exception_fp_ieee_invalid_op 0
		.amdhsa_exception_fp_denorm_src 0
		.amdhsa_exception_fp_ieee_div_zero 0
		.amdhsa_exception_fp_ieee_overflow 0
		.amdhsa_exception_fp_ieee_underflow 0
		.amdhsa_exception_fp_ieee_inexact 0
		.amdhsa_exception_int_div_zero 0
	.end_amdhsa_kernel
	.section	.text._ZL29rocblas_internal_gemmt_kernelIiLi16ELi32ELi8ELc84ELc84ELc85ELb0ELb0EfPKfS1_PfEviT_T9_T10_S3_lS5_S3_lS4_T11_S3_li,"axG",@progbits,_ZL29rocblas_internal_gemmt_kernelIiLi16ELi32ELi8ELc84ELc84ELc85ELb0ELb0EfPKfS1_PfEviT_T9_T10_S3_lS5_S3_lS4_T11_S3_li,comdat
.Lfunc_end4:
	.size	_ZL29rocblas_internal_gemmt_kernelIiLi16ELi32ELi8ELc84ELc84ELc85ELb0ELb0EfPKfS1_PfEviT_T9_T10_S3_lS5_S3_lS4_T11_S3_li, .Lfunc_end4-_ZL29rocblas_internal_gemmt_kernelIiLi16ELi32ELi8ELc84ELc84ELc85ELb0ELb0EfPKfS1_PfEviT_T9_T10_S3_lS5_S3_lS4_T11_S3_li
                                        ; -- End function
	.set _ZL29rocblas_internal_gemmt_kernelIiLi16ELi32ELi8ELc84ELc84ELc85ELb0ELb0EfPKfS1_PfEviT_T9_T10_S3_lS5_S3_lS4_T11_S3_li.num_vgpr, 52
	.set _ZL29rocblas_internal_gemmt_kernelIiLi16ELi32ELi8ELc84ELc84ELc85ELb0ELb0EfPKfS1_PfEviT_T9_T10_S3_lS5_S3_lS4_T11_S3_li.num_agpr, 0
	.set _ZL29rocblas_internal_gemmt_kernelIiLi16ELi32ELi8ELc84ELc84ELc85ELb0ELb0EfPKfS1_PfEviT_T9_T10_S3_lS5_S3_lS4_T11_S3_li.numbered_sgpr, 31
	.set _ZL29rocblas_internal_gemmt_kernelIiLi16ELi32ELi8ELc84ELc84ELc85ELb0ELb0EfPKfS1_PfEviT_T9_T10_S3_lS5_S3_lS4_T11_S3_li.num_named_barrier, 0
	.set _ZL29rocblas_internal_gemmt_kernelIiLi16ELi32ELi8ELc84ELc84ELc85ELb0ELb0EfPKfS1_PfEviT_T9_T10_S3_lS5_S3_lS4_T11_S3_li.private_seg_size, 0
	.set _ZL29rocblas_internal_gemmt_kernelIiLi16ELi32ELi8ELc84ELc84ELc85ELb0ELb0EfPKfS1_PfEviT_T9_T10_S3_lS5_S3_lS4_T11_S3_li.uses_vcc, 1
	.set _ZL29rocblas_internal_gemmt_kernelIiLi16ELi32ELi8ELc84ELc84ELc85ELb0ELb0EfPKfS1_PfEviT_T9_T10_S3_lS5_S3_lS4_T11_S3_li.uses_flat_scratch, 0
	.set _ZL29rocblas_internal_gemmt_kernelIiLi16ELi32ELi8ELc84ELc84ELc85ELb0ELb0EfPKfS1_PfEviT_T9_T10_S3_lS5_S3_lS4_T11_S3_li.has_dyn_sized_stack, 0
	.set _ZL29rocblas_internal_gemmt_kernelIiLi16ELi32ELi8ELc84ELc84ELc85ELb0ELb0EfPKfS1_PfEviT_T9_T10_S3_lS5_S3_lS4_T11_S3_li.has_recursion, 0
	.set _ZL29rocblas_internal_gemmt_kernelIiLi16ELi32ELi8ELc84ELc84ELc85ELb0ELb0EfPKfS1_PfEviT_T9_T10_S3_lS5_S3_lS4_T11_S3_li.has_indirect_call, 0
	.section	.AMDGPU.csdata,"",@progbits
; Kernel info:
; codeLenInByte = 1648
; TotalNumSgprs: 33
; NumVgprs: 52
; ScratchSize: 0
; MemoryBound: 0
; FloatMode: 240
; IeeeMode: 1
; LDSByteSize: 2048 bytes/workgroup (compile time only)
; SGPRBlocks: 0
; VGPRBlocks: 3
; NumSGPRsForWavesPerEU: 33
; NumVGPRsForWavesPerEU: 52
; NamedBarCnt: 0
; Occupancy: 16
; WaveLimiterHint : 0
; COMPUTE_PGM_RSRC2:SCRATCH_EN: 0
; COMPUTE_PGM_RSRC2:USER_SGPR: 2
; COMPUTE_PGM_RSRC2:TRAP_HANDLER: 0
; COMPUTE_PGM_RSRC2:TGID_X_EN: 1
; COMPUTE_PGM_RSRC2:TGID_Y_EN: 1
; COMPUTE_PGM_RSRC2:TGID_Z_EN: 1
; COMPUTE_PGM_RSRC2:TIDIG_COMP_CNT: 1
	.section	.text._ZL29rocblas_internal_gemmt_kernelIiLi16ELi32ELi8ELc84ELc67ELc85ELb0ELb0EfPKfS1_PfEviT_T9_T10_S3_lS5_S3_lS4_T11_S3_li,"axG",@progbits,_ZL29rocblas_internal_gemmt_kernelIiLi16ELi32ELi8ELc84ELc67ELc85ELb0ELb0EfPKfS1_PfEviT_T9_T10_S3_lS5_S3_lS4_T11_S3_li,comdat
	.globl	_ZL29rocblas_internal_gemmt_kernelIiLi16ELi32ELi8ELc84ELc67ELc85ELb0ELb0EfPKfS1_PfEviT_T9_T10_S3_lS5_S3_lS4_T11_S3_li ; -- Begin function _ZL29rocblas_internal_gemmt_kernelIiLi16ELi32ELi8ELc84ELc67ELc85ELb0ELb0EfPKfS1_PfEviT_T9_T10_S3_lS5_S3_lS4_T11_S3_li
	.p2align	8
	.type	_ZL29rocblas_internal_gemmt_kernelIiLi16ELi32ELi8ELc84ELc67ELc85ELb0ELb0EfPKfS1_PfEviT_T9_T10_S3_lS5_S3_lS4_T11_S3_li,@function
_ZL29rocblas_internal_gemmt_kernelIiLi16ELi32ELi8ELc84ELc67ELc85ELb0ELb0EfPKfS1_PfEviT_T9_T10_S3_lS5_S3_lS4_T11_S3_li: ; @_ZL29rocblas_internal_gemmt_kernelIiLi16ELi32ELi8ELc84ELc67ELc85ELb0ELb0EfPKfS1_PfEviT_T9_T10_S3_lS5_S3_lS4_T11_S3_li
; %bb.0:
	s_clause 0x1
	s_load_b128 s[4:7], s[0:1], 0x38
	s_load_b128 s[8:11], s[0:1], 0x8
	s_wait_kmcnt 0x0
	s_load_b32 s19, s[6:7], 0x0
	s_load_b64 s[20:21], s[0:1], 0x0
	s_load_b32 s24, s[8:9], 0x0
	s_wait_kmcnt 0x0
	s_cmp_neq_f32 s19, 1.0
	s_cselect_b32 s2, -1, 0
	s_delay_alu instid0(SALU_CYCLE_1)
	s_and_b32 vcc_lo, exec_lo, s2
	s_cbranch_vccnz .LBB5_2
; %bb.1:
	s_cmp_lg_u32 s21, 0
	s_cselect_b32 s2, -1, 0
	s_cmp_neq_f32 s24, 0
	s_cselect_b32 s3, -1, 0
	s_delay_alu instid0(SALU_CYCLE_1)
	s_and_b32 s2, s2, s3
.LBB5_2:
	s_delay_alu instid0(SALU_CYCLE_1)
	s_and_not1_b32 vcc_lo, exec_lo, s2
	s_cbranch_vccnz .LBB5_33
; %bb.3:
	s_load_b32 s25, s[0:1], 0x60
	s_bfe_u32 s2, ttmp6, 0x40014
	s_lshr_b32 s3, ttmp7, 16
	s_add_co_i32 s2, s2, 1
	s_bfe_u32 s6, ttmp6, 0x40008
	s_mul_i32 s2, s3, s2
	s_getreg_b32 s26, hwreg(HW_REG_IB_STS2, 6, 4)
	s_add_co_i32 s6, s6, s2
	s_cmp_eq_u32 s26, 0
	s_mov_b32 s7, 0
	s_cselect_b32 s6, s3, s6
	s_wait_kmcnt 0x0
	s_cmp_ge_u32 s6, s25
	s_cbranch_scc1 .LBB5_33
; %bb.4:
	s_clause 0x3
	s_load_b32 s2, s[0:1], 0x18
	s_load_b32 s22, s[0:1], 0x30
	s_load_b96 s[16:18], s[0:1], 0x48
	s_load_b128 s[12:15], s[0:1], 0x20
	v_and_b32_e32 v9, 0x3ff, v0
	v_bfe_u32 v10, v0, 10, 10
	s_load_b64 s[8:9], s[0:1], 0x58
	s_wait_xcnt 0x0
	s_bfe_u32 s1, ttmp6, 0x4000c
	s_bfe_u32 s3, ttmp6, 0x40010
	s_and_b32 s28, ttmp7, 0xffff
	s_add_co_i32 s1, s1, 1
	s_add_co_i32 s3, s3, 1
	v_lshl_add_u32 v1, v10, 4, v9
	s_and_b32 s0, ttmp6, 15
	s_mul_i32 s1, ttmp9, s1
	s_mul_i32 s29, s28, s3
	s_bfe_u32 s30, ttmp6, 0x40004
	s_add_co_i32 s0, s0, s1
	s_add_co_i32 s30, s30, s29
	v_dual_lshrrev_b32 v5, 3, v1 :: v_dual_bitop2_b32 v4, 31, v1 bitop3:0x40
	s_wait_kmcnt 0x0
	s_ashr_i32 s3, s2, 31
	s_ashr_i32 s23, s22, 31
	;; [unrolled: 1-line block ×3, first 2 shown]
	s_cmp_eq_u32 s26, 0
	v_dual_lshrrev_b32 v22, 5, v1 :: v_dual_bitop2_b32 v0, 7, v0 bitop3:0x40
	s_cselect_b32 s0, ttmp9, s0
	s_cselect_b32 s1, s28, s30
	s_lshl_b32 s28, s0, 5
	s_delay_alu instid0(SALU_CYCLE_1) | instskip(SKIP_2) | instid1(VALU_DEP_1)
	v_dual_mov_b32 v11, 0 :: v_dual_bitop2_b32 v2, s28, v4 bitop3:0x54
	s_lshl_b32 s0, s1, 5
	s_mov_b32 s26, s18
	v_dual_mov_b32 v1, v11 :: v_dual_add_nc_u32 v12, s0, v5
	v_add_nc_u32_e32 v14, s0, v10
	v_dual_ashrrev_i32 v3, 31, v2 :: v_dual_lshlrev_b32 v4, 2, v4
	v_cmp_gt_i32_e64 s0, s20, v2
	s_delay_alu instid0(VALU_DEP_4) | instskip(NEXT) | instid1(VALU_DEP_4)
	v_mul_u64_e32 v[18:19], s[22:23], v[0:1]
	v_add_nc_u32_e32 v20, 16, v14
	s_delay_alu instid0(VALU_DEP_4) | instskip(SKIP_2) | instid1(VALU_DEP_4)
	v_mul_u64_e32 v[16:17], s[2:3], v[2:3]
	v_dual_lshlrev_b32 v3, 2, v0 :: v_dual_ashrrev_i32 v15, 31, v14
	v_lshl_or_b32 v1, v22, 7, v4
	v_dual_ashrrev_i32 v21, 31, v20 :: v_dual_add_nc_u32 v2, s28, v9
	s_delay_alu instid0(VALU_DEP_3) | instskip(NEXT) | instid1(VALU_DEP_4)
	v_lshl_or_b32 v3, v5, 5, v3
	v_mul_u64_e32 v[4:5], s[26:27], v[14:15]
	v_ashrrev_i32_e32 v13, 31, v12
	s_delay_alu instid0(VALU_DEP_4)
	v_mul_u64_e32 v[6:7], s[26:27], v[20:21]
	v_cmp_gt_i32_e64 s1, s20, v12
	v_add_nc_u32_e32 v8, 16, v2
	s_cmp_neq_f32 s24, 0
	v_lshlrev_b64_e32 v[12:13], 2, v[12:13]
	v_lshl_add_u32 v25, v10, 5, 0x400
	v_lshlrev_b32_e32 v10, 2, v22
	s_cselect_b32 s29, -1, 0
	s_cmp_gt_i32 s21, 0
	v_cmp_gt_i32_e32 vcc_lo, s20, v14
	v_cmp_le_i32_e64 s2, v2, v14
	v_lshlrev_b32_e32 v24, 2, v9
	v_cmp_le_i32_e64 s3, v8, v14
	v_ashrrev_i32_e32 v9, 31, v8
	s_cselect_b32 s30, -1, 0
	s_cmp_neq_f32 s19, 0
	v_add_nc_u32_e32 v23, 0x400, v3
	v_ashrrev_i32_e32 v3, 31, v2
	s_cselect_b32 s18, -1, 0
	s_and_b32 s26, vcc_lo, s2
	v_lshl_add_u64 v[12:13], v[18:19], 2, v[12:13]
	s_and_b32 s27, vcc_lo, s3
	v_lshl_add_u64 v[10:11], v[16:17], 2, v[10:11]
	v_cmp_gt_i32_e32 vcc_lo, s20, v20
	v_cmp_le_i32_e64 s2, v2, v20
	v_cmp_le_i32_e64 s3, v8, v20
	v_add_nc_u64_e32 v[12:13], s[14:15], v[12:13]
	v_add_nc_u64_e32 v[10:11], s[10:11], v[10:11]
	s_and_b32 s14, s29, s30
	s_and_b32 s20, vcc_lo, s2
	s_and_b32 s28, vcc_lo, s3
	s_lshl_b64 s[2:3], s[12:13], 2
	s_lshl_b64 s[4:5], s[4:5], 2
	s_lshl_b64 s[10:11], s[22:23], 5
	s_branch .LBB5_6
.LBB5_5:                                ;   in Loop: Header=BB5_6 Depth=1
	s_wait_xcnt 0x0
	s_or_b32 exec_lo, exec_lo, s12
	s_add_co_i32 s6, s6, 0x10000
	s_delay_alu instid0(SALU_CYCLE_1)
	s_cmp_lt_u32 s6, s25
	s_cbranch_scc0 .LBB5_33
.LBB5_6:                                ; =>This Loop Header: Depth=1
                                        ;     Child Loop BB5_9 Depth 2
	v_dual_mov_b32 v21, 0 :: v_dual_mov_b32 v20, 0
	v_dual_mov_b32 v15, 0 :: v_dual_mov_b32 v14, 0
	s_and_not1_b32 vcc_lo, exec_lo, s14
	s_cbranch_vccnz .LBB5_13
; %bb.7:                                ;   in Loop: Header=BB5_6 Depth=1
	v_mad_nc_u64_u32 v[16:17], s2, s6, v[10:11]
	v_mad_nc_u64_u32 v[18:19], s4, s6, v[12:13]
	v_mov_b32_e32 v14, 0
	s_mov_b32 s12, 0
	s_delay_alu instid0(VALU_DEP_1)
	v_dual_mov_b32 v15, v14 :: v_dual_mov_b32 v20, v14
	v_mov_b32_e32 v21, v14
	v_mad_u32 v17, s3, s6, v17
	v_mad_u32 v19, s5, s6, v19
	s_branch .LBB5_9
.LBB5_8:                                ;   in Loop: Header=BB5_9 Depth=2
	s_wait_xcnt 0x0
	s_or_b32 exec_lo, exec_lo, s13
	s_wait_loadcnt 0x0
	ds_store_b32 v23, v27
	s_wait_dscnt 0x0
	s_barrier_signal -1
	s_barrier_wait -1
	ds_load_b128 v[26:29], v25
	ds_load_2addr_b32 v[42:43], v24 offset1:16
	ds_load_b128 v[30:33], v25 offset:512
	ds_load_2addr_b32 v[44:45], v24 offset0:32 offset1:48
	ds_load_2addr_b32 v[46:47], v24 offset0:64 offset1:80
	;; [unrolled: 1-line block ×3, first 2 shown]
	ds_load_b128 v[34:37], v25 offset:16
	ds_load_2addr_b32 v[50:51], v24 offset0:128 offset1:144
	ds_load_b128 v[38:41], v25 offset:528
	v_add_nc_u64_e32 v[16:17], 32, v[16:17]
	v_add_nc_u64_e32 v[18:19], s[10:11], v[18:19]
	s_add_co_i32 s12, s12, 8
	s_delay_alu instid0(SALU_CYCLE_1)
	s_cmp_lt_i32 s12, s21
	s_wait_dscnt 0x7
	v_pk_fma_f32 v[20:21], v[42:43], v[26:27], v[20:21] op_sel_hi:[1,0,1]
	s_wait_dscnt 0x6
	v_pk_fma_f32 v[14:15], v[42:43], v[30:31], v[14:15] op_sel_hi:[1,0,1]
	ds_load_2addr_b32 v[42:43], v24 offset0:160 offset1:176
	s_wait_dscnt 0x6
	v_pk_fma_f32 v[20:21], v[44:45], v[26:27], v[20:21] op_sel:[0,1,0]
	v_pk_fma_f32 v[14:15], v[44:45], v[30:31], v[14:15] op_sel:[0,1,0]
	ds_load_2addr_b32 v[26:27], v24 offset0:192 offset1:208
	v_dual_mov_b32 v30, v29 :: v_dual_mov_b32 v44, v33
	s_wait_dscnt 0x6
	v_pk_fma_f32 v[20:21], v[46:47], v[28:29], v[20:21] op_sel_hi:[1,0,1]
	v_pk_fma_f32 v[14:15], v[46:47], v[32:33], v[14:15] op_sel_hi:[1,0,1]
	ds_load_2addr_b32 v[28:29], v24 offset0:224 offset1:240
	s_wait_dscnt 0x3
	v_mov_b32_e32 v32, v41
	s_wait_dscnt 0x0
	v_pk_fma_f32 v[20:21], v[48:49], v[30:31], v[20:21] op_sel_hi:[1,0,1]
	v_pk_fma_f32 v[14:15], v[48:49], v[44:45], v[14:15] op_sel_hi:[1,0,1]
	v_mov_b32_e32 v30, v37
	s_barrier_signal -1
	s_barrier_wait -1
	v_pk_fma_f32 v[20:21], v[50:51], v[34:35], v[20:21] op_sel_hi:[1,0,1]
	v_pk_fma_f32 v[14:15], v[50:51], v[38:39], v[14:15] op_sel_hi:[1,0,1]
	s_delay_alu instid0(VALU_DEP_2) | instskip(NEXT) | instid1(VALU_DEP_2)
	v_pk_fma_f32 v[20:21], v[42:43], v[34:35], v[20:21] op_sel:[0,1,0]
	v_pk_fma_f32 v[14:15], v[42:43], v[38:39], v[14:15] op_sel:[0,1,0]
	s_delay_alu instid0(VALU_DEP_2) | instskip(NEXT) | instid1(VALU_DEP_2)
	v_pk_fma_f32 v[20:21], v[26:27], v[36:37], v[20:21] op_sel_hi:[1,0,1]
	v_pk_fma_f32 v[14:15], v[26:27], v[40:41], v[14:15] op_sel_hi:[1,0,1]
	s_delay_alu instid0(VALU_DEP_2) | instskip(NEXT) | instid1(VALU_DEP_2)
	v_pk_fma_f32 v[20:21], v[28:29], v[30:31], v[20:21] op_sel_hi:[1,0,1]
	v_pk_fma_f32 v[14:15], v[28:29], v[32:33], v[14:15] op_sel_hi:[1,0,1]
	s_cbranch_scc0 .LBB5_13
.LBB5_9:                                ;   Parent Loop BB5_6 Depth=1
                                        ; =>  This Inner Loop Header: Depth=2
	v_add_nc_u32_e32 v26, s12, v22
	s_delay_alu instid0(VALU_DEP_1) | instskip(SKIP_2) | instid1(SALU_CYCLE_1)
	v_cmp_gt_i32_e32 vcc_lo, s21, v26
	v_mov_b32_e32 v26, 0
	s_and_b32 s15, s0, vcc_lo
	s_and_saveexec_b32 s13, s15
	s_cbranch_execz .LBB5_11
; %bb.10:                               ;   in Loop: Header=BB5_9 Depth=2
	global_load_b32 v26, v[16:17], off
.LBB5_11:                               ;   in Loop: Header=BB5_9 Depth=2
	s_wait_xcnt 0x0
	s_or_b32 exec_lo, exec_lo, s13
	v_add_nc_u32_e32 v27, s12, v0
	s_wait_loadcnt 0x0
	ds_store_b32 v1, v26
	v_cmp_gt_i32_e32 vcc_lo, s21, v27
	v_mov_b32_e32 v27, 0
	s_and_b32 s15, vcc_lo, s1
	s_delay_alu instid0(SALU_CYCLE_1)
	s_and_saveexec_b32 s13, s15
	s_cbranch_execz .LBB5_8
; %bb.12:                               ;   in Loop: Header=BB5_9 Depth=2
	global_load_b32 v27, v[18:19], off
	s_branch .LBB5_8
.LBB5_13:                               ;   in Loop: Header=BB5_6 Depth=1
	s_mul_u64 s[12:13], s[8:9], s[6:7]
	s_delay_alu instid0(SALU_CYCLE_1) | instskip(NEXT) | instid1(SALU_CYCLE_1)
	s_lshl_b64 s[12:13], s[12:13], 2
	s_add_nc_u64 s[12:13], s[16:17], s[12:13]
	s_delay_alu instid0(SALU_CYCLE_1)
	v_lshl_add_u64 v[16:17], v[4:5], 2, s[12:13]
	s_and_saveexec_b32 s15, s26
	s_cbranch_execz .LBB5_17
; %bb.14:                               ;   in Loop: Header=BB5_6 Depth=1
	v_mul_f32_e32 v20, s24, v20
	s_delay_alu instid0(VALU_DEP_2)
	v_lshl_add_u64 v[18:19], v[2:3], 2, v[16:17]
	s_and_b32 vcc_lo, exec_lo, s18
	s_cbranch_vccz .LBB5_28
; %bb.15:                               ;   in Loop: Header=BB5_6 Depth=1
	global_load_b32 v26, v[18:19], off
	s_wait_loadcnt 0x0
	v_fma_f32 v26, s19, v26, v20
	global_store_b32 v[18:19], v26, off
	s_cbranch_execnz .LBB5_17
.LBB5_16:                               ;   in Loop: Header=BB5_6 Depth=1
	global_store_b32 v[18:19], v20, off
.LBB5_17:                               ;   in Loop: Header=BB5_6 Depth=1
	s_wait_xcnt 0x0
	s_or_b32 exec_lo, exec_lo, s15
	s_and_saveexec_b32 s15, s27
	s_cbranch_execz .LBB5_21
; %bb.18:                               ;   in Loop: Header=BB5_6 Depth=1
	v_mul_f32_e32 v18, s24, v21
	v_lshl_add_u64 v[16:17], v[8:9], 2, v[16:17]
	s_and_not1_b32 vcc_lo, exec_lo, s18
	s_cbranch_vccnz .LBB5_29
; %bb.19:                               ;   in Loop: Header=BB5_6 Depth=1
	global_load_b32 v19, v[16:17], off
	s_wait_loadcnt 0x0
	v_fma_f32 v19, s19, v19, v18
	global_store_b32 v[16:17], v19, off
	s_cbranch_execnz .LBB5_21
.LBB5_20:                               ;   in Loop: Header=BB5_6 Depth=1
	global_store_b32 v[16:17], v18, off
.LBB5_21:                               ;   in Loop: Header=BB5_6 Depth=1
	s_wait_xcnt 0x0
	s_or_b32 exec_lo, exec_lo, s15
	v_lshl_add_u64 v[16:17], v[6:7], 2, s[12:13]
	s_and_saveexec_b32 s12, s20
	s_cbranch_execz .LBB5_25
; %bb.22:                               ;   in Loop: Header=BB5_6 Depth=1
	v_mul_f32_e32 v14, s24, v14
	s_delay_alu instid0(VALU_DEP_2)
	v_lshl_add_u64 v[18:19], v[2:3], 2, v[16:17]
	s_and_not1_b32 vcc_lo, exec_lo, s18
	s_cbranch_vccnz .LBB5_30
; %bb.23:                               ;   in Loop: Header=BB5_6 Depth=1
	global_load_b32 v20, v[18:19], off
	s_wait_loadcnt 0x0
	v_fma_f32 v20, s19, v20, v14
	global_store_b32 v[18:19], v20, off
	s_cbranch_execnz .LBB5_25
.LBB5_24:                               ;   in Loop: Header=BB5_6 Depth=1
	global_store_b32 v[18:19], v14, off
.LBB5_25:                               ;   in Loop: Header=BB5_6 Depth=1
	s_wait_xcnt 0x0
	s_or_b32 exec_lo, exec_lo, s12
	s_and_saveexec_b32 s12, s28
	s_cbranch_execz .LBB5_5
; %bb.26:                               ;   in Loop: Header=BB5_6 Depth=1
	v_mul_f32_e32 v18, s24, v15
	v_lshl_add_u64 v[14:15], v[8:9], 2, v[16:17]
	s_and_not1_b32 vcc_lo, exec_lo, s18
	s_cbranch_vccnz .LBB5_31
; %bb.27:                               ;   in Loop: Header=BB5_6 Depth=1
	global_load_b32 v16, v[14:15], off
	s_wait_loadcnt 0x0
	v_fma_f32 v16, s19, v16, v18
	global_store_b32 v[14:15], v16, off
	s_cbranch_execnz .LBB5_5
	s_branch .LBB5_32
.LBB5_28:                               ;   in Loop: Header=BB5_6 Depth=1
	s_branch .LBB5_16
.LBB5_29:                               ;   in Loop: Header=BB5_6 Depth=1
	s_branch .LBB5_20
.LBB5_30:                               ;   in Loop: Header=BB5_6 Depth=1
	s_branch .LBB5_24
.LBB5_31:                               ;   in Loop: Header=BB5_6 Depth=1
.LBB5_32:                               ;   in Loop: Header=BB5_6 Depth=1
	global_store_b32 v[14:15], v18, off
	s_branch .LBB5_5
.LBB5_33:
	s_endpgm
	.section	.rodata,"a",@progbits
	.p2align	6, 0x0
	.amdhsa_kernel _ZL29rocblas_internal_gemmt_kernelIiLi16ELi32ELi8ELc84ELc67ELc85ELb0ELb0EfPKfS1_PfEviT_T9_T10_S3_lS5_S3_lS4_T11_S3_li
		.amdhsa_group_segment_fixed_size 2048
		.amdhsa_private_segment_fixed_size 0
		.amdhsa_kernarg_size 100
		.amdhsa_user_sgpr_count 2
		.amdhsa_user_sgpr_dispatch_ptr 0
		.amdhsa_user_sgpr_queue_ptr 0
		.amdhsa_user_sgpr_kernarg_segment_ptr 1
		.amdhsa_user_sgpr_dispatch_id 0
		.amdhsa_user_sgpr_kernarg_preload_length 0
		.amdhsa_user_sgpr_kernarg_preload_offset 0
		.amdhsa_user_sgpr_private_segment_size 0
		.amdhsa_wavefront_size32 1
		.amdhsa_uses_dynamic_stack 0
		.amdhsa_enable_private_segment 0
		.amdhsa_system_sgpr_workgroup_id_x 1
		.amdhsa_system_sgpr_workgroup_id_y 1
		.amdhsa_system_sgpr_workgroup_id_z 1
		.amdhsa_system_sgpr_workgroup_info 0
		.amdhsa_system_vgpr_workitem_id 1
		.amdhsa_next_free_vgpr 52
		.amdhsa_next_free_sgpr 31
		.amdhsa_named_barrier_count 0
		.amdhsa_reserve_vcc 1
		.amdhsa_float_round_mode_32 0
		.amdhsa_float_round_mode_16_64 0
		.amdhsa_float_denorm_mode_32 3
		.amdhsa_float_denorm_mode_16_64 3
		.amdhsa_fp16_overflow 0
		.amdhsa_memory_ordered 1
		.amdhsa_forward_progress 1
		.amdhsa_inst_pref_size 13
		.amdhsa_round_robin_scheduling 0
		.amdhsa_exception_fp_ieee_invalid_op 0
		.amdhsa_exception_fp_denorm_src 0
		.amdhsa_exception_fp_ieee_div_zero 0
		.amdhsa_exception_fp_ieee_overflow 0
		.amdhsa_exception_fp_ieee_underflow 0
		.amdhsa_exception_fp_ieee_inexact 0
		.amdhsa_exception_int_div_zero 0
	.end_amdhsa_kernel
	.section	.text._ZL29rocblas_internal_gemmt_kernelIiLi16ELi32ELi8ELc84ELc67ELc85ELb0ELb0EfPKfS1_PfEviT_T9_T10_S3_lS5_S3_lS4_T11_S3_li,"axG",@progbits,_ZL29rocblas_internal_gemmt_kernelIiLi16ELi32ELi8ELc84ELc67ELc85ELb0ELb0EfPKfS1_PfEviT_T9_T10_S3_lS5_S3_lS4_T11_S3_li,comdat
.Lfunc_end5:
	.size	_ZL29rocblas_internal_gemmt_kernelIiLi16ELi32ELi8ELc84ELc67ELc85ELb0ELb0EfPKfS1_PfEviT_T9_T10_S3_lS5_S3_lS4_T11_S3_li, .Lfunc_end5-_ZL29rocblas_internal_gemmt_kernelIiLi16ELi32ELi8ELc84ELc67ELc85ELb0ELb0EfPKfS1_PfEviT_T9_T10_S3_lS5_S3_lS4_T11_S3_li
                                        ; -- End function
	.set _ZL29rocblas_internal_gemmt_kernelIiLi16ELi32ELi8ELc84ELc67ELc85ELb0ELb0EfPKfS1_PfEviT_T9_T10_S3_lS5_S3_lS4_T11_S3_li.num_vgpr, 52
	.set _ZL29rocblas_internal_gemmt_kernelIiLi16ELi32ELi8ELc84ELc67ELc85ELb0ELb0EfPKfS1_PfEviT_T9_T10_S3_lS5_S3_lS4_T11_S3_li.num_agpr, 0
	.set _ZL29rocblas_internal_gemmt_kernelIiLi16ELi32ELi8ELc84ELc67ELc85ELb0ELb0EfPKfS1_PfEviT_T9_T10_S3_lS5_S3_lS4_T11_S3_li.numbered_sgpr, 31
	.set _ZL29rocblas_internal_gemmt_kernelIiLi16ELi32ELi8ELc84ELc67ELc85ELb0ELb0EfPKfS1_PfEviT_T9_T10_S3_lS5_S3_lS4_T11_S3_li.num_named_barrier, 0
	.set _ZL29rocblas_internal_gemmt_kernelIiLi16ELi32ELi8ELc84ELc67ELc85ELb0ELb0EfPKfS1_PfEviT_T9_T10_S3_lS5_S3_lS4_T11_S3_li.private_seg_size, 0
	.set _ZL29rocblas_internal_gemmt_kernelIiLi16ELi32ELi8ELc84ELc67ELc85ELb0ELb0EfPKfS1_PfEviT_T9_T10_S3_lS5_S3_lS4_T11_S3_li.uses_vcc, 1
	.set _ZL29rocblas_internal_gemmt_kernelIiLi16ELi32ELi8ELc84ELc67ELc85ELb0ELb0EfPKfS1_PfEviT_T9_T10_S3_lS5_S3_lS4_T11_S3_li.uses_flat_scratch, 0
	.set _ZL29rocblas_internal_gemmt_kernelIiLi16ELi32ELi8ELc84ELc67ELc85ELb0ELb0EfPKfS1_PfEviT_T9_T10_S3_lS5_S3_lS4_T11_S3_li.has_dyn_sized_stack, 0
	.set _ZL29rocblas_internal_gemmt_kernelIiLi16ELi32ELi8ELc84ELc67ELc85ELb0ELb0EfPKfS1_PfEviT_T9_T10_S3_lS5_S3_lS4_T11_S3_li.has_recursion, 0
	.set _ZL29rocblas_internal_gemmt_kernelIiLi16ELi32ELi8ELc84ELc67ELc85ELb0ELb0EfPKfS1_PfEviT_T9_T10_S3_lS5_S3_lS4_T11_S3_li.has_indirect_call, 0
	.section	.AMDGPU.csdata,"",@progbits
; Kernel info:
; codeLenInByte = 1648
; TotalNumSgprs: 33
; NumVgprs: 52
; ScratchSize: 0
; MemoryBound: 0
; FloatMode: 240
; IeeeMode: 1
; LDSByteSize: 2048 bytes/workgroup (compile time only)
; SGPRBlocks: 0
; VGPRBlocks: 3
; NumSGPRsForWavesPerEU: 33
; NumVGPRsForWavesPerEU: 52
; NamedBarCnt: 0
; Occupancy: 16
; WaveLimiterHint : 0
; COMPUTE_PGM_RSRC2:SCRATCH_EN: 0
; COMPUTE_PGM_RSRC2:USER_SGPR: 2
; COMPUTE_PGM_RSRC2:TRAP_HANDLER: 0
; COMPUTE_PGM_RSRC2:TGID_X_EN: 1
; COMPUTE_PGM_RSRC2:TGID_Y_EN: 1
; COMPUTE_PGM_RSRC2:TGID_Z_EN: 1
; COMPUTE_PGM_RSRC2:TIDIG_COMP_CNT: 1
	.section	.text._ZL29rocblas_internal_gemmt_kernelIiLi16ELi32ELi8ELc67ELc78ELc85ELb0ELb0EfPKfS1_PfEviT_T9_T10_S3_lS5_S3_lS4_T11_S3_li,"axG",@progbits,_ZL29rocblas_internal_gemmt_kernelIiLi16ELi32ELi8ELc67ELc78ELc85ELb0ELb0EfPKfS1_PfEviT_T9_T10_S3_lS5_S3_lS4_T11_S3_li,comdat
	.globl	_ZL29rocblas_internal_gemmt_kernelIiLi16ELi32ELi8ELc67ELc78ELc85ELb0ELb0EfPKfS1_PfEviT_T9_T10_S3_lS5_S3_lS4_T11_S3_li ; -- Begin function _ZL29rocblas_internal_gemmt_kernelIiLi16ELi32ELi8ELc67ELc78ELc85ELb0ELb0EfPKfS1_PfEviT_T9_T10_S3_lS5_S3_lS4_T11_S3_li
	.p2align	8
	.type	_ZL29rocblas_internal_gemmt_kernelIiLi16ELi32ELi8ELc67ELc78ELc85ELb0ELb0EfPKfS1_PfEviT_T9_T10_S3_lS5_S3_lS4_T11_S3_li,@function
_ZL29rocblas_internal_gemmt_kernelIiLi16ELi32ELi8ELc67ELc78ELc85ELb0ELb0EfPKfS1_PfEviT_T9_T10_S3_lS5_S3_lS4_T11_S3_li: ; @_ZL29rocblas_internal_gemmt_kernelIiLi16ELi32ELi8ELc67ELc78ELc85ELb0ELb0EfPKfS1_PfEviT_T9_T10_S3_lS5_S3_lS4_T11_S3_li
; %bb.0:
	s_clause 0x1
	s_load_b128 s[8:11], s[0:1], 0x38
	s_load_b128 s[4:7], s[0:1], 0x8
	s_wait_kmcnt 0x0
	s_load_b32 s19, s[10:11], 0x0
	s_load_b64 s[20:21], s[0:1], 0x0
	s_load_b32 s24, s[4:5], 0x0
	s_wait_kmcnt 0x0
	s_cmp_neq_f32 s19, 1.0
	s_cselect_b32 s2, -1, 0
	s_delay_alu instid0(SALU_CYCLE_1)
	s_and_b32 vcc_lo, exec_lo, s2
	s_cbranch_vccnz .LBB6_2
; %bb.1:
	s_cmp_lg_u32 s21, 0
	s_cselect_b32 s2, -1, 0
	s_cmp_neq_f32 s24, 0
	s_cselect_b32 s3, -1, 0
	s_delay_alu instid0(SALU_CYCLE_1)
	s_and_b32 s2, s2, s3
.LBB6_2:
	s_delay_alu instid0(SALU_CYCLE_1)
	s_and_not1_b32 vcc_lo, exec_lo, s2
	s_cbranch_vccnz .LBB6_33
; %bb.3:
	s_load_b32 s25, s[0:1], 0x60
	s_bfe_u32 s2, ttmp6, 0x40014
	s_lshr_b32 s3, ttmp7, 16
	s_add_co_i32 s2, s2, 1
	s_bfe_u32 s4, ttmp6, 0x40008
	s_mul_i32 s2, s3, s2
	s_getreg_b32 s26, hwreg(HW_REG_IB_STS2, 6, 4)
	s_add_co_i32 s4, s4, s2
	s_cmp_eq_u32 s26, 0
	s_mov_b32 s11, 0
	s_cselect_b32 s10, s3, s4
	s_wait_kmcnt 0x0
	s_cmp_ge_u32 s10, s25
	s_cbranch_scc1 .LBB6_33
; %bb.4:
	s_clause 0x3
	s_load_b32 s4, s[0:1], 0x18
	s_load_b32 s2, s[0:1], 0x30
	s_load_b96 s[16:18], s[0:1], 0x48
	s_load_b128 s[12:15], s[0:1], 0x20
	v_and_b32_e32 v6, 0x3ff, v0
	v_bfe_u32 v7, v0, 10, 10
	s_load_b64 s[22:23], s[0:1], 0x58
	s_wait_xcnt 0x0
	s_bfe_u32 s1, ttmp6, 0x4000c
	s_bfe_u32 s3, ttmp6, 0x40010
	s_and_b32 s28, ttmp7, 0xffff
	s_add_co_i32 s1, s1, 1
	s_add_co_i32 s3, s3, 1
	v_lshl_add_u32 v1, v7, 4, v6
	s_and_b32 s0, ttmp6, 15
	s_mul_i32 s1, ttmp9, s1
	s_mul_i32 s29, s28, s3
	s_bfe_u32 s30, ttmp6, 0x40004
	s_add_co_i32 s0, s0, s1
	s_add_co_i32 s30, s30, s29
	v_dual_lshrrev_b32 v20, 5, v1 :: v_dual_lshrrev_b32 v17, 3, v1
	s_wait_kmcnt 0x0
	s_ashr_i32 s5, s4, 31
	s_ashr_i32 s3, s2, 31
	;; [unrolled: 1-line block ×3, first 2 shown]
	s_cmp_eq_u32 s26, 0
	v_and_b32_e32 v1, 31, v1
	s_cselect_b32 s0, ttmp9, s0
	s_cselect_b32 s1, s28, s30
	s_lshl_b32 s28, s0, 5
	s_lshl_b32 s0, s1, 5
	s_delay_alu instid0(SALU_CYCLE_1) | instskip(SKIP_4) | instid1(VALU_DEP_2)
	v_dual_add_nc_u32 v4, s0, v17 :: v_dual_bitop2_b32 v21, 7, v0 bitop3:0x40
	v_or_b32_e32 v2, s28, v1
	s_mov_b32 s26, s18
	s_cmp_neq_f32 s24, 0
	v_lshl_add_u32 v25, v7, 5, 0x400
	v_dual_ashrrev_i32 v5, 31, v4 :: v_dual_ashrrev_i32 v3, 31, v2
	v_dual_add_nc_u32 v8, s0, v7 :: v_dual_lshlrev_b32 v0, 2, v1
	v_lshlrev_b32_e32 v16, 2, v21
	s_delay_alu instid0(VALU_DEP_3) | instskip(NEXT) | instid1(VALU_DEP_4)
	v_mul_u64_e32 v[12:13], s[2:3], v[4:5]
	v_mul_u64_e32 v[10:11], s[4:5], v[2:3]
	s_delay_alu instid0(VALU_DEP_4) | instskip(SKIP_3) | instid1(VALU_DEP_4)
	v_dual_add_nc_u32 v14, 16, v8 :: v_dual_ashrrev_i32 v9, 31, v8
	v_cmp_gt_i32_e64 s0, s20, v2
	v_lshl_or_b32 v22, v20, 7, v0
	v_cmp_gt_i32_e64 s1, s20, v4
	v_ashrrev_i32_e32 v15, 31, v14
	v_mul_u64_e32 v[0:1], s[26:27], v[8:9]
	v_dual_add_nc_u32 v4, s28, v6 :: v_dual_lshlrev_b32 v24, 2, v6
	s_cselect_b32 s29, -1, 0
	s_delay_alu instid0(VALU_DEP_3)
	v_mul_u64_e32 v[2:3], s[26:27], v[14:15]
	s_cmp_gt_i32 s21, 0
	v_lshl_or_b32 v5, v17, 5, v16
	v_cmp_gt_i32_e32 vcc_lo, s20, v8
	v_cmp_le_i32_e64 s2, v4, v8
	v_dual_mov_b32 v9, 0 :: v_dual_add_nc_u32 v6, 16, v4
	s_cselect_b32 s5, -1, 0
	s_cmp_neq_f32 s19, 0
	v_add_nc_u32_e32 v23, 0x400, v5
	s_delay_alu instid0(VALU_DEP_2)
	v_dual_ashrrev_i32 v5, 31, v4 :: v_dual_mov_b32 v17, v9
	s_cselect_b32 s18, -1, 0
	s_and_b32 s26, vcc_lo, s2
	v_cmp_le_i32_e64 s2, v6, v8
	v_dual_lshlrev_b32 v8, 2, v20 :: v_dual_ashrrev_i32 v7, 31, v6
	v_cmp_gt_i32_e64 s3, s20, v14
	v_cmp_le_i32_e64 s4, v4, v14
	s_and_b32 s20, vcc_lo, s2
	v_cmp_le_i32_e32 vcc_lo, v6, v14
	v_lshl_add_u64 v[8:9], v[10:11], 2, v[8:9]
	v_lshl_add_u64 v[10:11], v[12:13], 2, v[16:17]
	s_and_b32 s27, s3, s4
	s_delay_alu instid0(VALU_DEP_2) | instskip(NEXT) | instid1(VALU_DEP_2)
	v_add_nc_u64_e32 v[8:9], s[6:7], v[8:9]
	v_add_nc_u64_e32 v[10:11], s[14:15], v[10:11]
	s_and_b32 s14, s29, s5
	s_and_b32 s15, s3, vcc_lo
	s_lshl_b64 s[2:3], s[12:13], 2
	s_lshl_b64 s[4:5], s[8:9], 2
	s_branch .LBB6_6
.LBB6_5:                                ;   in Loop: Header=BB6_6 Depth=1
	s_wait_xcnt 0x0
	s_or_b32 exec_lo, exec_lo, s6
	s_add_co_i32 s10, s10, 0x10000
	s_delay_alu instid0(SALU_CYCLE_1)
	s_cmp_lt_u32 s10, s25
	s_cbranch_scc0 .LBB6_33
.LBB6_6:                                ; =>This Loop Header: Depth=1
                                        ;     Child Loop BB6_9 Depth 2
	v_dual_mov_b32 v19, 0 :: v_dual_mov_b32 v18, 0
	v_dual_mov_b32 v13, 0 :: v_dual_mov_b32 v12, 0
	s_and_not1_b32 vcc_lo, exec_lo, s14
	s_cbranch_vccnz .LBB6_13
; %bb.7:                                ;   in Loop: Header=BB6_6 Depth=1
	v_mad_nc_u64_u32 v[14:15], s2, s10, v[8:9]
	v_mad_nc_u64_u32 v[16:17], s4, s10, v[10:11]
	v_mov_b32_e32 v12, 0
	s_mov_b32 s6, 0
	s_delay_alu instid0(VALU_DEP_1)
	v_dual_mov_b32 v13, v12 :: v_dual_mov_b32 v18, v12
	v_mov_b32_e32 v19, v12
	v_mad_u32 v15, s3, s10, v15
	v_mad_u32 v17, s5, s10, v17
	s_branch .LBB6_9
.LBB6_8:                                ;   in Loop: Header=BB6_9 Depth=2
	s_wait_xcnt 0x0
	s_or_b32 exec_lo, exec_lo, s7
	s_wait_loadcnt 0x0
	ds_store_b32 v23, v27
	s_wait_dscnt 0x0
	s_barrier_signal -1
	s_barrier_wait -1
	ds_load_b128 v[26:29], v25
	ds_load_2addr_b32 v[42:43], v24 offset1:16
	ds_load_b128 v[30:33], v25 offset:512
	ds_load_2addr_b32 v[44:45], v24 offset0:32 offset1:48
	ds_load_2addr_b32 v[46:47], v24 offset0:64 offset1:80
	;; [unrolled: 1-line block ×3, first 2 shown]
	ds_load_b128 v[34:37], v25 offset:16
	ds_load_2addr_b32 v[50:51], v24 offset0:128 offset1:144
	ds_load_b128 v[38:41], v25 offset:528
	v_add_nc_u64_e32 v[14:15], 32, v[14:15]
	v_add_nc_u64_e32 v[16:17], 32, v[16:17]
	s_add_co_i32 s6, s6, 8
	s_delay_alu instid0(SALU_CYCLE_1)
	s_cmp_lt_i32 s6, s21
	s_wait_dscnt 0x7
	v_pk_fma_f32 v[18:19], v[42:43], v[26:27], v[18:19] op_sel_hi:[1,0,1]
	s_wait_dscnt 0x6
	v_pk_fma_f32 v[12:13], v[42:43], v[30:31], v[12:13] op_sel_hi:[1,0,1]
	ds_load_2addr_b32 v[42:43], v24 offset0:160 offset1:176
	s_wait_dscnt 0x6
	v_pk_fma_f32 v[18:19], v[44:45], v[26:27], v[18:19] op_sel:[0,1,0]
	v_pk_fma_f32 v[12:13], v[44:45], v[30:31], v[12:13] op_sel:[0,1,0]
	ds_load_2addr_b32 v[26:27], v24 offset0:192 offset1:208
	v_dual_mov_b32 v30, v29 :: v_dual_mov_b32 v44, v33
	s_wait_dscnt 0x6
	v_pk_fma_f32 v[18:19], v[46:47], v[28:29], v[18:19] op_sel_hi:[1,0,1]
	v_pk_fma_f32 v[12:13], v[46:47], v[32:33], v[12:13] op_sel_hi:[1,0,1]
	ds_load_2addr_b32 v[28:29], v24 offset0:224 offset1:240
	s_wait_dscnt 0x3
	v_mov_b32_e32 v32, v41
	s_wait_dscnt 0x0
	v_pk_fma_f32 v[18:19], v[48:49], v[30:31], v[18:19] op_sel_hi:[1,0,1]
	v_pk_fma_f32 v[12:13], v[48:49], v[44:45], v[12:13] op_sel_hi:[1,0,1]
	v_mov_b32_e32 v30, v37
	s_barrier_signal -1
	s_barrier_wait -1
	v_pk_fma_f32 v[18:19], v[50:51], v[34:35], v[18:19] op_sel_hi:[1,0,1]
	v_pk_fma_f32 v[12:13], v[50:51], v[38:39], v[12:13] op_sel_hi:[1,0,1]
	s_delay_alu instid0(VALU_DEP_2) | instskip(NEXT) | instid1(VALU_DEP_2)
	v_pk_fma_f32 v[18:19], v[42:43], v[34:35], v[18:19] op_sel:[0,1,0]
	v_pk_fma_f32 v[12:13], v[42:43], v[38:39], v[12:13] op_sel:[0,1,0]
	s_delay_alu instid0(VALU_DEP_2) | instskip(NEXT) | instid1(VALU_DEP_2)
	v_pk_fma_f32 v[18:19], v[26:27], v[36:37], v[18:19] op_sel_hi:[1,0,1]
	v_pk_fma_f32 v[12:13], v[26:27], v[40:41], v[12:13] op_sel_hi:[1,0,1]
	s_delay_alu instid0(VALU_DEP_2) | instskip(NEXT) | instid1(VALU_DEP_2)
	v_pk_fma_f32 v[18:19], v[28:29], v[30:31], v[18:19] op_sel_hi:[1,0,1]
	v_pk_fma_f32 v[12:13], v[28:29], v[32:33], v[12:13] op_sel_hi:[1,0,1]
	s_cbranch_scc0 .LBB6_13
.LBB6_9:                                ;   Parent Loop BB6_6 Depth=1
                                        ; =>  This Inner Loop Header: Depth=2
	v_add_nc_u32_e32 v26, s6, v20
	s_delay_alu instid0(VALU_DEP_1) | instskip(SKIP_2) | instid1(SALU_CYCLE_1)
	v_cmp_gt_i32_e32 vcc_lo, s21, v26
	v_mov_b32_e32 v26, 0
	s_and_b32 s8, s0, vcc_lo
	s_and_saveexec_b32 s7, s8
	s_cbranch_execz .LBB6_11
; %bb.10:                               ;   in Loop: Header=BB6_9 Depth=2
	global_load_b32 v26, v[14:15], off
.LBB6_11:                               ;   in Loop: Header=BB6_9 Depth=2
	s_wait_xcnt 0x0
	s_or_b32 exec_lo, exec_lo, s7
	v_add_nc_u32_e32 v27, s6, v21
	s_wait_loadcnt 0x0
	ds_store_b32 v22, v26
	v_cmp_gt_i32_e32 vcc_lo, s21, v27
	v_mov_b32_e32 v27, 0
	s_and_b32 s8, vcc_lo, s1
	s_delay_alu instid0(SALU_CYCLE_1)
	s_and_saveexec_b32 s7, s8
	s_cbranch_execz .LBB6_8
; %bb.12:                               ;   in Loop: Header=BB6_9 Depth=2
	global_load_b32 v27, v[16:17], off
	s_branch .LBB6_8
.LBB6_13:                               ;   in Loop: Header=BB6_6 Depth=1
	s_mul_u64 s[6:7], s[22:23], s[10:11]
	s_delay_alu instid0(SALU_CYCLE_1) | instskip(NEXT) | instid1(SALU_CYCLE_1)
	s_lshl_b64 s[6:7], s[6:7], 2
	s_add_nc_u64 s[6:7], s[16:17], s[6:7]
	s_delay_alu instid0(SALU_CYCLE_1)
	v_lshl_add_u64 v[14:15], v[0:1], 2, s[6:7]
	s_and_saveexec_b32 s8, s26
	s_cbranch_execz .LBB6_17
; %bb.14:                               ;   in Loop: Header=BB6_6 Depth=1
	v_mul_f32_e32 v18, s24, v18
	s_delay_alu instid0(VALU_DEP_2)
	v_lshl_add_u64 v[16:17], v[4:5], 2, v[14:15]
	s_and_b32 vcc_lo, exec_lo, s18
	s_cbranch_vccz .LBB6_28
; %bb.15:                               ;   in Loop: Header=BB6_6 Depth=1
	global_load_b32 v26, v[16:17], off
	s_wait_loadcnt 0x0
	v_fma_f32 v26, s19, v26, v18
	global_store_b32 v[16:17], v26, off
	s_cbranch_execnz .LBB6_17
.LBB6_16:                               ;   in Loop: Header=BB6_6 Depth=1
	global_store_b32 v[16:17], v18, off
.LBB6_17:                               ;   in Loop: Header=BB6_6 Depth=1
	s_wait_xcnt 0x0
	s_or_b32 exec_lo, exec_lo, s8
	s_and_saveexec_b32 s8, s20
	s_cbranch_execz .LBB6_21
; %bb.18:                               ;   in Loop: Header=BB6_6 Depth=1
	v_mul_f32_e32 v16, s24, v19
	v_lshl_add_u64 v[14:15], v[6:7], 2, v[14:15]
	s_and_not1_b32 vcc_lo, exec_lo, s18
	s_cbranch_vccnz .LBB6_29
; %bb.19:                               ;   in Loop: Header=BB6_6 Depth=1
	global_load_b32 v17, v[14:15], off
	s_wait_loadcnt 0x0
	v_fma_f32 v17, s19, v17, v16
	global_store_b32 v[14:15], v17, off
	s_cbranch_execnz .LBB6_21
.LBB6_20:                               ;   in Loop: Header=BB6_6 Depth=1
	global_store_b32 v[14:15], v16, off
.LBB6_21:                               ;   in Loop: Header=BB6_6 Depth=1
	s_wait_xcnt 0x0
	s_or_b32 exec_lo, exec_lo, s8
	v_lshl_add_u64 v[14:15], v[2:3], 2, s[6:7]
	s_and_saveexec_b32 s6, s27
	s_cbranch_execz .LBB6_25
; %bb.22:                               ;   in Loop: Header=BB6_6 Depth=1
	v_mul_f32_e32 v12, s24, v12
	s_delay_alu instid0(VALU_DEP_2)
	v_lshl_add_u64 v[16:17], v[4:5], 2, v[14:15]
	s_and_not1_b32 vcc_lo, exec_lo, s18
	s_cbranch_vccnz .LBB6_30
; %bb.23:                               ;   in Loop: Header=BB6_6 Depth=1
	global_load_b32 v18, v[16:17], off
	s_wait_loadcnt 0x0
	v_fma_f32 v18, s19, v18, v12
	global_store_b32 v[16:17], v18, off
	s_cbranch_execnz .LBB6_25
.LBB6_24:                               ;   in Loop: Header=BB6_6 Depth=1
	global_store_b32 v[16:17], v12, off
.LBB6_25:                               ;   in Loop: Header=BB6_6 Depth=1
	s_wait_xcnt 0x0
	s_or_b32 exec_lo, exec_lo, s6
	s_and_saveexec_b32 s6, s15
	s_cbranch_execz .LBB6_5
; %bb.26:                               ;   in Loop: Header=BB6_6 Depth=1
	v_mul_f32_e32 v16, s24, v13
	v_lshl_add_u64 v[12:13], v[6:7], 2, v[14:15]
	s_and_not1_b32 vcc_lo, exec_lo, s18
	s_cbranch_vccnz .LBB6_31
; %bb.27:                               ;   in Loop: Header=BB6_6 Depth=1
	global_load_b32 v14, v[12:13], off
	s_wait_loadcnt 0x0
	v_fma_f32 v14, s19, v14, v16
	global_store_b32 v[12:13], v14, off
	s_cbranch_execnz .LBB6_5
	s_branch .LBB6_32
.LBB6_28:                               ;   in Loop: Header=BB6_6 Depth=1
	s_branch .LBB6_16
.LBB6_29:                               ;   in Loop: Header=BB6_6 Depth=1
	s_branch .LBB6_20
.LBB6_30:                               ;   in Loop: Header=BB6_6 Depth=1
	s_branch .LBB6_24
.LBB6_31:                               ;   in Loop: Header=BB6_6 Depth=1
.LBB6_32:                               ;   in Loop: Header=BB6_6 Depth=1
	global_store_b32 v[12:13], v16, off
	s_branch .LBB6_5
.LBB6_33:
	s_endpgm
	.section	.rodata,"a",@progbits
	.p2align	6, 0x0
	.amdhsa_kernel _ZL29rocblas_internal_gemmt_kernelIiLi16ELi32ELi8ELc67ELc78ELc85ELb0ELb0EfPKfS1_PfEviT_T9_T10_S3_lS5_S3_lS4_T11_S3_li
		.amdhsa_group_segment_fixed_size 2048
		.amdhsa_private_segment_fixed_size 0
		.amdhsa_kernarg_size 100
		.amdhsa_user_sgpr_count 2
		.amdhsa_user_sgpr_dispatch_ptr 0
		.amdhsa_user_sgpr_queue_ptr 0
		.amdhsa_user_sgpr_kernarg_segment_ptr 1
		.amdhsa_user_sgpr_dispatch_id 0
		.amdhsa_user_sgpr_kernarg_preload_length 0
		.amdhsa_user_sgpr_kernarg_preload_offset 0
		.amdhsa_user_sgpr_private_segment_size 0
		.amdhsa_wavefront_size32 1
		.amdhsa_uses_dynamic_stack 0
		.amdhsa_enable_private_segment 0
		.amdhsa_system_sgpr_workgroup_id_x 1
		.amdhsa_system_sgpr_workgroup_id_y 1
		.amdhsa_system_sgpr_workgroup_id_z 1
		.amdhsa_system_sgpr_workgroup_info 0
		.amdhsa_system_vgpr_workitem_id 1
		.amdhsa_next_free_vgpr 52
		.amdhsa_next_free_sgpr 31
		.amdhsa_named_barrier_count 0
		.amdhsa_reserve_vcc 1
		.amdhsa_float_round_mode_32 0
		.amdhsa_float_round_mode_16_64 0
		.amdhsa_float_denorm_mode_32 3
		.amdhsa_float_denorm_mode_16_64 3
		.amdhsa_fp16_overflow 0
		.amdhsa_memory_ordered 1
		.amdhsa_forward_progress 1
		.amdhsa_inst_pref_size 13
		.amdhsa_round_robin_scheduling 0
		.amdhsa_exception_fp_ieee_invalid_op 0
		.amdhsa_exception_fp_denorm_src 0
		.amdhsa_exception_fp_ieee_div_zero 0
		.amdhsa_exception_fp_ieee_overflow 0
		.amdhsa_exception_fp_ieee_underflow 0
		.amdhsa_exception_fp_ieee_inexact 0
		.amdhsa_exception_int_div_zero 0
	.end_amdhsa_kernel
	.section	.text._ZL29rocblas_internal_gemmt_kernelIiLi16ELi32ELi8ELc67ELc78ELc85ELb0ELb0EfPKfS1_PfEviT_T9_T10_S3_lS5_S3_lS4_T11_S3_li,"axG",@progbits,_ZL29rocblas_internal_gemmt_kernelIiLi16ELi32ELi8ELc67ELc78ELc85ELb0ELb0EfPKfS1_PfEviT_T9_T10_S3_lS5_S3_lS4_T11_S3_li,comdat
.Lfunc_end6:
	.size	_ZL29rocblas_internal_gemmt_kernelIiLi16ELi32ELi8ELc67ELc78ELc85ELb0ELb0EfPKfS1_PfEviT_T9_T10_S3_lS5_S3_lS4_T11_S3_li, .Lfunc_end6-_ZL29rocblas_internal_gemmt_kernelIiLi16ELi32ELi8ELc67ELc78ELc85ELb0ELb0EfPKfS1_PfEviT_T9_T10_S3_lS5_S3_lS4_T11_S3_li
                                        ; -- End function
	.set _ZL29rocblas_internal_gemmt_kernelIiLi16ELi32ELi8ELc67ELc78ELc85ELb0ELb0EfPKfS1_PfEviT_T9_T10_S3_lS5_S3_lS4_T11_S3_li.num_vgpr, 52
	.set _ZL29rocblas_internal_gemmt_kernelIiLi16ELi32ELi8ELc67ELc78ELc85ELb0ELb0EfPKfS1_PfEviT_T9_T10_S3_lS5_S3_lS4_T11_S3_li.num_agpr, 0
	.set _ZL29rocblas_internal_gemmt_kernelIiLi16ELi32ELi8ELc67ELc78ELc85ELb0ELb0EfPKfS1_PfEviT_T9_T10_S3_lS5_S3_lS4_T11_S3_li.numbered_sgpr, 31
	.set _ZL29rocblas_internal_gemmt_kernelIiLi16ELi32ELi8ELc67ELc78ELc85ELb0ELb0EfPKfS1_PfEviT_T9_T10_S3_lS5_S3_lS4_T11_S3_li.num_named_barrier, 0
	.set _ZL29rocblas_internal_gemmt_kernelIiLi16ELi32ELi8ELc67ELc78ELc85ELb0ELb0EfPKfS1_PfEviT_T9_T10_S3_lS5_S3_lS4_T11_S3_li.private_seg_size, 0
	.set _ZL29rocblas_internal_gemmt_kernelIiLi16ELi32ELi8ELc67ELc78ELc85ELb0ELb0EfPKfS1_PfEviT_T9_T10_S3_lS5_S3_lS4_T11_S3_li.uses_vcc, 1
	.set _ZL29rocblas_internal_gemmt_kernelIiLi16ELi32ELi8ELc67ELc78ELc85ELb0ELb0EfPKfS1_PfEviT_T9_T10_S3_lS5_S3_lS4_T11_S3_li.uses_flat_scratch, 0
	.set _ZL29rocblas_internal_gemmt_kernelIiLi16ELi32ELi8ELc67ELc78ELc85ELb0ELb0EfPKfS1_PfEviT_T9_T10_S3_lS5_S3_lS4_T11_S3_li.has_dyn_sized_stack, 0
	.set _ZL29rocblas_internal_gemmt_kernelIiLi16ELi32ELi8ELc67ELc78ELc85ELb0ELb0EfPKfS1_PfEviT_T9_T10_S3_lS5_S3_lS4_T11_S3_li.has_recursion, 0
	.set _ZL29rocblas_internal_gemmt_kernelIiLi16ELi32ELi8ELc67ELc78ELc85ELb0ELb0EfPKfS1_PfEviT_T9_T10_S3_lS5_S3_lS4_T11_S3_li.has_indirect_call, 0
	.section	.AMDGPU.csdata,"",@progbits
; Kernel info:
; codeLenInByte = 1652
; TotalNumSgprs: 33
; NumVgprs: 52
; ScratchSize: 0
; MemoryBound: 0
; FloatMode: 240
; IeeeMode: 1
; LDSByteSize: 2048 bytes/workgroup (compile time only)
; SGPRBlocks: 0
; VGPRBlocks: 3
; NumSGPRsForWavesPerEU: 33
; NumVGPRsForWavesPerEU: 52
; NamedBarCnt: 0
; Occupancy: 16
; WaveLimiterHint : 0
; COMPUTE_PGM_RSRC2:SCRATCH_EN: 0
; COMPUTE_PGM_RSRC2:USER_SGPR: 2
; COMPUTE_PGM_RSRC2:TRAP_HANDLER: 0
; COMPUTE_PGM_RSRC2:TGID_X_EN: 1
; COMPUTE_PGM_RSRC2:TGID_Y_EN: 1
; COMPUTE_PGM_RSRC2:TGID_Z_EN: 1
; COMPUTE_PGM_RSRC2:TIDIG_COMP_CNT: 1
	.section	.text._ZL29rocblas_internal_gemmt_kernelIiLi16ELi32ELi8ELc67ELc84ELc85ELb0ELb0EfPKfS1_PfEviT_T9_T10_S3_lS5_S3_lS4_T11_S3_li,"axG",@progbits,_ZL29rocblas_internal_gemmt_kernelIiLi16ELi32ELi8ELc67ELc84ELc85ELb0ELb0EfPKfS1_PfEviT_T9_T10_S3_lS5_S3_lS4_T11_S3_li,comdat
	.globl	_ZL29rocblas_internal_gemmt_kernelIiLi16ELi32ELi8ELc67ELc84ELc85ELb0ELb0EfPKfS1_PfEviT_T9_T10_S3_lS5_S3_lS4_T11_S3_li ; -- Begin function _ZL29rocblas_internal_gemmt_kernelIiLi16ELi32ELi8ELc67ELc84ELc85ELb0ELb0EfPKfS1_PfEviT_T9_T10_S3_lS5_S3_lS4_T11_S3_li
	.p2align	8
	.type	_ZL29rocblas_internal_gemmt_kernelIiLi16ELi32ELi8ELc67ELc84ELc85ELb0ELb0EfPKfS1_PfEviT_T9_T10_S3_lS5_S3_lS4_T11_S3_li,@function
_ZL29rocblas_internal_gemmt_kernelIiLi16ELi32ELi8ELc67ELc84ELc85ELb0ELb0EfPKfS1_PfEviT_T9_T10_S3_lS5_S3_lS4_T11_S3_li: ; @_ZL29rocblas_internal_gemmt_kernelIiLi16ELi32ELi8ELc67ELc84ELc85ELb0ELb0EfPKfS1_PfEviT_T9_T10_S3_lS5_S3_lS4_T11_S3_li
; %bb.0:
	s_clause 0x1
	s_load_b128 s[4:7], s[0:1], 0x38
	s_load_b128 s[8:11], s[0:1], 0x8
	s_wait_kmcnt 0x0
	s_load_b32 s19, s[6:7], 0x0
	s_load_b64 s[20:21], s[0:1], 0x0
	s_load_b32 s24, s[8:9], 0x0
	s_wait_kmcnt 0x0
	s_cmp_neq_f32 s19, 1.0
	s_cselect_b32 s2, -1, 0
	s_delay_alu instid0(SALU_CYCLE_1)
	s_and_b32 vcc_lo, exec_lo, s2
	s_cbranch_vccnz .LBB7_2
; %bb.1:
	s_cmp_lg_u32 s21, 0
	s_cselect_b32 s2, -1, 0
	s_cmp_neq_f32 s24, 0
	s_cselect_b32 s3, -1, 0
	s_delay_alu instid0(SALU_CYCLE_1)
	s_and_b32 s2, s2, s3
.LBB7_2:
	s_delay_alu instid0(SALU_CYCLE_1)
	s_and_not1_b32 vcc_lo, exec_lo, s2
	s_cbranch_vccnz .LBB7_33
; %bb.3:
	s_load_b32 s25, s[0:1], 0x60
	s_bfe_u32 s2, ttmp6, 0x40014
	s_lshr_b32 s3, ttmp7, 16
	s_add_co_i32 s2, s2, 1
	s_bfe_u32 s6, ttmp6, 0x40008
	s_mul_i32 s2, s3, s2
	s_getreg_b32 s26, hwreg(HW_REG_IB_STS2, 6, 4)
	s_add_co_i32 s6, s6, s2
	s_cmp_eq_u32 s26, 0
	s_mov_b32 s7, 0
	s_cselect_b32 s6, s3, s6
	s_wait_kmcnt 0x0
	s_cmp_ge_u32 s6, s25
	s_cbranch_scc1 .LBB7_33
; %bb.4:
	s_clause 0x3
	s_load_b32 s2, s[0:1], 0x18
	s_load_b32 s22, s[0:1], 0x30
	s_load_b96 s[16:18], s[0:1], 0x48
	s_load_b128 s[12:15], s[0:1], 0x20
	v_and_b32_e32 v9, 0x3ff, v0
	v_bfe_u32 v10, v0, 10, 10
	s_load_b64 s[8:9], s[0:1], 0x58
	s_wait_xcnt 0x0
	s_bfe_u32 s1, ttmp6, 0x4000c
	s_bfe_u32 s3, ttmp6, 0x40010
	s_and_b32 s28, ttmp7, 0xffff
	s_add_co_i32 s1, s1, 1
	s_add_co_i32 s3, s3, 1
	v_lshl_add_u32 v1, v10, 4, v9
	s_and_b32 s0, ttmp6, 15
	s_mul_i32 s1, ttmp9, s1
	s_mul_i32 s29, s28, s3
	s_bfe_u32 s30, ttmp6, 0x40004
	s_add_co_i32 s0, s0, s1
	s_add_co_i32 s30, s30, s29
	v_dual_lshrrev_b32 v5, 3, v1 :: v_dual_bitop2_b32 v4, 31, v1 bitop3:0x40
	s_wait_kmcnt 0x0
	s_ashr_i32 s3, s2, 31
	s_ashr_i32 s23, s22, 31
	;; [unrolled: 1-line block ×3, first 2 shown]
	s_cmp_eq_u32 s26, 0
	v_dual_lshrrev_b32 v22, 5, v1 :: v_dual_bitop2_b32 v0, 7, v0 bitop3:0x40
	s_cselect_b32 s0, ttmp9, s0
	s_cselect_b32 s1, s28, s30
	s_lshl_b32 s28, s0, 5
	s_delay_alu instid0(SALU_CYCLE_1) | instskip(SKIP_2) | instid1(VALU_DEP_1)
	v_dual_mov_b32 v11, 0 :: v_dual_bitop2_b32 v2, s28, v4 bitop3:0x54
	s_lshl_b32 s0, s1, 5
	s_mov_b32 s26, s18
	v_dual_mov_b32 v1, v11 :: v_dual_add_nc_u32 v12, s0, v5
	v_add_nc_u32_e32 v14, s0, v10
	v_dual_ashrrev_i32 v3, 31, v2 :: v_dual_lshlrev_b32 v4, 2, v4
	v_cmp_gt_i32_e64 s0, s20, v2
	s_delay_alu instid0(VALU_DEP_4) | instskip(NEXT) | instid1(VALU_DEP_4)
	v_mul_u64_e32 v[18:19], s[22:23], v[0:1]
	v_add_nc_u32_e32 v20, 16, v14
	s_delay_alu instid0(VALU_DEP_4) | instskip(SKIP_2) | instid1(VALU_DEP_4)
	v_mul_u64_e32 v[16:17], s[2:3], v[2:3]
	v_dual_lshlrev_b32 v3, 2, v0 :: v_dual_ashrrev_i32 v15, 31, v14
	v_lshl_or_b32 v1, v22, 7, v4
	v_dual_ashrrev_i32 v21, 31, v20 :: v_dual_add_nc_u32 v2, s28, v9
	s_delay_alu instid0(VALU_DEP_3) | instskip(NEXT) | instid1(VALU_DEP_4)
	v_lshl_or_b32 v3, v5, 5, v3
	v_mul_u64_e32 v[4:5], s[26:27], v[14:15]
	v_ashrrev_i32_e32 v13, 31, v12
	s_delay_alu instid0(VALU_DEP_4)
	v_mul_u64_e32 v[6:7], s[26:27], v[20:21]
	v_cmp_gt_i32_e64 s1, s20, v12
	v_add_nc_u32_e32 v8, 16, v2
	s_cmp_neq_f32 s24, 0
	v_lshlrev_b64_e32 v[12:13], 2, v[12:13]
	v_lshl_add_u32 v25, v10, 5, 0x400
	v_lshlrev_b32_e32 v10, 2, v22
	s_cselect_b32 s29, -1, 0
	s_cmp_gt_i32 s21, 0
	v_cmp_gt_i32_e32 vcc_lo, s20, v14
	v_cmp_le_i32_e64 s2, v2, v14
	v_lshlrev_b32_e32 v24, 2, v9
	v_cmp_le_i32_e64 s3, v8, v14
	v_ashrrev_i32_e32 v9, 31, v8
	s_cselect_b32 s30, -1, 0
	s_cmp_neq_f32 s19, 0
	v_add_nc_u32_e32 v23, 0x400, v3
	v_ashrrev_i32_e32 v3, 31, v2
	s_cselect_b32 s18, -1, 0
	s_and_b32 s26, vcc_lo, s2
	v_lshl_add_u64 v[12:13], v[18:19], 2, v[12:13]
	s_and_b32 s27, vcc_lo, s3
	v_lshl_add_u64 v[10:11], v[16:17], 2, v[10:11]
	v_cmp_gt_i32_e32 vcc_lo, s20, v20
	v_cmp_le_i32_e64 s2, v2, v20
	v_cmp_le_i32_e64 s3, v8, v20
	v_add_nc_u64_e32 v[12:13], s[14:15], v[12:13]
	v_add_nc_u64_e32 v[10:11], s[10:11], v[10:11]
	s_and_b32 s14, s29, s30
	s_and_b32 s20, vcc_lo, s2
	s_and_b32 s28, vcc_lo, s3
	s_lshl_b64 s[2:3], s[12:13], 2
	s_lshl_b64 s[4:5], s[4:5], 2
	;; [unrolled: 1-line block ×3, first 2 shown]
	s_branch .LBB7_6
.LBB7_5:                                ;   in Loop: Header=BB7_6 Depth=1
	s_wait_xcnt 0x0
	s_or_b32 exec_lo, exec_lo, s12
	s_add_co_i32 s6, s6, 0x10000
	s_delay_alu instid0(SALU_CYCLE_1)
	s_cmp_lt_u32 s6, s25
	s_cbranch_scc0 .LBB7_33
.LBB7_6:                                ; =>This Loop Header: Depth=1
                                        ;     Child Loop BB7_9 Depth 2
	v_dual_mov_b32 v21, 0 :: v_dual_mov_b32 v20, 0
	v_dual_mov_b32 v15, 0 :: v_dual_mov_b32 v14, 0
	s_and_not1_b32 vcc_lo, exec_lo, s14
	s_cbranch_vccnz .LBB7_13
; %bb.7:                                ;   in Loop: Header=BB7_6 Depth=1
	v_mad_nc_u64_u32 v[16:17], s2, s6, v[10:11]
	v_mad_nc_u64_u32 v[18:19], s4, s6, v[12:13]
	v_mov_b32_e32 v14, 0
	s_mov_b32 s12, 0
	s_delay_alu instid0(VALU_DEP_1)
	v_dual_mov_b32 v15, v14 :: v_dual_mov_b32 v20, v14
	v_mov_b32_e32 v21, v14
	v_mad_u32 v17, s3, s6, v17
	v_mad_u32 v19, s5, s6, v19
	s_branch .LBB7_9
.LBB7_8:                                ;   in Loop: Header=BB7_9 Depth=2
	s_wait_xcnt 0x0
	s_or_b32 exec_lo, exec_lo, s13
	s_wait_loadcnt 0x0
	ds_store_b32 v23, v27
	s_wait_dscnt 0x0
	s_barrier_signal -1
	s_barrier_wait -1
	ds_load_b128 v[26:29], v25
	ds_load_2addr_b32 v[42:43], v24 offset1:16
	ds_load_b128 v[30:33], v25 offset:512
	ds_load_2addr_b32 v[44:45], v24 offset0:32 offset1:48
	ds_load_2addr_b32 v[46:47], v24 offset0:64 offset1:80
	;; [unrolled: 1-line block ×3, first 2 shown]
	ds_load_b128 v[34:37], v25 offset:16
	ds_load_2addr_b32 v[50:51], v24 offset0:128 offset1:144
	ds_load_b128 v[38:41], v25 offset:528
	v_add_nc_u64_e32 v[16:17], 32, v[16:17]
	v_add_nc_u64_e32 v[18:19], s[10:11], v[18:19]
	s_add_co_i32 s12, s12, 8
	s_delay_alu instid0(SALU_CYCLE_1)
	s_cmp_lt_i32 s12, s21
	s_wait_dscnt 0x7
	v_pk_fma_f32 v[20:21], v[42:43], v[26:27], v[20:21] op_sel_hi:[1,0,1]
	s_wait_dscnt 0x6
	v_pk_fma_f32 v[14:15], v[42:43], v[30:31], v[14:15] op_sel_hi:[1,0,1]
	ds_load_2addr_b32 v[42:43], v24 offset0:160 offset1:176
	s_wait_dscnt 0x6
	v_pk_fma_f32 v[20:21], v[44:45], v[26:27], v[20:21] op_sel:[0,1,0]
	v_pk_fma_f32 v[14:15], v[44:45], v[30:31], v[14:15] op_sel:[0,1,0]
	ds_load_2addr_b32 v[26:27], v24 offset0:192 offset1:208
	v_dual_mov_b32 v30, v29 :: v_dual_mov_b32 v44, v33
	s_wait_dscnt 0x6
	v_pk_fma_f32 v[20:21], v[46:47], v[28:29], v[20:21] op_sel_hi:[1,0,1]
	v_pk_fma_f32 v[14:15], v[46:47], v[32:33], v[14:15] op_sel_hi:[1,0,1]
	ds_load_2addr_b32 v[28:29], v24 offset0:224 offset1:240
	s_wait_dscnt 0x3
	v_mov_b32_e32 v32, v41
	s_wait_dscnt 0x0
	v_pk_fma_f32 v[20:21], v[48:49], v[30:31], v[20:21] op_sel_hi:[1,0,1]
	v_pk_fma_f32 v[14:15], v[48:49], v[44:45], v[14:15] op_sel_hi:[1,0,1]
	v_mov_b32_e32 v30, v37
	s_barrier_signal -1
	s_barrier_wait -1
	v_pk_fma_f32 v[20:21], v[50:51], v[34:35], v[20:21] op_sel_hi:[1,0,1]
	v_pk_fma_f32 v[14:15], v[50:51], v[38:39], v[14:15] op_sel_hi:[1,0,1]
	s_delay_alu instid0(VALU_DEP_2) | instskip(NEXT) | instid1(VALU_DEP_2)
	v_pk_fma_f32 v[20:21], v[42:43], v[34:35], v[20:21] op_sel:[0,1,0]
	v_pk_fma_f32 v[14:15], v[42:43], v[38:39], v[14:15] op_sel:[0,1,0]
	s_delay_alu instid0(VALU_DEP_2) | instskip(NEXT) | instid1(VALU_DEP_2)
	v_pk_fma_f32 v[20:21], v[26:27], v[36:37], v[20:21] op_sel_hi:[1,0,1]
	v_pk_fma_f32 v[14:15], v[26:27], v[40:41], v[14:15] op_sel_hi:[1,0,1]
	s_delay_alu instid0(VALU_DEP_2) | instskip(NEXT) | instid1(VALU_DEP_2)
	v_pk_fma_f32 v[20:21], v[28:29], v[30:31], v[20:21] op_sel_hi:[1,0,1]
	v_pk_fma_f32 v[14:15], v[28:29], v[32:33], v[14:15] op_sel_hi:[1,0,1]
	s_cbranch_scc0 .LBB7_13
.LBB7_9:                                ;   Parent Loop BB7_6 Depth=1
                                        ; =>  This Inner Loop Header: Depth=2
	v_add_nc_u32_e32 v26, s12, v22
	s_delay_alu instid0(VALU_DEP_1) | instskip(SKIP_2) | instid1(SALU_CYCLE_1)
	v_cmp_gt_i32_e32 vcc_lo, s21, v26
	v_mov_b32_e32 v26, 0
	s_and_b32 s15, s0, vcc_lo
	s_and_saveexec_b32 s13, s15
	s_cbranch_execz .LBB7_11
; %bb.10:                               ;   in Loop: Header=BB7_9 Depth=2
	global_load_b32 v26, v[16:17], off
.LBB7_11:                               ;   in Loop: Header=BB7_9 Depth=2
	s_wait_xcnt 0x0
	s_or_b32 exec_lo, exec_lo, s13
	v_add_nc_u32_e32 v27, s12, v0
	s_wait_loadcnt 0x0
	ds_store_b32 v1, v26
	v_cmp_gt_i32_e32 vcc_lo, s21, v27
	v_mov_b32_e32 v27, 0
	s_and_b32 s15, vcc_lo, s1
	s_delay_alu instid0(SALU_CYCLE_1)
	s_and_saveexec_b32 s13, s15
	s_cbranch_execz .LBB7_8
; %bb.12:                               ;   in Loop: Header=BB7_9 Depth=2
	global_load_b32 v27, v[18:19], off
	s_branch .LBB7_8
.LBB7_13:                               ;   in Loop: Header=BB7_6 Depth=1
	s_mul_u64 s[12:13], s[8:9], s[6:7]
	s_delay_alu instid0(SALU_CYCLE_1) | instskip(NEXT) | instid1(SALU_CYCLE_1)
	s_lshl_b64 s[12:13], s[12:13], 2
	s_add_nc_u64 s[12:13], s[16:17], s[12:13]
	s_delay_alu instid0(SALU_CYCLE_1)
	v_lshl_add_u64 v[16:17], v[4:5], 2, s[12:13]
	s_and_saveexec_b32 s15, s26
	s_cbranch_execz .LBB7_17
; %bb.14:                               ;   in Loop: Header=BB7_6 Depth=1
	v_mul_f32_e32 v20, s24, v20
	s_delay_alu instid0(VALU_DEP_2)
	v_lshl_add_u64 v[18:19], v[2:3], 2, v[16:17]
	s_and_b32 vcc_lo, exec_lo, s18
	s_cbranch_vccz .LBB7_28
; %bb.15:                               ;   in Loop: Header=BB7_6 Depth=1
	global_load_b32 v26, v[18:19], off
	s_wait_loadcnt 0x0
	v_fma_f32 v26, s19, v26, v20
	global_store_b32 v[18:19], v26, off
	s_cbranch_execnz .LBB7_17
.LBB7_16:                               ;   in Loop: Header=BB7_6 Depth=1
	global_store_b32 v[18:19], v20, off
.LBB7_17:                               ;   in Loop: Header=BB7_6 Depth=1
	s_wait_xcnt 0x0
	s_or_b32 exec_lo, exec_lo, s15
	s_and_saveexec_b32 s15, s27
	s_cbranch_execz .LBB7_21
; %bb.18:                               ;   in Loop: Header=BB7_6 Depth=1
	v_mul_f32_e32 v18, s24, v21
	v_lshl_add_u64 v[16:17], v[8:9], 2, v[16:17]
	s_and_not1_b32 vcc_lo, exec_lo, s18
	s_cbranch_vccnz .LBB7_29
; %bb.19:                               ;   in Loop: Header=BB7_6 Depth=1
	global_load_b32 v19, v[16:17], off
	s_wait_loadcnt 0x0
	v_fma_f32 v19, s19, v19, v18
	global_store_b32 v[16:17], v19, off
	s_cbranch_execnz .LBB7_21
.LBB7_20:                               ;   in Loop: Header=BB7_6 Depth=1
	global_store_b32 v[16:17], v18, off
.LBB7_21:                               ;   in Loop: Header=BB7_6 Depth=1
	s_wait_xcnt 0x0
	s_or_b32 exec_lo, exec_lo, s15
	v_lshl_add_u64 v[16:17], v[6:7], 2, s[12:13]
	s_and_saveexec_b32 s12, s20
	s_cbranch_execz .LBB7_25
; %bb.22:                               ;   in Loop: Header=BB7_6 Depth=1
	v_mul_f32_e32 v14, s24, v14
	s_delay_alu instid0(VALU_DEP_2)
	v_lshl_add_u64 v[18:19], v[2:3], 2, v[16:17]
	s_and_not1_b32 vcc_lo, exec_lo, s18
	s_cbranch_vccnz .LBB7_30
; %bb.23:                               ;   in Loop: Header=BB7_6 Depth=1
	global_load_b32 v20, v[18:19], off
	s_wait_loadcnt 0x0
	v_fma_f32 v20, s19, v20, v14
	global_store_b32 v[18:19], v20, off
	s_cbranch_execnz .LBB7_25
.LBB7_24:                               ;   in Loop: Header=BB7_6 Depth=1
	global_store_b32 v[18:19], v14, off
.LBB7_25:                               ;   in Loop: Header=BB7_6 Depth=1
	s_wait_xcnt 0x0
	s_or_b32 exec_lo, exec_lo, s12
	s_and_saveexec_b32 s12, s28
	s_cbranch_execz .LBB7_5
; %bb.26:                               ;   in Loop: Header=BB7_6 Depth=1
	v_mul_f32_e32 v18, s24, v15
	v_lshl_add_u64 v[14:15], v[8:9], 2, v[16:17]
	s_and_not1_b32 vcc_lo, exec_lo, s18
	s_cbranch_vccnz .LBB7_31
; %bb.27:                               ;   in Loop: Header=BB7_6 Depth=1
	global_load_b32 v16, v[14:15], off
	s_wait_loadcnt 0x0
	v_fma_f32 v16, s19, v16, v18
	global_store_b32 v[14:15], v16, off
	s_cbranch_execnz .LBB7_5
	s_branch .LBB7_32
.LBB7_28:                               ;   in Loop: Header=BB7_6 Depth=1
	s_branch .LBB7_16
.LBB7_29:                               ;   in Loop: Header=BB7_6 Depth=1
	s_branch .LBB7_20
.LBB7_30:                               ;   in Loop: Header=BB7_6 Depth=1
	s_branch .LBB7_24
.LBB7_31:                               ;   in Loop: Header=BB7_6 Depth=1
.LBB7_32:                               ;   in Loop: Header=BB7_6 Depth=1
	global_store_b32 v[14:15], v18, off
	s_branch .LBB7_5
.LBB7_33:
	s_endpgm
	.section	.rodata,"a",@progbits
	.p2align	6, 0x0
	.amdhsa_kernel _ZL29rocblas_internal_gemmt_kernelIiLi16ELi32ELi8ELc67ELc84ELc85ELb0ELb0EfPKfS1_PfEviT_T9_T10_S3_lS5_S3_lS4_T11_S3_li
		.amdhsa_group_segment_fixed_size 2048
		.amdhsa_private_segment_fixed_size 0
		.amdhsa_kernarg_size 100
		.amdhsa_user_sgpr_count 2
		.amdhsa_user_sgpr_dispatch_ptr 0
		.amdhsa_user_sgpr_queue_ptr 0
		.amdhsa_user_sgpr_kernarg_segment_ptr 1
		.amdhsa_user_sgpr_dispatch_id 0
		.amdhsa_user_sgpr_kernarg_preload_length 0
		.amdhsa_user_sgpr_kernarg_preload_offset 0
		.amdhsa_user_sgpr_private_segment_size 0
		.amdhsa_wavefront_size32 1
		.amdhsa_uses_dynamic_stack 0
		.amdhsa_enable_private_segment 0
		.amdhsa_system_sgpr_workgroup_id_x 1
		.amdhsa_system_sgpr_workgroup_id_y 1
		.amdhsa_system_sgpr_workgroup_id_z 1
		.amdhsa_system_sgpr_workgroup_info 0
		.amdhsa_system_vgpr_workitem_id 1
		.amdhsa_next_free_vgpr 52
		.amdhsa_next_free_sgpr 31
		.amdhsa_named_barrier_count 0
		.amdhsa_reserve_vcc 1
		.amdhsa_float_round_mode_32 0
		.amdhsa_float_round_mode_16_64 0
		.amdhsa_float_denorm_mode_32 3
		.amdhsa_float_denorm_mode_16_64 3
		.amdhsa_fp16_overflow 0
		.amdhsa_memory_ordered 1
		.amdhsa_forward_progress 1
		.amdhsa_inst_pref_size 13
		.amdhsa_round_robin_scheduling 0
		.amdhsa_exception_fp_ieee_invalid_op 0
		.amdhsa_exception_fp_denorm_src 0
		.amdhsa_exception_fp_ieee_div_zero 0
		.amdhsa_exception_fp_ieee_overflow 0
		.amdhsa_exception_fp_ieee_underflow 0
		.amdhsa_exception_fp_ieee_inexact 0
		.amdhsa_exception_int_div_zero 0
	.end_amdhsa_kernel
	.section	.text._ZL29rocblas_internal_gemmt_kernelIiLi16ELi32ELi8ELc67ELc84ELc85ELb0ELb0EfPKfS1_PfEviT_T9_T10_S3_lS5_S3_lS4_T11_S3_li,"axG",@progbits,_ZL29rocblas_internal_gemmt_kernelIiLi16ELi32ELi8ELc67ELc84ELc85ELb0ELb0EfPKfS1_PfEviT_T9_T10_S3_lS5_S3_lS4_T11_S3_li,comdat
.Lfunc_end7:
	.size	_ZL29rocblas_internal_gemmt_kernelIiLi16ELi32ELi8ELc67ELc84ELc85ELb0ELb0EfPKfS1_PfEviT_T9_T10_S3_lS5_S3_lS4_T11_S3_li, .Lfunc_end7-_ZL29rocblas_internal_gemmt_kernelIiLi16ELi32ELi8ELc67ELc84ELc85ELb0ELb0EfPKfS1_PfEviT_T9_T10_S3_lS5_S3_lS4_T11_S3_li
                                        ; -- End function
	.set _ZL29rocblas_internal_gemmt_kernelIiLi16ELi32ELi8ELc67ELc84ELc85ELb0ELb0EfPKfS1_PfEviT_T9_T10_S3_lS5_S3_lS4_T11_S3_li.num_vgpr, 52
	.set _ZL29rocblas_internal_gemmt_kernelIiLi16ELi32ELi8ELc67ELc84ELc85ELb0ELb0EfPKfS1_PfEviT_T9_T10_S3_lS5_S3_lS4_T11_S3_li.num_agpr, 0
	.set _ZL29rocblas_internal_gemmt_kernelIiLi16ELi32ELi8ELc67ELc84ELc85ELb0ELb0EfPKfS1_PfEviT_T9_T10_S3_lS5_S3_lS4_T11_S3_li.numbered_sgpr, 31
	.set _ZL29rocblas_internal_gemmt_kernelIiLi16ELi32ELi8ELc67ELc84ELc85ELb0ELb0EfPKfS1_PfEviT_T9_T10_S3_lS5_S3_lS4_T11_S3_li.num_named_barrier, 0
	.set _ZL29rocblas_internal_gemmt_kernelIiLi16ELi32ELi8ELc67ELc84ELc85ELb0ELb0EfPKfS1_PfEviT_T9_T10_S3_lS5_S3_lS4_T11_S3_li.private_seg_size, 0
	.set _ZL29rocblas_internal_gemmt_kernelIiLi16ELi32ELi8ELc67ELc84ELc85ELb0ELb0EfPKfS1_PfEviT_T9_T10_S3_lS5_S3_lS4_T11_S3_li.uses_vcc, 1
	.set _ZL29rocblas_internal_gemmt_kernelIiLi16ELi32ELi8ELc67ELc84ELc85ELb0ELb0EfPKfS1_PfEviT_T9_T10_S3_lS5_S3_lS4_T11_S3_li.uses_flat_scratch, 0
	.set _ZL29rocblas_internal_gemmt_kernelIiLi16ELi32ELi8ELc67ELc84ELc85ELb0ELb0EfPKfS1_PfEviT_T9_T10_S3_lS5_S3_lS4_T11_S3_li.has_dyn_sized_stack, 0
	.set _ZL29rocblas_internal_gemmt_kernelIiLi16ELi32ELi8ELc67ELc84ELc85ELb0ELb0EfPKfS1_PfEviT_T9_T10_S3_lS5_S3_lS4_T11_S3_li.has_recursion, 0
	.set _ZL29rocblas_internal_gemmt_kernelIiLi16ELi32ELi8ELc67ELc84ELc85ELb0ELb0EfPKfS1_PfEviT_T9_T10_S3_lS5_S3_lS4_T11_S3_li.has_indirect_call, 0
	.section	.AMDGPU.csdata,"",@progbits
; Kernel info:
; codeLenInByte = 1648
; TotalNumSgprs: 33
; NumVgprs: 52
; ScratchSize: 0
; MemoryBound: 0
; FloatMode: 240
; IeeeMode: 1
; LDSByteSize: 2048 bytes/workgroup (compile time only)
; SGPRBlocks: 0
; VGPRBlocks: 3
; NumSGPRsForWavesPerEU: 33
; NumVGPRsForWavesPerEU: 52
; NamedBarCnt: 0
; Occupancy: 16
; WaveLimiterHint : 0
; COMPUTE_PGM_RSRC2:SCRATCH_EN: 0
; COMPUTE_PGM_RSRC2:USER_SGPR: 2
; COMPUTE_PGM_RSRC2:TRAP_HANDLER: 0
; COMPUTE_PGM_RSRC2:TGID_X_EN: 1
; COMPUTE_PGM_RSRC2:TGID_Y_EN: 1
; COMPUTE_PGM_RSRC2:TGID_Z_EN: 1
; COMPUTE_PGM_RSRC2:TIDIG_COMP_CNT: 1
	.section	.text._ZL29rocblas_internal_gemmt_kernelIiLi16ELi32ELi8ELc67ELc67ELc85ELb0ELb0EfPKfS1_PfEviT_T9_T10_S3_lS5_S3_lS4_T11_S3_li,"axG",@progbits,_ZL29rocblas_internal_gemmt_kernelIiLi16ELi32ELi8ELc67ELc67ELc85ELb0ELb0EfPKfS1_PfEviT_T9_T10_S3_lS5_S3_lS4_T11_S3_li,comdat
	.globl	_ZL29rocblas_internal_gemmt_kernelIiLi16ELi32ELi8ELc67ELc67ELc85ELb0ELb0EfPKfS1_PfEviT_T9_T10_S3_lS5_S3_lS4_T11_S3_li ; -- Begin function _ZL29rocblas_internal_gemmt_kernelIiLi16ELi32ELi8ELc67ELc67ELc85ELb0ELb0EfPKfS1_PfEviT_T9_T10_S3_lS5_S3_lS4_T11_S3_li
	.p2align	8
	.type	_ZL29rocblas_internal_gemmt_kernelIiLi16ELi32ELi8ELc67ELc67ELc85ELb0ELb0EfPKfS1_PfEviT_T9_T10_S3_lS5_S3_lS4_T11_S3_li,@function
_ZL29rocblas_internal_gemmt_kernelIiLi16ELi32ELi8ELc67ELc67ELc85ELb0ELb0EfPKfS1_PfEviT_T9_T10_S3_lS5_S3_lS4_T11_S3_li: ; @_ZL29rocblas_internal_gemmt_kernelIiLi16ELi32ELi8ELc67ELc67ELc85ELb0ELb0EfPKfS1_PfEviT_T9_T10_S3_lS5_S3_lS4_T11_S3_li
; %bb.0:
	s_clause 0x1
	s_load_b128 s[4:7], s[0:1], 0x38
	s_load_b128 s[8:11], s[0:1], 0x8
	s_wait_kmcnt 0x0
	s_load_b32 s19, s[6:7], 0x0
	s_load_b64 s[20:21], s[0:1], 0x0
	s_load_b32 s24, s[8:9], 0x0
	s_wait_kmcnt 0x0
	s_cmp_neq_f32 s19, 1.0
	s_cselect_b32 s2, -1, 0
	s_delay_alu instid0(SALU_CYCLE_1)
	s_and_b32 vcc_lo, exec_lo, s2
	s_cbranch_vccnz .LBB8_2
; %bb.1:
	s_cmp_lg_u32 s21, 0
	s_cselect_b32 s2, -1, 0
	s_cmp_neq_f32 s24, 0
	s_cselect_b32 s3, -1, 0
	s_delay_alu instid0(SALU_CYCLE_1)
	s_and_b32 s2, s2, s3
.LBB8_2:
	s_delay_alu instid0(SALU_CYCLE_1)
	s_and_not1_b32 vcc_lo, exec_lo, s2
	s_cbranch_vccnz .LBB8_33
; %bb.3:
	s_load_b32 s25, s[0:1], 0x60
	s_bfe_u32 s2, ttmp6, 0x40014
	s_lshr_b32 s3, ttmp7, 16
	s_add_co_i32 s2, s2, 1
	s_bfe_u32 s6, ttmp6, 0x40008
	s_mul_i32 s2, s3, s2
	s_getreg_b32 s26, hwreg(HW_REG_IB_STS2, 6, 4)
	s_add_co_i32 s6, s6, s2
	s_cmp_eq_u32 s26, 0
	s_mov_b32 s7, 0
	s_cselect_b32 s6, s3, s6
	s_wait_kmcnt 0x0
	s_cmp_ge_u32 s6, s25
	s_cbranch_scc1 .LBB8_33
; %bb.4:
	s_clause 0x3
	s_load_b32 s2, s[0:1], 0x18
	s_load_b32 s22, s[0:1], 0x30
	s_load_b96 s[16:18], s[0:1], 0x48
	s_load_b128 s[12:15], s[0:1], 0x20
	v_and_b32_e32 v9, 0x3ff, v0
	v_bfe_u32 v10, v0, 10, 10
	s_load_b64 s[8:9], s[0:1], 0x58
	s_wait_xcnt 0x0
	s_bfe_u32 s1, ttmp6, 0x4000c
	s_bfe_u32 s3, ttmp6, 0x40010
	s_and_b32 s28, ttmp7, 0xffff
	s_add_co_i32 s1, s1, 1
	s_add_co_i32 s3, s3, 1
	v_lshl_add_u32 v1, v10, 4, v9
	s_and_b32 s0, ttmp6, 15
	s_mul_i32 s1, ttmp9, s1
	s_mul_i32 s29, s28, s3
	s_bfe_u32 s30, ttmp6, 0x40004
	s_add_co_i32 s0, s0, s1
	s_add_co_i32 s30, s30, s29
	v_dual_lshrrev_b32 v5, 3, v1 :: v_dual_bitop2_b32 v4, 31, v1 bitop3:0x40
	s_wait_kmcnt 0x0
	s_ashr_i32 s3, s2, 31
	s_ashr_i32 s23, s22, 31
	;; [unrolled: 1-line block ×3, first 2 shown]
	s_cmp_eq_u32 s26, 0
	v_dual_lshrrev_b32 v22, 5, v1 :: v_dual_bitop2_b32 v0, 7, v0 bitop3:0x40
	s_cselect_b32 s0, ttmp9, s0
	s_cselect_b32 s1, s28, s30
	s_lshl_b32 s28, s0, 5
	s_delay_alu instid0(SALU_CYCLE_1) | instskip(SKIP_2) | instid1(VALU_DEP_1)
	v_dual_mov_b32 v11, 0 :: v_dual_bitop2_b32 v2, s28, v4 bitop3:0x54
	s_lshl_b32 s0, s1, 5
	s_mov_b32 s26, s18
	v_dual_mov_b32 v1, v11 :: v_dual_add_nc_u32 v12, s0, v5
	v_add_nc_u32_e32 v14, s0, v10
	v_dual_ashrrev_i32 v3, 31, v2 :: v_dual_lshlrev_b32 v4, 2, v4
	v_cmp_gt_i32_e64 s0, s20, v2
	s_delay_alu instid0(VALU_DEP_4) | instskip(NEXT) | instid1(VALU_DEP_4)
	v_mul_u64_e32 v[18:19], s[22:23], v[0:1]
	v_add_nc_u32_e32 v20, 16, v14
	s_delay_alu instid0(VALU_DEP_4) | instskip(SKIP_2) | instid1(VALU_DEP_4)
	v_mul_u64_e32 v[16:17], s[2:3], v[2:3]
	v_dual_lshlrev_b32 v3, 2, v0 :: v_dual_ashrrev_i32 v15, 31, v14
	v_lshl_or_b32 v1, v22, 7, v4
	v_dual_ashrrev_i32 v21, 31, v20 :: v_dual_add_nc_u32 v2, s28, v9
	s_delay_alu instid0(VALU_DEP_3) | instskip(NEXT) | instid1(VALU_DEP_4)
	v_lshl_or_b32 v3, v5, 5, v3
	v_mul_u64_e32 v[4:5], s[26:27], v[14:15]
	v_ashrrev_i32_e32 v13, 31, v12
	s_delay_alu instid0(VALU_DEP_4)
	v_mul_u64_e32 v[6:7], s[26:27], v[20:21]
	v_cmp_gt_i32_e64 s1, s20, v12
	v_add_nc_u32_e32 v8, 16, v2
	s_cmp_neq_f32 s24, 0
	v_lshlrev_b64_e32 v[12:13], 2, v[12:13]
	v_lshl_add_u32 v25, v10, 5, 0x400
	v_lshlrev_b32_e32 v10, 2, v22
	s_cselect_b32 s29, -1, 0
	s_cmp_gt_i32 s21, 0
	v_cmp_gt_i32_e32 vcc_lo, s20, v14
	v_cmp_le_i32_e64 s2, v2, v14
	v_lshlrev_b32_e32 v24, 2, v9
	v_cmp_le_i32_e64 s3, v8, v14
	v_ashrrev_i32_e32 v9, 31, v8
	s_cselect_b32 s30, -1, 0
	s_cmp_neq_f32 s19, 0
	v_add_nc_u32_e32 v23, 0x400, v3
	v_ashrrev_i32_e32 v3, 31, v2
	s_cselect_b32 s18, -1, 0
	s_and_b32 s26, vcc_lo, s2
	v_lshl_add_u64 v[12:13], v[18:19], 2, v[12:13]
	s_and_b32 s27, vcc_lo, s3
	v_lshl_add_u64 v[10:11], v[16:17], 2, v[10:11]
	v_cmp_gt_i32_e32 vcc_lo, s20, v20
	v_cmp_le_i32_e64 s2, v2, v20
	v_cmp_le_i32_e64 s3, v8, v20
	v_add_nc_u64_e32 v[12:13], s[14:15], v[12:13]
	v_add_nc_u64_e32 v[10:11], s[10:11], v[10:11]
	s_and_b32 s14, s29, s30
	s_and_b32 s20, vcc_lo, s2
	s_and_b32 s28, vcc_lo, s3
	s_lshl_b64 s[2:3], s[12:13], 2
	s_lshl_b64 s[4:5], s[4:5], 2
	;; [unrolled: 1-line block ×3, first 2 shown]
	s_branch .LBB8_6
.LBB8_5:                                ;   in Loop: Header=BB8_6 Depth=1
	s_wait_xcnt 0x0
	s_or_b32 exec_lo, exec_lo, s12
	s_add_co_i32 s6, s6, 0x10000
	s_delay_alu instid0(SALU_CYCLE_1)
	s_cmp_lt_u32 s6, s25
	s_cbranch_scc0 .LBB8_33
.LBB8_6:                                ; =>This Loop Header: Depth=1
                                        ;     Child Loop BB8_9 Depth 2
	v_dual_mov_b32 v21, 0 :: v_dual_mov_b32 v20, 0
	v_dual_mov_b32 v15, 0 :: v_dual_mov_b32 v14, 0
	s_and_not1_b32 vcc_lo, exec_lo, s14
	s_cbranch_vccnz .LBB8_13
; %bb.7:                                ;   in Loop: Header=BB8_6 Depth=1
	v_mad_nc_u64_u32 v[16:17], s2, s6, v[10:11]
	v_mad_nc_u64_u32 v[18:19], s4, s6, v[12:13]
	v_mov_b32_e32 v14, 0
	s_mov_b32 s12, 0
	s_delay_alu instid0(VALU_DEP_1)
	v_dual_mov_b32 v15, v14 :: v_dual_mov_b32 v20, v14
	v_mov_b32_e32 v21, v14
	v_mad_u32 v17, s3, s6, v17
	v_mad_u32 v19, s5, s6, v19
	s_branch .LBB8_9
.LBB8_8:                                ;   in Loop: Header=BB8_9 Depth=2
	s_wait_xcnt 0x0
	s_or_b32 exec_lo, exec_lo, s13
	s_wait_loadcnt 0x0
	ds_store_b32 v23, v27
	s_wait_dscnt 0x0
	s_barrier_signal -1
	s_barrier_wait -1
	ds_load_b128 v[26:29], v25
	ds_load_2addr_b32 v[42:43], v24 offset1:16
	ds_load_b128 v[30:33], v25 offset:512
	ds_load_2addr_b32 v[44:45], v24 offset0:32 offset1:48
	ds_load_2addr_b32 v[46:47], v24 offset0:64 offset1:80
	;; [unrolled: 1-line block ×3, first 2 shown]
	ds_load_b128 v[34:37], v25 offset:16
	ds_load_2addr_b32 v[50:51], v24 offset0:128 offset1:144
	ds_load_b128 v[38:41], v25 offset:528
	v_add_nc_u64_e32 v[16:17], 32, v[16:17]
	v_add_nc_u64_e32 v[18:19], s[10:11], v[18:19]
	s_add_co_i32 s12, s12, 8
	s_delay_alu instid0(SALU_CYCLE_1)
	s_cmp_lt_i32 s12, s21
	s_wait_dscnt 0x7
	v_pk_fma_f32 v[20:21], v[42:43], v[26:27], v[20:21] op_sel_hi:[1,0,1]
	s_wait_dscnt 0x6
	v_pk_fma_f32 v[14:15], v[42:43], v[30:31], v[14:15] op_sel_hi:[1,0,1]
	ds_load_2addr_b32 v[42:43], v24 offset0:160 offset1:176
	s_wait_dscnt 0x6
	v_pk_fma_f32 v[20:21], v[44:45], v[26:27], v[20:21] op_sel:[0,1,0]
	v_pk_fma_f32 v[14:15], v[44:45], v[30:31], v[14:15] op_sel:[0,1,0]
	ds_load_2addr_b32 v[26:27], v24 offset0:192 offset1:208
	v_dual_mov_b32 v30, v29 :: v_dual_mov_b32 v44, v33
	s_wait_dscnt 0x6
	v_pk_fma_f32 v[20:21], v[46:47], v[28:29], v[20:21] op_sel_hi:[1,0,1]
	v_pk_fma_f32 v[14:15], v[46:47], v[32:33], v[14:15] op_sel_hi:[1,0,1]
	ds_load_2addr_b32 v[28:29], v24 offset0:224 offset1:240
	s_wait_dscnt 0x3
	v_mov_b32_e32 v32, v41
	s_wait_dscnt 0x0
	v_pk_fma_f32 v[20:21], v[48:49], v[30:31], v[20:21] op_sel_hi:[1,0,1]
	v_pk_fma_f32 v[14:15], v[48:49], v[44:45], v[14:15] op_sel_hi:[1,0,1]
	v_mov_b32_e32 v30, v37
	s_barrier_signal -1
	s_barrier_wait -1
	v_pk_fma_f32 v[20:21], v[50:51], v[34:35], v[20:21] op_sel_hi:[1,0,1]
	v_pk_fma_f32 v[14:15], v[50:51], v[38:39], v[14:15] op_sel_hi:[1,0,1]
	s_delay_alu instid0(VALU_DEP_2) | instskip(NEXT) | instid1(VALU_DEP_2)
	v_pk_fma_f32 v[20:21], v[42:43], v[34:35], v[20:21] op_sel:[0,1,0]
	v_pk_fma_f32 v[14:15], v[42:43], v[38:39], v[14:15] op_sel:[0,1,0]
	s_delay_alu instid0(VALU_DEP_2) | instskip(NEXT) | instid1(VALU_DEP_2)
	v_pk_fma_f32 v[20:21], v[26:27], v[36:37], v[20:21] op_sel_hi:[1,0,1]
	v_pk_fma_f32 v[14:15], v[26:27], v[40:41], v[14:15] op_sel_hi:[1,0,1]
	s_delay_alu instid0(VALU_DEP_2) | instskip(NEXT) | instid1(VALU_DEP_2)
	v_pk_fma_f32 v[20:21], v[28:29], v[30:31], v[20:21] op_sel_hi:[1,0,1]
	v_pk_fma_f32 v[14:15], v[28:29], v[32:33], v[14:15] op_sel_hi:[1,0,1]
	s_cbranch_scc0 .LBB8_13
.LBB8_9:                                ;   Parent Loop BB8_6 Depth=1
                                        ; =>  This Inner Loop Header: Depth=2
	v_add_nc_u32_e32 v26, s12, v22
	s_delay_alu instid0(VALU_DEP_1) | instskip(SKIP_2) | instid1(SALU_CYCLE_1)
	v_cmp_gt_i32_e32 vcc_lo, s21, v26
	v_mov_b32_e32 v26, 0
	s_and_b32 s15, s0, vcc_lo
	s_and_saveexec_b32 s13, s15
	s_cbranch_execz .LBB8_11
; %bb.10:                               ;   in Loop: Header=BB8_9 Depth=2
	global_load_b32 v26, v[16:17], off
.LBB8_11:                               ;   in Loop: Header=BB8_9 Depth=2
	s_wait_xcnt 0x0
	s_or_b32 exec_lo, exec_lo, s13
	v_add_nc_u32_e32 v27, s12, v0
	s_wait_loadcnt 0x0
	ds_store_b32 v1, v26
	v_cmp_gt_i32_e32 vcc_lo, s21, v27
	v_mov_b32_e32 v27, 0
	s_and_b32 s15, vcc_lo, s1
	s_delay_alu instid0(SALU_CYCLE_1)
	s_and_saveexec_b32 s13, s15
	s_cbranch_execz .LBB8_8
; %bb.12:                               ;   in Loop: Header=BB8_9 Depth=2
	global_load_b32 v27, v[18:19], off
	s_branch .LBB8_8
.LBB8_13:                               ;   in Loop: Header=BB8_6 Depth=1
	s_mul_u64 s[12:13], s[8:9], s[6:7]
	s_delay_alu instid0(SALU_CYCLE_1) | instskip(NEXT) | instid1(SALU_CYCLE_1)
	s_lshl_b64 s[12:13], s[12:13], 2
	s_add_nc_u64 s[12:13], s[16:17], s[12:13]
	s_delay_alu instid0(SALU_CYCLE_1)
	v_lshl_add_u64 v[16:17], v[4:5], 2, s[12:13]
	s_and_saveexec_b32 s15, s26
	s_cbranch_execz .LBB8_17
; %bb.14:                               ;   in Loop: Header=BB8_6 Depth=1
	v_mul_f32_e32 v20, s24, v20
	s_delay_alu instid0(VALU_DEP_2)
	v_lshl_add_u64 v[18:19], v[2:3], 2, v[16:17]
	s_and_b32 vcc_lo, exec_lo, s18
	s_cbranch_vccz .LBB8_28
; %bb.15:                               ;   in Loop: Header=BB8_6 Depth=1
	global_load_b32 v26, v[18:19], off
	s_wait_loadcnt 0x0
	v_fma_f32 v26, s19, v26, v20
	global_store_b32 v[18:19], v26, off
	s_cbranch_execnz .LBB8_17
.LBB8_16:                               ;   in Loop: Header=BB8_6 Depth=1
	global_store_b32 v[18:19], v20, off
.LBB8_17:                               ;   in Loop: Header=BB8_6 Depth=1
	s_wait_xcnt 0x0
	s_or_b32 exec_lo, exec_lo, s15
	s_and_saveexec_b32 s15, s27
	s_cbranch_execz .LBB8_21
; %bb.18:                               ;   in Loop: Header=BB8_6 Depth=1
	v_mul_f32_e32 v18, s24, v21
	v_lshl_add_u64 v[16:17], v[8:9], 2, v[16:17]
	s_and_not1_b32 vcc_lo, exec_lo, s18
	s_cbranch_vccnz .LBB8_29
; %bb.19:                               ;   in Loop: Header=BB8_6 Depth=1
	global_load_b32 v19, v[16:17], off
	s_wait_loadcnt 0x0
	v_fma_f32 v19, s19, v19, v18
	global_store_b32 v[16:17], v19, off
	s_cbranch_execnz .LBB8_21
.LBB8_20:                               ;   in Loop: Header=BB8_6 Depth=1
	global_store_b32 v[16:17], v18, off
.LBB8_21:                               ;   in Loop: Header=BB8_6 Depth=1
	s_wait_xcnt 0x0
	s_or_b32 exec_lo, exec_lo, s15
	v_lshl_add_u64 v[16:17], v[6:7], 2, s[12:13]
	s_and_saveexec_b32 s12, s20
	s_cbranch_execz .LBB8_25
; %bb.22:                               ;   in Loop: Header=BB8_6 Depth=1
	v_mul_f32_e32 v14, s24, v14
	s_delay_alu instid0(VALU_DEP_2)
	v_lshl_add_u64 v[18:19], v[2:3], 2, v[16:17]
	s_and_not1_b32 vcc_lo, exec_lo, s18
	s_cbranch_vccnz .LBB8_30
; %bb.23:                               ;   in Loop: Header=BB8_6 Depth=1
	global_load_b32 v20, v[18:19], off
	s_wait_loadcnt 0x0
	v_fma_f32 v20, s19, v20, v14
	global_store_b32 v[18:19], v20, off
	s_cbranch_execnz .LBB8_25
.LBB8_24:                               ;   in Loop: Header=BB8_6 Depth=1
	global_store_b32 v[18:19], v14, off
.LBB8_25:                               ;   in Loop: Header=BB8_6 Depth=1
	s_wait_xcnt 0x0
	s_or_b32 exec_lo, exec_lo, s12
	s_and_saveexec_b32 s12, s28
	s_cbranch_execz .LBB8_5
; %bb.26:                               ;   in Loop: Header=BB8_6 Depth=1
	v_mul_f32_e32 v18, s24, v15
	v_lshl_add_u64 v[14:15], v[8:9], 2, v[16:17]
	s_and_not1_b32 vcc_lo, exec_lo, s18
	s_cbranch_vccnz .LBB8_31
; %bb.27:                               ;   in Loop: Header=BB8_6 Depth=1
	global_load_b32 v16, v[14:15], off
	s_wait_loadcnt 0x0
	v_fma_f32 v16, s19, v16, v18
	global_store_b32 v[14:15], v16, off
	s_cbranch_execnz .LBB8_5
	s_branch .LBB8_32
.LBB8_28:                               ;   in Loop: Header=BB8_6 Depth=1
	s_branch .LBB8_16
.LBB8_29:                               ;   in Loop: Header=BB8_6 Depth=1
	s_branch .LBB8_20
.LBB8_30:                               ;   in Loop: Header=BB8_6 Depth=1
	s_branch .LBB8_24
.LBB8_31:                               ;   in Loop: Header=BB8_6 Depth=1
.LBB8_32:                               ;   in Loop: Header=BB8_6 Depth=1
	global_store_b32 v[14:15], v18, off
	s_branch .LBB8_5
.LBB8_33:
	s_endpgm
	.section	.rodata,"a",@progbits
	.p2align	6, 0x0
	.amdhsa_kernel _ZL29rocblas_internal_gemmt_kernelIiLi16ELi32ELi8ELc67ELc67ELc85ELb0ELb0EfPKfS1_PfEviT_T9_T10_S3_lS5_S3_lS4_T11_S3_li
		.amdhsa_group_segment_fixed_size 2048
		.amdhsa_private_segment_fixed_size 0
		.amdhsa_kernarg_size 100
		.amdhsa_user_sgpr_count 2
		.amdhsa_user_sgpr_dispatch_ptr 0
		.amdhsa_user_sgpr_queue_ptr 0
		.amdhsa_user_sgpr_kernarg_segment_ptr 1
		.amdhsa_user_sgpr_dispatch_id 0
		.amdhsa_user_sgpr_kernarg_preload_length 0
		.amdhsa_user_sgpr_kernarg_preload_offset 0
		.amdhsa_user_sgpr_private_segment_size 0
		.amdhsa_wavefront_size32 1
		.amdhsa_uses_dynamic_stack 0
		.amdhsa_enable_private_segment 0
		.amdhsa_system_sgpr_workgroup_id_x 1
		.amdhsa_system_sgpr_workgroup_id_y 1
		.amdhsa_system_sgpr_workgroup_id_z 1
		.amdhsa_system_sgpr_workgroup_info 0
		.amdhsa_system_vgpr_workitem_id 1
		.amdhsa_next_free_vgpr 52
		.amdhsa_next_free_sgpr 31
		.amdhsa_named_barrier_count 0
		.amdhsa_reserve_vcc 1
		.amdhsa_float_round_mode_32 0
		.amdhsa_float_round_mode_16_64 0
		.amdhsa_float_denorm_mode_32 3
		.amdhsa_float_denorm_mode_16_64 3
		.amdhsa_fp16_overflow 0
		.amdhsa_memory_ordered 1
		.amdhsa_forward_progress 1
		.amdhsa_inst_pref_size 13
		.amdhsa_round_robin_scheduling 0
		.amdhsa_exception_fp_ieee_invalid_op 0
		.amdhsa_exception_fp_denorm_src 0
		.amdhsa_exception_fp_ieee_div_zero 0
		.amdhsa_exception_fp_ieee_overflow 0
		.amdhsa_exception_fp_ieee_underflow 0
		.amdhsa_exception_fp_ieee_inexact 0
		.amdhsa_exception_int_div_zero 0
	.end_amdhsa_kernel
	.section	.text._ZL29rocblas_internal_gemmt_kernelIiLi16ELi32ELi8ELc67ELc67ELc85ELb0ELb0EfPKfS1_PfEviT_T9_T10_S3_lS5_S3_lS4_T11_S3_li,"axG",@progbits,_ZL29rocblas_internal_gemmt_kernelIiLi16ELi32ELi8ELc67ELc67ELc85ELb0ELb0EfPKfS1_PfEviT_T9_T10_S3_lS5_S3_lS4_T11_S3_li,comdat
.Lfunc_end8:
	.size	_ZL29rocblas_internal_gemmt_kernelIiLi16ELi32ELi8ELc67ELc67ELc85ELb0ELb0EfPKfS1_PfEviT_T9_T10_S3_lS5_S3_lS4_T11_S3_li, .Lfunc_end8-_ZL29rocblas_internal_gemmt_kernelIiLi16ELi32ELi8ELc67ELc67ELc85ELb0ELb0EfPKfS1_PfEviT_T9_T10_S3_lS5_S3_lS4_T11_S3_li
                                        ; -- End function
	.set _ZL29rocblas_internal_gemmt_kernelIiLi16ELi32ELi8ELc67ELc67ELc85ELb0ELb0EfPKfS1_PfEviT_T9_T10_S3_lS5_S3_lS4_T11_S3_li.num_vgpr, 52
	.set _ZL29rocblas_internal_gemmt_kernelIiLi16ELi32ELi8ELc67ELc67ELc85ELb0ELb0EfPKfS1_PfEviT_T9_T10_S3_lS5_S3_lS4_T11_S3_li.num_agpr, 0
	.set _ZL29rocblas_internal_gemmt_kernelIiLi16ELi32ELi8ELc67ELc67ELc85ELb0ELb0EfPKfS1_PfEviT_T9_T10_S3_lS5_S3_lS4_T11_S3_li.numbered_sgpr, 31
	.set _ZL29rocblas_internal_gemmt_kernelIiLi16ELi32ELi8ELc67ELc67ELc85ELb0ELb0EfPKfS1_PfEviT_T9_T10_S3_lS5_S3_lS4_T11_S3_li.num_named_barrier, 0
	.set _ZL29rocblas_internal_gemmt_kernelIiLi16ELi32ELi8ELc67ELc67ELc85ELb0ELb0EfPKfS1_PfEviT_T9_T10_S3_lS5_S3_lS4_T11_S3_li.private_seg_size, 0
	.set _ZL29rocblas_internal_gemmt_kernelIiLi16ELi32ELi8ELc67ELc67ELc85ELb0ELb0EfPKfS1_PfEviT_T9_T10_S3_lS5_S3_lS4_T11_S3_li.uses_vcc, 1
	.set _ZL29rocblas_internal_gemmt_kernelIiLi16ELi32ELi8ELc67ELc67ELc85ELb0ELb0EfPKfS1_PfEviT_T9_T10_S3_lS5_S3_lS4_T11_S3_li.uses_flat_scratch, 0
	.set _ZL29rocblas_internal_gemmt_kernelIiLi16ELi32ELi8ELc67ELc67ELc85ELb0ELb0EfPKfS1_PfEviT_T9_T10_S3_lS5_S3_lS4_T11_S3_li.has_dyn_sized_stack, 0
	.set _ZL29rocblas_internal_gemmt_kernelIiLi16ELi32ELi8ELc67ELc67ELc85ELb0ELb0EfPKfS1_PfEviT_T9_T10_S3_lS5_S3_lS4_T11_S3_li.has_recursion, 0
	.set _ZL29rocblas_internal_gemmt_kernelIiLi16ELi32ELi8ELc67ELc67ELc85ELb0ELb0EfPKfS1_PfEviT_T9_T10_S3_lS5_S3_lS4_T11_S3_li.has_indirect_call, 0
	.section	.AMDGPU.csdata,"",@progbits
; Kernel info:
; codeLenInByte = 1648
; TotalNumSgprs: 33
; NumVgprs: 52
; ScratchSize: 0
; MemoryBound: 0
; FloatMode: 240
; IeeeMode: 1
; LDSByteSize: 2048 bytes/workgroup (compile time only)
; SGPRBlocks: 0
; VGPRBlocks: 3
; NumSGPRsForWavesPerEU: 33
; NumVGPRsForWavesPerEU: 52
; NamedBarCnt: 0
; Occupancy: 16
; WaveLimiterHint : 0
; COMPUTE_PGM_RSRC2:SCRATCH_EN: 0
; COMPUTE_PGM_RSRC2:USER_SGPR: 2
; COMPUTE_PGM_RSRC2:TRAP_HANDLER: 0
; COMPUTE_PGM_RSRC2:TGID_X_EN: 1
; COMPUTE_PGM_RSRC2:TGID_Y_EN: 1
; COMPUTE_PGM_RSRC2:TGID_Z_EN: 1
; COMPUTE_PGM_RSRC2:TIDIG_COMP_CNT: 1
	.section	.text._ZL29rocblas_internal_gemmt_kernelIiLi16ELi32ELi8ELc78ELc78ELc76ELb0ELb0EfPKfS1_PfEviT_T9_T10_S3_lS5_S3_lS4_T11_S3_li,"axG",@progbits,_ZL29rocblas_internal_gemmt_kernelIiLi16ELi32ELi8ELc78ELc78ELc76ELb0ELb0EfPKfS1_PfEviT_T9_T10_S3_lS5_S3_lS4_T11_S3_li,comdat
	.globl	_ZL29rocblas_internal_gemmt_kernelIiLi16ELi32ELi8ELc78ELc78ELc76ELb0ELb0EfPKfS1_PfEviT_T9_T10_S3_lS5_S3_lS4_T11_S3_li ; -- Begin function _ZL29rocblas_internal_gemmt_kernelIiLi16ELi32ELi8ELc78ELc78ELc76ELb0ELb0EfPKfS1_PfEviT_T9_T10_S3_lS5_S3_lS4_T11_S3_li
	.p2align	8
	.type	_ZL29rocblas_internal_gemmt_kernelIiLi16ELi32ELi8ELc78ELc78ELc76ELb0ELb0EfPKfS1_PfEviT_T9_T10_S3_lS5_S3_lS4_T11_S3_li,@function
_ZL29rocblas_internal_gemmt_kernelIiLi16ELi32ELi8ELc78ELc78ELc76ELb0ELb0EfPKfS1_PfEviT_T9_T10_S3_lS5_S3_lS4_T11_S3_li: ; @_ZL29rocblas_internal_gemmt_kernelIiLi16ELi32ELi8ELc78ELc78ELc76ELb0ELb0EfPKfS1_PfEviT_T9_T10_S3_lS5_S3_lS4_T11_S3_li
; %bb.0:
	s_clause 0x1
	s_load_b128 s[8:11], s[0:1], 0x38
	s_load_b128 s[4:7], s[0:1], 0x8
	s_wait_kmcnt 0x0
	s_load_b32 s19, s[10:11], 0x0
	s_load_b64 s[20:21], s[0:1], 0x0
	s_load_b32 s26, s[4:5], 0x0
	s_wait_kmcnt 0x0
	s_cmp_neq_f32 s19, 1.0
	s_cselect_b32 s2, -1, 0
	s_delay_alu instid0(SALU_CYCLE_1)
	s_and_b32 vcc_lo, exec_lo, s2
	s_cbranch_vccnz .LBB9_2
; %bb.1:
	s_cmp_lg_u32 s21, 0
	s_cselect_b32 s2, -1, 0
	s_cmp_neq_f32 s26, 0
	s_cselect_b32 s3, -1, 0
	s_delay_alu instid0(SALU_CYCLE_1)
	s_and_b32 s2, s2, s3
.LBB9_2:
	s_delay_alu instid0(SALU_CYCLE_1)
	s_and_not1_b32 vcc_lo, exec_lo, s2
	s_cbranch_vccnz .LBB9_33
; %bb.3:
	s_load_b32 s27, s[0:1], 0x60
	s_bfe_u32 s2, ttmp6, 0x40014
	s_lshr_b32 s3, ttmp7, 16
	s_add_co_i32 s2, s2, 1
	s_bfe_u32 s5, ttmp6, 0x40008
	s_mul_i32 s2, s3, s2
	s_getreg_b32 s4, hwreg(HW_REG_IB_STS2, 6, 4)
	s_add_co_i32 s5, s5, s2
	s_cmp_eq_u32 s4, 0
	s_mov_b32 s11, 0
	s_cselect_b32 s10, s3, s5
	s_wait_kmcnt 0x0
	s_cmp_ge_u32 s10, s27
	s_cbranch_scc1 .LBB9_33
; %bb.4:
	s_clause 0x3
	s_load_b32 s24, s[0:1], 0x18
	s_load_b32 s2, s[0:1], 0x30
	s_load_b96 s[16:18], s[0:1], 0x48
	s_load_b128 s[12:15], s[0:1], 0x20
	v_and_b32_e32 v8, 0x3ff, v0
	v_bfe_u32 v9, v0, 10, 10
	s_load_b64 s[22:23], s[0:1], 0x58
	s_wait_xcnt 0x0
	s_bfe_u32 s1, ttmp6, 0x4000c
	s_bfe_u32 s3, ttmp6, 0x40010
	s_and_b32 s28, ttmp7, 0xffff
	s_add_co_i32 s1, s1, 1
	s_add_co_i32 s29, s3, 1
	v_lshl_add_u32 v1, v9, 4, v8
	s_and_b32 s0, ttmp6, 15
	s_mul_i32 s1, ttmp9, s1
	s_mul_i32 s29, s28, s29
	s_bfe_u32 s30, ttmp6, 0x40004
	s_add_co_i32 s0, s0, s1
	s_add_co_i32 s30, s30, s29
	v_dual_lshrrev_b32 v4, 3, v1 :: v_dual_bitop2_b32 v5, 31, v1 bitop3:0x40
	s_wait_kmcnt 0x0
	s_ashr_i32 s25, s24, 31
	s_ashr_i32 s3, s2, 31
	;; [unrolled: 1-line block ×3, first 2 shown]
	s_cmp_eq_u32 s4, 0
	v_dual_lshrrev_b32 v0, 5, v1 :: v_dual_bitop2_b32 v22, 7, v0 bitop3:0x40
	s_cselect_b32 s0, ttmp9, s0
	s_cselect_b32 s1, s28, s30
	s_lshl_b32 s28, s0, 5
	s_lshl_b32 s0, s1, 5
	s_delay_alu instid0(SALU_CYCLE_1) | instskip(SKIP_2) | instid1(VALU_DEP_3)
	v_dual_add_nc_u32 v2, s0, v4 :: v_dual_bitop2_b32 v10, s28, v5 bitop3:0x54
	v_dual_mov_b32 v1, 0 :: v_dual_add_nc_u32 v12, s0, v9
	v_dual_lshlrev_b32 v20, 2, v22 :: v_dual_lshlrev_b32 v5, 2, v5
	v_ashrrev_i32_e32 v3, 31, v2
	s_delay_alu instid0(VALU_DEP_3) | instskip(NEXT) | instid1(VALU_DEP_4)
	v_mul_u64_e32 v[14:15], s[24:25], v[0:1]
	v_dual_add_nc_u32 v18, 16, v12 :: v_dual_ashrrev_i32 v13, 31, v12
	s_mov_b32 s4, s18
	s_delay_alu instid0(VALU_DEP_3) | instskip(SKIP_1) | instid1(VALU_DEP_3)
	v_mul_u64_e32 v[16:17], s[2:3], v[2:3]
	v_lshl_or_b32 v23, v0, 7, v5
	v_ashrrev_i32_e32 v19, 31, v18
	v_lshl_or_b32 v3, v4, 5, v20
	v_mul_u64_e32 v[4:5], s[4:5], v[12:13]
	v_cmp_gt_i32_e64 s1, s20, v2
	v_dual_add_nc_u32 v2, s28, v8 :: v_dual_lshlrev_b32 v25, 2, v8
	v_mul_u64_e32 v[6:7], s[4:5], v[18:19]
	v_dual_mov_b32 v21, v1 :: v_dual_add_nc_u32 v24, 0x400, v3
	s_delay_alu instid0(VALU_DEP_3) | instskip(SKIP_3) | instid1(VALU_DEP_4)
	v_dual_add_nc_u32 v8, 16, v2 :: v_dual_ashrrev_i32 v3, 31, v2
	v_ashrrev_i32_e32 v11, 31, v10
	v_cmp_gt_i32_e64 s0, s20, v10
	v_lshl_add_u32 v26, v9, 5, 0x400
	v_ashrrev_i32_e32 v9, 31, v8
	s_cmp_neq_f32 s26, 0
	v_lshlrev_b64_e32 v[10:11], 2, v[10:11]
	v_cmp_le_i32_e32 vcc_lo, v12, v2
	v_cmp_gt_i32_e64 s2, s20, v2
	s_cselect_b32 s31, -1, 0
	s_cmp_gt_i32 s21, 0
	v_cmp_le_i32_e64 s3, v12, v8
	v_cmp_gt_i32_e64 s4, s20, v8
	s_cselect_b32 s33, -1, 0
	s_cmp_neq_f32 s19, 0
	v_lshl_add_u64 v[10:11], v[14:15], 2, v[10:11]
	s_cselect_b32 s18, -1, 0
	s_and_b32 s20, vcc_lo, s2
	v_lshl_add_u64 v[12:13], v[16:17], 2, v[20:21]
	s_and_b32 s28, s3, s4
	v_cmp_le_i32_e32 vcc_lo, v18, v2
	v_cmp_le_i32_e64 s3, v18, v8
	v_add_nc_u64_e32 v[10:11], s[6:7], v[10:11]
	v_add_nc_u64_e32 v[12:13], s[14:15], v[12:13]
	s_and_b32 s14, s31, s33
	s_and_b32 s29, vcc_lo, s2
	s_and_b32 s30, s3, s4
	s_lshl_b64 s[2:3], s[12:13], 2
	s_lshl_b64 s[4:5], s[24:25], 5
	;; [unrolled: 1-line block ×3, first 2 shown]
	s_branch .LBB9_6
.LBB9_5:                                ;   in Loop: Header=BB9_6 Depth=1
	s_wait_xcnt 0x0
	s_or_b32 exec_lo, exec_lo, s8
	s_add_co_i32 s10, s10, 0x10000
	s_delay_alu instid0(SALU_CYCLE_1)
	s_cmp_lt_u32 s10, s27
	s_cbranch_scc0 .LBB9_33
.LBB9_6:                                ; =>This Loop Header: Depth=1
                                        ;     Child Loop BB9_9 Depth 2
	v_dual_mov_b32 v21, 0 :: v_dual_mov_b32 v20, 0
	v_dual_mov_b32 v15, 0 :: v_dual_mov_b32 v14, 0
	s_and_not1_b32 vcc_lo, exec_lo, s14
	s_cbranch_vccnz .LBB9_13
; %bb.7:                                ;   in Loop: Header=BB9_6 Depth=1
	v_mad_nc_u64_u32 v[16:17], s2, s10, v[10:11]
	v_mad_nc_u64_u32 v[18:19], s6, s10, v[12:13]
	v_mov_b32_e32 v14, 0
	s_mov_b32 s8, 0
	s_delay_alu instid0(VALU_DEP_1)
	v_dual_mov_b32 v15, v14 :: v_dual_mov_b32 v20, v14
	v_mov_b32_e32 v21, v14
	v_mad_u32 v17, s3, s10, v17
	v_mad_u32 v19, s7, s10, v19
	s_branch .LBB9_9
.LBB9_8:                                ;   in Loop: Header=BB9_9 Depth=2
	s_wait_xcnt 0x0
	s_or_b32 exec_lo, exec_lo, s9
	s_wait_loadcnt 0x0
	ds_store_b32 v24, v27
	s_wait_dscnt 0x0
	s_barrier_signal -1
	s_barrier_wait -1
	ds_load_b128 v[28:31], v26
	ds_load_2addr_b32 v[44:45], v25 offset1:16
	ds_load_b128 v[32:35], v26 offset:512
	ds_load_2addr_b32 v[46:47], v25 offset0:32 offset1:48
	ds_load_2addr_b32 v[48:49], v25 offset0:64 offset1:80
	;; [unrolled: 1-line block ×3, first 2 shown]
	ds_load_b128 v[36:39], v26 offset:16
	ds_load_2addr_b32 v[52:53], v25 offset0:128 offset1:144
	ds_load_b128 v[40:43], v26 offset:528
	v_add_nc_u64_e32 v[16:17], s[4:5], v[16:17]
	v_add_nc_u64_e32 v[18:19], 32, v[18:19]
	s_add_co_i32 s8, s8, 8
	s_delay_alu instid0(SALU_CYCLE_1)
	s_cmp_lt_i32 s8, s21
	s_wait_dscnt 0x7
	v_pk_fma_f32 v[20:21], v[44:45], v[28:29], v[20:21] op_sel_hi:[1,0,1]
	s_wait_dscnt 0x6
	v_pk_fma_f32 v[14:15], v[44:45], v[32:33], v[14:15] op_sel_hi:[1,0,1]
	ds_load_2addr_b32 v[44:45], v25 offset0:160 offset1:176
	s_wait_dscnt 0x6
	v_pk_fma_f32 v[20:21], v[46:47], v[28:29], v[20:21] op_sel:[0,1,0]
	v_pk_fma_f32 v[14:15], v[46:47], v[32:33], v[14:15] op_sel:[0,1,0]
	ds_load_2addr_b32 v[28:29], v25 offset0:192 offset1:208
	v_dual_mov_b32 v32, v31 :: v_dual_mov_b32 v46, v35
	s_wait_dscnt 0x6
	v_pk_fma_f32 v[20:21], v[48:49], v[30:31], v[20:21] op_sel_hi:[1,0,1]
	v_pk_fma_f32 v[14:15], v[48:49], v[34:35], v[14:15] op_sel_hi:[1,0,1]
	ds_load_2addr_b32 v[30:31], v25 offset0:224 offset1:240
	s_wait_dscnt 0x3
	v_mov_b32_e32 v34, v43
	s_wait_dscnt 0x0
	v_pk_fma_f32 v[20:21], v[50:51], v[32:33], v[20:21] op_sel_hi:[1,0,1]
	v_pk_fma_f32 v[14:15], v[50:51], v[46:47], v[14:15] op_sel_hi:[1,0,1]
	v_mov_b32_e32 v32, v39
	s_barrier_signal -1
	s_barrier_wait -1
	v_pk_fma_f32 v[20:21], v[52:53], v[36:37], v[20:21] op_sel_hi:[1,0,1]
	v_pk_fma_f32 v[14:15], v[52:53], v[40:41], v[14:15] op_sel_hi:[1,0,1]
	s_delay_alu instid0(VALU_DEP_2) | instskip(NEXT) | instid1(VALU_DEP_2)
	v_pk_fma_f32 v[20:21], v[44:45], v[36:37], v[20:21] op_sel:[0,1,0]
	v_pk_fma_f32 v[14:15], v[44:45], v[40:41], v[14:15] op_sel:[0,1,0]
	s_delay_alu instid0(VALU_DEP_2) | instskip(NEXT) | instid1(VALU_DEP_2)
	v_pk_fma_f32 v[20:21], v[28:29], v[38:39], v[20:21] op_sel_hi:[1,0,1]
	v_pk_fma_f32 v[14:15], v[28:29], v[42:43], v[14:15] op_sel_hi:[1,0,1]
	s_delay_alu instid0(VALU_DEP_2) | instskip(NEXT) | instid1(VALU_DEP_2)
	v_pk_fma_f32 v[20:21], v[30:31], v[32:33], v[20:21] op_sel_hi:[1,0,1]
	v_pk_fma_f32 v[14:15], v[30:31], v[34:35], v[14:15] op_sel_hi:[1,0,1]
	s_cbranch_scc0 .LBB9_13
.LBB9_9:                                ;   Parent Loop BB9_6 Depth=1
                                        ; =>  This Inner Loop Header: Depth=2
	v_add_nc_u32_e32 v1, s8, v0
	s_delay_alu instid0(VALU_DEP_1) | instskip(SKIP_2) | instid1(SALU_CYCLE_1)
	v_cmp_gt_i32_e32 vcc_lo, s21, v1
	v_mov_b32_e32 v1, 0
	s_and_b32 s12, s0, vcc_lo
	s_and_saveexec_b32 s9, s12
	s_cbranch_execz .LBB9_11
; %bb.10:                               ;   in Loop: Header=BB9_9 Depth=2
	global_load_b32 v1, v[16:17], off
.LBB9_11:                               ;   in Loop: Header=BB9_9 Depth=2
	s_wait_xcnt 0x0
	s_or_b32 exec_lo, exec_lo, s9
	v_add_nc_u32_e32 v27, s8, v22
	s_wait_loadcnt 0x0
	ds_store_b32 v23, v1
	v_cmp_gt_i32_e32 vcc_lo, s21, v27
	v_mov_b32_e32 v27, 0
	s_and_b32 s12, vcc_lo, s1
	s_delay_alu instid0(SALU_CYCLE_1)
	s_and_saveexec_b32 s9, s12
	s_cbranch_execz .LBB9_8
; %bb.12:                               ;   in Loop: Header=BB9_9 Depth=2
	global_load_b32 v27, v[18:19], off
	s_branch .LBB9_8
.LBB9_13:                               ;   in Loop: Header=BB9_6 Depth=1
	s_mul_u64 s[8:9], s[22:23], s[10:11]
	s_delay_alu instid0(SALU_CYCLE_1) | instskip(NEXT) | instid1(SALU_CYCLE_1)
	s_lshl_b64 s[8:9], s[8:9], 2
	s_add_nc_u64 s[8:9], s[16:17], s[8:9]
	s_delay_alu instid0(SALU_CYCLE_1)
	v_lshl_add_u64 v[16:17], v[4:5], 2, s[8:9]
	s_and_saveexec_b32 s12, s20
	s_cbranch_execz .LBB9_17
; %bb.14:                               ;   in Loop: Header=BB9_6 Depth=1
	v_mul_f32_e32 v1, s26, v20
	s_delay_alu instid0(VALU_DEP_2)
	v_lshl_add_u64 v[18:19], v[2:3], 2, v[16:17]
	s_and_b32 vcc_lo, exec_lo, s18
	s_cbranch_vccz .LBB9_28
; %bb.15:                               ;   in Loop: Header=BB9_6 Depth=1
	global_load_b32 v20, v[18:19], off
	s_wait_loadcnt 0x0
	v_fma_f32 v20, s19, v20, v1
	global_store_b32 v[18:19], v20, off
	s_cbranch_execnz .LBB9_17
.LBB9_16:                               ;   in Loop: Header=BB9_6 Depth=1
	global_store_b32 v[18:19], v1, off
.LBB9_17:                               ;   in Loop: Header=BB9_6 Depth=1
	s_wait_xcnt 0x0
	s_or_b32 exec_lo, exec_lo, s12
	s_and_saveexec_b32 s12, s28
	s_cbranch_execz .LBB9_21
; %bb.18:                               ;   in Loop: Header=BB9_6 Depth=1
	v_mul_f32_e32 v1, s26, v21
	v_lshl_add_u64 v[16:17], v[8:9], 2, v[16:17]
	s_and_not1_b32 vcc_lo, exec_lo, s18
	s_cbranch_vccnz .LBB9_29
; %bb.19:                               ;   in Loop: Header=BB9_6 Depth=1
	global_load_b32 v18, v[16:17], off
	s_wait_loadcnt 0x0
	v_fma_f32 v18, s19, v18, v1
	global_store_b32 v[16:17], v18, off
	s_cbranch_execnz .LBB9_21
.LBB9_20:                               ;   in Loop: Header=BB9_6 Depth=1
	global_store_b32 v[16:17], v1, off
.LBB9_21:                               ;   in Loop: Header=BB9_6 Depth=1
	s_wait_xcnt 0x0
	s_or_b32 exec_lo, exec_lo, s12
	v_lshl_add_u64 v[16:17], v[6:7], 2, s[8:9]
	s_and_saveexec_b32 s8, s29
	s_cbranch_execz .LBB9_25
; %bb.22:                               ;   in Loop: Header=BB9_6 Depth=1
	v_mul_f32_e32 v1, s26, v14
	s_delay_alu instid0(VALU_DEP_2)
	v_lshl_add_u64 v[18:19], v[2:3], 2, v[16:17]
	s_and_not1_b32 vcc_lo, exec_lo, s18
	s_cbranch_vccnz .LBB9_30
; %bb.23:                               ;   in Loop: Header=BB9_6 Depth=1
	global_load_b32 v14, v[18:19], off
	s_wait_loadcnt 0x0
	v_fma_f32 v14, s19, v14, v1
	global_store_b32 v[18:19], v14, off
	s_cbranch_execnz .LBB9_25
.LBB9_24:                               ;   in Loop: Header=BB9_6 Depth=1
	global_store_b32 v[18:19], v1, off
.LBB9_25:                               ;   in Loop: Header=BB9_6 Depth=1
	s_wait_xcnt 0x0
	s_or_b32 exec_lo, exec_lo, s8
	s_and_saveexec_b32 s8, s30
	s_cbranch_execz .LBB9_5
; %bb.26:                               ;   in Loop: Header=BB9_6 Depth=1
	v_mul_f32_e32 v1, s26, v15
	v_lshl_add_u64 v[14:15], v[8:9], 2, v[16:17]
	s_and_not1_b32 vcc_lo, exec_lo, s18
	s_cbranch_vccnz .LBB9_31
; %bb.27:                               ;   in Loop: Header=BB9_6 Depth=1
	global_load_b32 v16, v[14:15], off
	s_wait_loadcnt 0x0
	v_fma_f32 v16, s19, v16, v1
	global_store_b32 v[14:15], v16, off
	s_cbranch_execnz .LBB9_5
	s_branch .LBB9_32
.LBB9_28:                               ;   in Loop: Header=BB9_6 Depth=1
	s_branch .LBB9_16
.LBB9_29:                               ;   in Loop: Header=BB9_6 Depth=1
	s_branch .LBB9_20
.LBB9_30:                               ;   in Loop: Header=BB9_6 Depth=1
	s_branch .LBB9_24
.LBB9_31:                               ;   in Loop: Header=BB9_6 Depth=1
.LBB9_32:                               ;   in Loop: Header=BB9_6 Depth=1
	global_store_b32 v[14:15], v1, off
	s_branch .LBB9_5
.LBB9_33:
	s_endpgm
	.section	.rodata,"a",@progbits
	.p2align	6, 0x0
	.amdhsa_kernel _ZL29rocblas_internal_gemmt_kernelIiLi16ELi32ELi8ELc78ELc78ELc76ELb0ELb0EfPKfS1_PfEviT_T9_T10_S3_lS5_S3_lS4_T11_S3_li
		.amdhsa_group_segment_fixed_size 2048
		.amdhsa_private_segment_fixed_size 0
		.amdhsa_kernarg_size 100
		.amdhsa_user_sgpr_count 2
		.amdhsa_user_sgpr_dispatch_ptr 0
		.amdhsa_user_sgpr_queue_ptr 0
		.amdhsa_user_sgpr_kernarg_segment_ptr 1
		.amdhsa_user_sgpr_dispatch_id 0
		.amdhsa_user_sgpr_kernarg_preload_length 0
		.amdhsa_user_sgpr_kernarg_preload_offset 0
		.amdhsa_user_sgpr_private_segment_size 0
		.amdhsa_wavefront_size32 1
		.amdhsa_uses_dynamic_stack 0
		.amdhsa_enable_private_segment 0
		.amdhsa_system_sgpr_workgroup_id_x 1
		.amdhsa_system_sgpr_workgroup_id_y 1
		.amdhsa_system_sgpr_workgroup_id_z 1
		.amdhsa_system_sgpr_workgroup_info 0
		.amdhsa_system_vgpr_workitem_id 1
		.amdhsa_next_free_vgpr 54
		.amdhsa_next_free_sgpr 34
		.amdhsa_named_barrier_count 0
		.amdhsa_reserve_vcc 1
		.amdhsa_float_round_mode_32 0
		.amdhsa_float_round_mode_16_64 0
		.amdhsa_float_denorm_mode_32 3
		.amdhsa_float_denorm_mode_16_64 3
		.amdhsa_fp16_overflow 0
		.amdhsa_memory_ordered 1
		.amdhsa_forward_progress 1
		.amdhsa_inst_pref_size 13
		.amdhsa_round_robin_scheduling 0
		.amdhsa_exception_fp_ieee_invalid_op 0
		.amdhsa_exception_fp_denorm_src 0
		.amdhsa_exception_fp_ieee_div_zero 0
		.amdhsa_exception_fp_ieee_overflow 0
		.amdhsa_exception_fp_ieee_underflow 0
		.amdhsa_exception_fp_ieee_inexact 0
		.amdhsa_exception_int_div_zero 0
	.end_amdhsa_kernel
	.section	.text._ZL29rocblas_internal_gemmt_kernelIiLi16ELi32ELi8ELc78ELc78ELc76ELb0ELb0EfPKfS1_PfEviT_T9_T10_S3_lS5_S3_lS4_T11_S3_li,"axG",@progbits,_ZL29rocblas_internal_gemmt_kernelIiLi16ELi32ELi8ELc78ELc78ELc76ELb0ELb0EfPKfS1_PfEviT_T9_T10_S3_lS5_S3_lS4_T11_S3_li,comdat
.Lfunc_end9:
	.size	_ZL29rocblas_internal_gemmt_kernelIiLi16ELi32ELi8ELc78ELc78ELc76ELb0ELb0EfPKfS1_PfEviT_T9_T10_S3_lS5_S3_lS4_T11_S3_li, .Lfunc_end9-_ZL29rocblas_internal_gemmt_kernelIiLi16ELi32ELi8ELc78ELc78ELc76ELb0ELb0EfPKfS1_PfEviT_T9_T10_S3_lS5_S3_lS4_T11_S3_li
                                        ; -- End function
	.set _ZL29rocblas_internal_gemmt_kernelIiLi16ELi32ELi8ELc78ELc78ELc76ELb0ELb0EfPKfS1_PfEviT_T9_T10_S3_lS5_S3_lS4_T11_S3_li.num_vgpr, 54
	.set _ZL29rocblas_internal_gemmt_kernelIiLi16ELi32ELi8ELc78ELc78ELc76ELb0ELb0EfPKfS1_PfEviT_T9_T10_S3_lS5_S3_lS4_T11_S3_li.num_agpr, 0
	.set _ZL29rocblas_internal_gemmt_kernelIiLi16ELi32ELi8ELc78ELc78ELc76ELb0ELb0EfPKfS1_PfEviT_T9_T10_S3_lS5_S3_lS4_T11_S3_li.numbered_sgpr, 34
	.set _ZL29rocblas_internal_gemmt_kernelIiLi16ELi32ELi8ELc78ELc78ELc76ELb0ELb0EfPKfS1_PfEviT_T9_T10_S3_lS5_S3_lS4_T11_S3_li.num_named_barrier, 0
	.set _ZL29rocblas_internal_gemmt_kernelIiLi16ELi32ELi8ELc78ELc78ELc76ELb0ELb0EfPKfS1_PfEviT_T9_T10_S3_lS5_S3_lS4_T11_S3_li.private_seg_size, 0
	.set _ZL29rocblas_internal_gemmt_kernelIiLi16ELi32ELi8ELc78ELc78ELc76ELb0ELb0EfPKfS1_PfEviT_T9_T10_S3_lS5_S3_lS4_T11_S3_li.uses_vcc, 1
	.set _ZL29rocblas_internal_gemmt_kernelIiLi16ELi32ELi8ELc78ELc78ELc76ELb0ELb0EfPKfS1_PfEviT_T9_T10_S3_lS5_S3_lS4_T11_S3_li.uses_flat_scratch, 0
	.set _ZL29rocblas_internal_gemmt_kernelIiLi16ELi32ELi8ELc78ELc78ELc76ELb0ELb0EfPKfS1_PfEviT_T9_T10_S3_lS5_S3_lS4_T11_S3_li.has_dyn_sized_stack, 0
	.set _ZL29rocblas_internal_gemmt_kernelIiLi16ELi32ELi8ELc78ELc78ELc76ELb0ELb0EfPKfS1_PfEviT_T9_T10_S3_lS5_S3_lS4_T11_S3_li.has_recursion, 0
	.set _ZL29rocblas_internal_gemmt_kernelIiLi16ELi32ELi8ELc78ELc78ELc76ELb0ELb0EfPKfS1_PfEviT_T9_T10_S3_lS5_S3_lS4_T11_S3_li.has_indirect_call, 0
	.section	.AMDGPU.csdata,"",@progbits
; Kernel info:
; codeLenInByte = 1644
; TotalNumSgprs: 36
; NumVgprs: 54
; ScratchSize: 0
; MemoryBound: 0
; FloatMode: 240
; IeeeMode: 1
; LDSByteSize: 2048 bytes/workgroup (compile time only)
; SGPRBlocks: 0
; VGPRBlocks: 3
; NumSGPRsForWavesPerEU: 36
; NumVGPRsForWavesPerEU: 54
; NamedBarCnt: 0
; Occupancy: 16
; WaveLimiterHint : 0
; COMPUTE_PGM_RSRC2:SCRATCH_EN: 0
; COMPUTE_PGM_RSRC2:USER_SGPR: 2
; COMPUTE_PGM_RSRC2:TRAP_HANDLER: 0
; COMPUTE_PGM_RSRC2:TGID_X_EN: 1
; COMPUTE_PGM_RSRC2:TGID_Y_EN: 1
; COMPUTE_PGM_RSRC2:TGID_Z_EN: 1
; COMPUTE_PGM_RSRC2:TIDIG_COMP_CNT: 1
	.section	.text._ZL29rocblas_internal_gemmt_kernelIiLi16ELi32ELi8ELc78ELc84ELc76ELb0ELb0EfPKfS1_PfEviT_T9_T10_S3_lS5_S3_lS4_T11_S3_li,"axG",@progbits,_ZL29rocblas_internal_gemmt_kernelIiLi16ELi32ELi8ELc78ELc84ELc76ELb0ELb0EfPKfS1_PfEviT_T9_T10_S3_lS5_S3_lS4_T11_S3_li,comdat
	.globl	_ZL29rocblas_internal_gemmt_kernelIiLi16ELi32ELi8ELc78ELc84ELc76ELb0ELb0EfPKfS1_PfEviT_T9_T10_S3_lS5_S3_lS4_T11_S3_li ; -- Begin function _ZL29rocblas_internal_gemmt_kernelIiLi16ELi32ELi8ELc78ELc84ELc76ELb0ELb0EfPKfS1_PfEviT_T9_T10_S3_lS5_S3_lS4_T11_S3_li
	.p2align	8
	.type	_ZL29rocblas_internal_gemmt_kernelIiLi16ELi32ELi8ELc78ELc84ELc76ELb0ELb0EfPKfS1_PfEviT_T9_T10_S3_lS5_S3_lS4_T11_S3_li,@function
_ZL29rocblas_internal_gemmt_kernelIiLi16ELi32ELi8ELc78ELc84ELc76ELb0ELb0EfPKfS1_PfEviT_T9_T10_S3_lS5_S3_lS4_T11_S3_li: ; @_ZL29rocblas_internal_gemmt_kernelIiLi16ELi32ELi8ELc78ELc84ELc76ELb0ELb0EfPKfS1_PfEviT_T9_T10_S3_lS5_S3_lS4_T11_S3_li
; %bb.0:
	s_clause 0x1
	s_load_b128 s[8:11], s[0:1], 0x38
	s_load_b128 s[4:7], s[0:1], 0x8
	s_wait_kmcnt 0x0
	s_load_b32 s19, s[10:11], 0x0
	s_load_b64 s[20:21], s[0:1], 0x0
	s_load_b32 s28, s[4:5], 0x0
	s_wait_kmcnt 0x0
	s_cmp_neq_f32 s19, 1.0
	s_cselect_b32 s2, -1, 0
	s_delay_alu instid0(SALU_CYCLE_1)
	s_and_b32 vcc_lo, exec_lo, s2
	s_cbranch_vccnz .LBB10_2
; %bb.1:
	s_cmp_lg_u32 s21, 0
	s_cselect_b32 s2, -1, 0
	s_cmp_neq_f32 s28, 0
	s_cselect_b32 s3, -1, 0
	s_delay_alu instid0(SALU_CYCLE_1)
	s_and_b32 s2, s2, s3
.LBB10_2:
	s_delay_alu instid0(SALU_CYCLE_1)
	s_and_not1_b32 vcc_lo, exec_lo, s2
	s_cbranch_vccnz .LBB10_33
; %bb.3:
	s_load_b32 s29, s[0:1], 0x60
	s_bfe_u32 s2, ttmp6, 0x40014
	s_lshr_b32 s3, ttmp7, 16
	s_add_co_i32 s2, s2, 1
	s_bfe_u32 s5, ttmp6, 0x40008
	s_mul_i32 s4, s3, s2
	s_getreg_b32 s2, hwreg(HW_REG_IB_STS2, 6, 4)
	s_add_co_i32 s5, s5, s4
	s_cmp_eq_u32 s2, 0
	s_mov_b32 s11, 0
	s_cselect_b32 s10, s3, s5
	s_wait_kmcnt 0x0
	s_cmp_ge_u32 s10, s29
	s_cbranch_scc1 .LBB10_33
; %bb.4:
	s_clause 0x3
	s_load_b32 s24, s[0:1], 0x18
	s_load_b32 s26, s[0:1], 0x30
	s_load_b96 s[16:18], s[0:1], 0x48
	s_load_b128 s[12:15], s[0:1], 0x20
	v_and_b32_e32 v5, 0x3ff, v0
	v_bfe_u32 v10, v0, 10, 10
	s_load_b64 s[22:23], s[0:1], 0x58
	s_wait_xcnt 0x0
	s_bfe_u32 s1, ttmp6, 0x4000c
	s_bfe_u32 s4, ttmp6, 0x40010
	s_and_b32 s3, ttmp7, 0xffff
	s_add_co_i32 s1, s1, 1
	s_add_co_i32 s30, s4, 1
	v_lshl_add_u32 v1, v10, 4, v5
	s_and_b32 s0, ttmp6, 15
	s_mul_i32 s1, ttmp9, s1
	v_and_b32_e32 v0, 7, v0
	s_add_co_i32 s0, s0, s1
	v_dual_lshrrev_b32 v6, 3, v1 :: v_dual_bitop2_b32 v4, 31, v1 bitop3:0x40
	v_lshrrev_b32_e32 v2, 5, v1
	s_wait_kmcnt 0x0
	s_ashr_i32 s25, s24, 31
	s_ashr_i32 s27, s26, 31
	;; [unrolled: 1-line block ×3, first 2 shown]
	s_mov_b32 s4, s18
	s_mul_i32 s18, s3, s30
	s_bfe_u32 s30, ttmp6, 0x40004
	v_lshl_add_u32 v25, v10, 5, 0x400
	s_add_co_i32 s30, s30, s18
	s_cmp_eq_u32 s2, 0
	v_mov_b32_e32 v3, 0
	s_cselect_b32 s0, ttmp9, s0
	s_cselect_b32 s1, s3, s30
	s_lshl_b32 s2, s0, 5
	s_lshl_b32 s0, s1, 5
	s_delay_alu instid0(SALU_CYCLE_1) | instskip(SKIP_3) | instid1(VALU_DEP_4)
	v_dual_add_nc_u32 v14, s0, v6 :: v_dual_bitop2_b32 v12, s2, v4 bitop3:0x54
	v_dual_mov_b32 v1, v3 :: v_dual_lshlrev_b32 v7, 2, v0
	v_add_nc_u32_e32 v16, s0, v10
	v_mul_u64_e32 v[18:19], s[24:25], v[2:3]
	v_ashrrev_i32_e32 v15, 31, v14
	s_delay_alu instid0(VALU_DEP_4)
	v_mul_u64_e32 v[20:21], s[26:27], v[0:1]
	v_cmp_gt_i32_e64 s0, s20, v12
	v_dual_add_nc_u32 v22, 16, v16 :: v_dual_ashrrev_i32 v17, 31, v16
	v_lshlrev_b32_e32 v3, 2, v4
	v_lshl_or_b32 v4, v6, 5, v7
	v_cmp_gt_i32_e64 s1, s20, v14
	s_delay_alu instid0(VALU_DEP_4)
	v_ashrrev_i32_e32 v23, 31, v22
	v_mul_u64_e32 v[6:7], s[4:5], v[16:17]
	v_lshl_or_b32 v1, v2, 7, v3
	v_add_nc_u32_e32 v3, 0x400, v4
	v_add_nc_u32_e32 v4, s2, v5
	v_mul_u64_e32 v[8:9], s[4:5], v[22:23]
	v_lshlrev_b32_e32 v24, 2, v5
	v_lshlrev_b64_e32 v[14:15], 2, v[14:15]
	s_cmp_neq_f32 s28, 0
	v_add_nc_u32_e32 v10, 16, v4
	v_ashrrev_i32_e32 v13, 31, v12
	v_cmp_le_i32_e32 vcc_lo, v16, v4
	s_cselect_b32 s34, -1, 0
	s_cmp_gt_i32 s21, 0
	v_ashrrev_i32_e32 v11, 31, v10
	v_lshlrev_b64_e32 v[12:13], 2, v[12:13]
	v_cmp_gt_i32_e64 s2, s20, v4
	v_cmp_le_i32_e64 s3, v16, v10
	v_cmp_gt_i32_e64 s4, s20, v10
	s_cselect_b32 s35, -1, 0
	s_cmp_neq_f32 s19, 0
	v_ashrrev_i32_e32 v5, 31, v4
	v_lshl_add_u64 v[12:13], v[18:19], 2, v[12:13]
	s_cselect_b32 s18, -1, 0
	v_lshl_add_u64 v[14:15], v[20:21], 2, v[14:15]
	s_and_b32 s20, vcc_lo, s2
	s_and_b32 s30, s3, s4
	v_cmp_le_i32_e32 vcc_lo, v22, v4
	v_cmp_le_i32_e64 s3, v22, v10
	v_add_nc_u64_e32 v[12:13], s[6:7], v[12:13]
	v_add_nc_u64_e32 v[14:15], s[14:15], v[14:15]
	s_and_b32 s14, s34, s35
	s_and_b32 s31, vcc_lo, s2
	s_and_b32 s33, s3, s4
	s_lshl_b64 s[2:3], s[12:13], 2
	s_lshl_b64 s[4:5], s[24:25], 5
	;; [unrolled: 1-line block ×4, first 2 shown]
	s_branch .LBB10_6
.LBB10_5:                               ;   in Loop: Header=BB10_6 Depth=1
	s_wait_xcnt 0x0
	s_or_b32 exec_lo, exec_lo, s12
	s_add_co_i32 s10, s10, 0x10000
	s_delay_alu instid0(SALU_CYCLE_1)
	s_cmp_lt_u32 s10, s29
	s_cbranch_scc0 .LBB10_33
.LBB10_6:                               ; =>This Loop Header: Depth=1
                                        ;     Child Loop BB10_9 Depth 2
	v_dual_mov_b32 v23, 0 :: v_dual_mov_b32 v22, 0
	v_dual_mov_b32 v17, 0 :: v_dual_mov_b32 v16, 0
	s_and_not1_b32 vcc_lo, exec_lo, s14
	s_cbranch_vccnz .LBB10_13
; %bb.7:                                ;   in Loop: Header=BB10_6 Depth=1
	v_mad_nc_u64_u32 v[18:19], s2, s10, v[12:13]
	v_mad_nc_u64_u32 v[20:21], s6, s10, v[14:15]
	v_mov_b32_e32 v16, 0
	s_mov_b32 s12, 0
	s_delay_alu instid0(VALU_DEP_1)
	v_dual_mov_b32 v17, v16 :: v_dual_mov_b32 v22, v16
	v_mov_b32_e32 v23, v16
	v_mad_u32 v19, s3, s10, v19
	v_mad_u32 v21, s7, s10, v21
	s_branch .LBB10_9
.LBB10_8:                               ;   in Loop: Header=BB10_9 Depth=2
	s_wait_xcnt 0x0
	s_or_b32 exec_lo, exec_lo, s13
	s_wait_loadcnt 0x0
	ds_store_b32 v3, v27
	s_wait_dscnt 0x0
	s_barrier_signal -1
	s_barrier_wait -1
	ds_load_b128 v[26:29], v25
	ds_load_2addr_b32 v[42:43], v24 offset1:16
	ds_load_b128 v[30:33], v25 offset:512
	ds_load_2addr_b32 v[44:45], v24 offset0:32 offset1:48
	ds_load_2addr_b32 v[46:47], v24 offset0:64 offset1:80
	;; [unrolled: 1-line block ×3, first 2 shown]
	ds_load_b128 v[34:37], v25 offset:16
	ds_load_2addr_b32 v[50:51], v24 offset0:128 offset1:144
	ds_load_b128 v[38:41], v25 offset:528
	v_add_nc_u64_e32 v[18:19], s[4:5], v[18:19]
	v_add_nc_u64_e32 v[20:21], s[8:9], v[20:21]
	s_add_co_i32 s12, s12, 8
	s_delay_alu instid0(SALU_CYCLE_1)
	s_cmp_lt_i32 s12, s21
	s_wait_dscnt 0x7
	v_pk_fma_f32 v[22:23], v[42:43], v[26:27], v[22:23] op_sel_hi:[1,0,1]
	s_wait_dscnt 0x6
	v_pk_fma_f32 v[16:17], v[42:43], v[30:31], v[16:17] op_sel_hi:[1,0,1]
	ds_load_2addr_b32 v[42:43], v24 offset0:160 offset1:176
	s_wait_dscnt 0x6
	v_pk_fma_f32 v[22:23], v[44:45], v[26:27], v[22:23] op_sel:[0,1,0]
	v_pk_fma_f32 v[16:17], v[44:45], v[30:31], v[16:17] op_sel:[0,1,0]
	ds_load_2addr_b32 v[26:27], v24 offset0:192 offset1:208
	v_dual_mov_b32 v30, v29 :: v_dual_mov_b32 v44, v33
	s_wait_dscnt 0x6
	v_pk_fma_f32 v[22:23], v[46:47], v[28:29], v[22:23] op_sel_hi:[1,0,1]
	v_pk_fma_f32 v[16:17], v[46:47], v[32:33], v[16:17] op_sel_hi:[1,0,1]
	ds_load_2addr_b32 v[28:29], v24 offset0:224 offset1:240
	s_wait_dscnt 0x3
	v_mov_b32_e32 v32, v41
	s_wait_dscnt 0x0
	v_pk_fma_f32 v[22:23], v[48:49], v[30:31], v[22:23] op_sel_hi:[1,0,1]
	v_pk_fma_f32 v[16:17], v[48:49], v[44:45], v[16:17] op_sel_hi:[1,0,1]
	v_mov_b32_e32 v30, v37
	s_barrier_signal -1
	s_barrier_wait -1
	v_pk_fma_f32 v[22:23], v[50:51], v[34:35], v[22:23] op_sel_hi:[1,0,1]
	v_pk_fma_f32 v[16:17], v[50:51], v[38:39], v[16:17] op_sel_hi:[1,0,1]
	s_delay_alu instid0(VALU_DEP_2) | instskip(NEXT) | instid1(VALU_DEP_2)
	v_pk_fma_f32 v[22:23], v[42:43], v[34:35], v[22:23] op_sel:[0,1,0]
	v_pk_fma_f32 v[16:17], v[42:43], v[38:39], v[16:17] op_sel:[0,1,0]
	s_delay_alu instid0(VALU_DEP_2) | instskip(NEXT) | instid1(VALU_DEP_2)
	v_pk_fma_f32 v[22:23], v[26:27], v[36:37], v[22:23] op_sel_hi:[1,0,1]
	v_pk_fma_f32 v[16:17], v[26:27], v[40:41], v[16:17] op_sel_hi:[1,0,1]
	s_delay_alu instid0(VALU_DEP_2) | instskip(NEXT) | instid1(VALU_DEP_2)
	v_pk_fma_f32 v[22:23], v[28:29], v[30:31], v[22:23] op_sel_hi:[1,0,1]
	v_pk_fma_f32 v[16:17], v[28:29], v[32:33], v[16:17] op_sel_hi:[1,0,1]
	s_cbranch_scc0 .LBB10_13
.LBB10_9:                               ;   Parent Loop BB10_6 Depth=1
                                        ; =>  This Inner Loop Header: Depth=2
	v_add_nc_u32_e32 v26, s12, v2
	s_delay_alu instid0(VALU_DEP_1) | instskip(SKIP_2) | instid1(SALU_CYCLE_1)
	v_cmp_gt_i32_e32 vcc_lo, s21, v26
	v_mov_b32_e32 v26, 0
	s_and_b32 s15, s0, vcc_lo
	s_and_saveexec_b32 s13, s15
	s_cbranch_execz .LBB10_11
; %bb.10:                               ;   in Loop: Header=BB10_9 Depth=2
	global_load_b32 v26, v[18:19], off
.LBB10_11:                              ;   in Loop: Header=BB10_9 Depth=2
	s_wait_xcnt 0x0
	s_or_b32 exec_lo, exec_lo, s13
	v_add_nc_u32_e32 v27, s12, v0
	s_wait_loadcnt 0x0
	ds_store_b32 v1, v26
	v_cmp_gt_i32_e32 vcc_lo, s21, v27
	v_mov_b32_e32 v27, 0
	s_and_b32 s15, vcc_lo, s1
	s_delay_alu instid0(SALU_CYCLE_1)
	s_and_saveexec_b32 s13, s15
	s_cbranch_execz .LBB10_8
; %bb.12:                               ;   in Loop: Header=BB10_9 Depth=2
	global_load_b32 v27, v[20:21], off
	s_branch .LBB10_8
.LBB10_13:                              ;   in Loop: Header=BB10_6 Depth=1
	s_mul_u64 s[12:13], s[22:23], s[10:11]
	s_delay_alu instid0(SALU_CYCLE_1) | instskip(NEXT) | instid1(SALU_CYCLE_1)
	s_lshl_b64 s[12:13], s[12:13], 2
	s_add_nc_u64 s[12:13], s[16:17], s[12:13]
	s_delay_alu instid0(SALU_CYCLE_1)
	v_lshl_add_u64 v[18:19], v[6:7], 2, s[12:13]
	s_and_saveexec_b32 s15, s20
	s_cbranch_execz .LBB10_17
; %bb.14:                               ;   in Loop: Header=BB10_6 Depth=1
	v_mul_f32_e32 v22, s28, v22
	s_delay_alu instid0(VALU_DEP_2)
	v_lshl_add_u64 v[20:21], v[4:5], 2, v[18:19]
	s_and_b32 vcc_lo, exec_lo, s18
	s_cbranch_vccz .LBB10_28
; %bb.15:                               ;   in Loop: Header=BB10_6 Depth=1
	global_load_b32 v26, v[20:21], off
	s_wait_loadcnt 0x0
	v_fma_f32 v26, s19, v26, v22
	global_store_b32 v[20:21], v26, off
	s_cbranch_execnz .LBB10_17
.LBB10_16:                              ;   in Loop: Header=BB10_6 Depth=1
	global_store_b32 v[20:21], v22, off
.LBB10_17:                              ;   in Loop: Header=BB10_6 Depth=1
	s_wait_xcnt 0x0
	s_or_b32 exec_lo, exec_lo, s15
	s_and_saveexec_b32 s15, s30
	s_cbranch_execz .LBB10_21
; %bb.18:                               ;   in Loop: Header=BB10_6 Depth=1
	v_mul_f32_e32 v20, s28, v23
	v_lshl_add_u64 v[18:19], v[10:11], 2, v[18:19]
	s_and_not1_b32 vcc_lo, exec_lo, s18
	s_cbranch_vccnz .LBB10_29
; %bb.19:                               ;   in Loop: Header=BB10_6 Depth=1
	global_load_b32 v21, v[18:19], off
	s_wait_loadcnt 0x0
	v_fma_f32 v21, s19, v21, v20
	global_store_b32 v[18:19], v21, off
	s_cbranch_execnz .LBB10_21
.LBB10_20:                              ;   in Loop: Header=BB10_6 Depth=1
	global_store_b32 v[18:19], v20, off
.LBB10_21:                              ;   in Loop: Header=BB10_6 Depth=1
	s_wait_xcnt 0x0
	s_or_b32 exec_lo, exec_lo, s15
	v_lshl_add_u64 v[18:19], v[8:9], 2, s[12:13]
	s_and_saveexec_b32 s12, s31
	s_cbranch_execz .LBB10_25
; %bb.22:                               ;   in Loop: Header=BB10_6 Depth=1
	v_mul_f32_e32 v16, s28, v16
	s_delay_alu instid0(VALU_DEP_2)
	v_lshl_add_u64 v[20:21], v[4:5], 2, v[18:19]
	s_and_not1_b32 vcc_lo, exec_lo, s18
	s_cbranch_vccnz .LBB10_30
; %bb.23:                               ;   in Loop: Header=BB10_6 Depth=1
	global_load_b32 v22, v[20:21], off
	s_wait_loadcnt 0x0
	v_fma_f32 v22, s19, v22, v16
	global_store_b32 v[20:21], v22, off
	s_cbranch_execnz .LBB10_25
.LBB10_24:                              ;   in Loop: Header=BB10_6 Depth=1
	global_store_b32 v[20:21], v16, off
.LBB10_25:                              ;   in Loop: Header=BB10_6 Depth=1
	s_wait_xcnt 0x0
	s_or_b32 exec_lo, exec_lo, s12
	s_and_saveexec_b32 s12, s33
	s_cbranch_execz .LBB10_5
; %bb.26:                               ;   in Loop: Header=BB10_6 Depth=1
	v_mul_f32_e32 v20, s28, v17
	v_lshl_add_u64 v[16:17], v[10:11], 2, v[18:19]
	s_and_not1_b32 vcc_lo, exec_lo, s18
	s_cbranch_vccnz .LBB10_31
; %bb.27:                               ;   in Loop: Header=BB10_6 Depth=1
	global_load_b32 v18, v[16:17], off
	s_wait_loadcnt 0x0
	v_fma_f32 v18, s19, v18, v20
	global_store_b32 v[16:17], v18, off
	s_cbranch_execnz .LBB10_5
	s_branch .LBB10_32
.LBB10_28:                              ;   in Loop: Header=BB10_6 Depth=1
	s_branch .LBB10_16
.LBB10_29:                              ;   in Loop: Header=BB10_6 Depth=1
	s_branch .LBB10_20
.LBB10_30:                              ;   in Loop: Header=BB10_6 Depth=1
	s_branch .LBB10_24
.LBB10_31:                              ;   in Loop: Header=BB10_6 Depth=1
.LBB10_32:                              ;   in Loop: Header=BB10_6 Depth=1
	global_store_b32 v[16:17], v20, off
	s_branch .LBB10_5
.LBB10_33:
	s_endpgm
	.section	.rodata,"a",@progbits
	.p2align	6, 0x0
	.amdhsa_kernel _ZL29rocblas_internal_gemmt_kernelIiLi16ELi32ELi8ELc78ELc84ELc76ELb0ELb0EfPKfS1_PfEviT_T9_T10_S3_lS5_S3_lS4_T11_S3_li
		.amdhsa_group_segment_fixed_size 2048
		.amdhsa_private_segment_fixed_size 0
		.amdhsa_kernarg_size 100
		.amdhsa_user_sgpr_count 2
		.amdhsa_user_sgpr_dispatch_ptr 0
		.amdhsa_user_sgpr_queue_ptr 0
		.amdhsa_user_sgpr_kernarg_segment_ptr 1
		.amdhsa_user_sgpr_dispatch_id 0
		.amdhsa_user_sgpr_kernarg_preload_length 0
		.amdhsa_user_sgpr_kernarg_preload_offset 0
		.amdhsa_user_sgpr_private_segment_size 0
		.amdhsa_wavefront_size32 1
		.amdhsa_uses_dynamic_stack 0
		.amdhsa_enable_private_segment 0
		.amdhsa_system_sgpr_workgroup_id_x 1
		.amdhsa_system_sgpr_workgroup_id_y 1
		.amdhsa_system_sgpr_workgroup_id_z 1
		.amdhsa_system_sgpr_workgroup_info 0
		.amdhsa_system_vgpr_workitem_id 1
		.amdhsa_next_free_vgpr 52
		.amdhsa_next_free_sgpr 36
		.amdhsa_named_barrier_count 0
		.amdhsa_reserve_vcc 1
		.amdhsa_float_round_mode_32 0
		.amdhsa_float_round_mode_16_64 0
		.amdhsa_float_denorm_mode_32 3
		.amdhsa_float_denorm_mode_16_64 3
		.amdhsa_fp16_overflow 0
		.amdhsa_memory_ordered 1
		.amdhsa_forward_progress 1
		.amdhsa_inst_pref_size 13
		.amdhsa_round_robin_scheduling 0
		.amdhsa_exception_fp_ieee_invalid_op 0
		.amdhsa_exception_fp_denorm_src 0
		.amdhsa_exception_fp_ieee_div_zero 0
		.amdhsa_exception_fp_ieee_overflow 0
		.amdhsa_exception_fp_ieee_underflow 0
		.amdhsa_exception_fp_ieee_inexact 0
		.amdhsa_exception_int_div_zero 0
	.end_amdhsa_kernel
	.section	.text._ZL29rocblas_internal_gemmt_kernelIiLi16ELi32ELi8ELc78ELc84ELc76ELb0ELb0EfPKfS1_PfEviT_T9_T10_S3_lS5_S3_lS4_T11_S3_li,"axG",@progbits,_ZL29rocblas_internal_gemmt_kernelIiLi16ELi32ELi8ELc78ELc84ELc76ELb0ELb0EfPKfS1_PfEviT_T9_T10_S3_lS5_S3_lS4_T11_S3_li,comdat
.Lfunc_end10:
	.size	_ZL29rocblas_internal_gemmt_kernelIiLi16ELi32ELi8ELc78ELc84ELc76ELb0ELb0EfPKfS1_PfEviT_T9_T10_S3_lS5_S3_lS4_T11_S3_li, .Lfunc_end10-_ZL29rocblas_internal_gemmt_kernelIiLi16ELi32ELi8ELc78ELc84ELc76ELb0ELb0EfPKfS1_PfEviT_T9_T10_S3_lS5_S3_lS4_T11_S3_li
                                        ; -- End function
	.set _ZL29rocblas_internal_gemmt_kernelIiLi16ELi32ELi8ELc78ELc84ELc76ELb0ELb0EfPKfS1_PfEviT_T9_T10_S3_lS5_S3_lS4_T11_S3_li.num_vgpr, 52
	.set _ZL29rocblas_internal_gemmt_kernelIiLi16ELi32ELi8ELc78ELc84ELc76ELb0ELb0EfPKfS1_PfEviT_T9_T10_S3_lS5_S3_lS4_T11_S3_li.num_agpr, 0
	.set _ZL29rocblas_internal_gemmt_kernelIiLi16ELi32ELi8ELc78ELc84ELc76ELb0ELb0EfPKfS1_PfEviT_T9_T10_S3_lS5_S3_lS4_T11_S3_li.numbered_sgpr, 36
	.set _ZL29rocblas_internal_gemmt_kernelIiLi16ELi32ELi8ELc78ELc84ELc76ELb0ELb0EfPKfS1_PfEviT_T9_T10_S3_lS5_S3_lS4_T11_S3_li.num_named_barrier, 0
	.set _ZL29rocblas_internal_gemmt_kernelIiLi16ELi32ELi8ELc78ELc84ELc76ELb0ELb0EfPKfS1_PfEviT_T9_T10_S3_lS5_S3_lS4_T11_S3_li.private_seg_size, 0
	.set _ZL29rocblas_internal_gemmt_kernelIiLi16ELi32ELi8ELc78ELc84ELc76ELb0ELb0EfPKfS1_PfEviT_T9_T10_S3_lS5_S3_lS4_T11_S3_li.uses_vcc, 1
	.set _ZL29rocblas_internal_gemmt_kernelIiLi16ELi32ELi8ELc78ELc84ELc76ELb0ELb0EfPKfS1_PfEviT_T9_T10_S3_lS5_S3_lS4_T11_S3_li.uses_flat_scratch, 0
	.set _ZL29rocblas_internal_gemmt_kernelIiLi16ELi32ELi8ELc78ELc84ELc76ELb0ELb0EfPKfS1_PfEviT_T9_T10_S3_lS5_S3_lS4_T11_S3_li.has_dyn_sized_stack, 0
	.set _ZL29rocblas_internal_gemmt_kernelIiLi16ELi32ELi8ELc78ELc84ELc76ELb0ELb0EfPKfS1_PfEviT_T9_T10_S3_lS5_S3_lS4_T11_S3_li.has_recursion, 0
	.set _ZL29rocblas_internal_gemmt_kernelIiLi16ELi32ELi8ELc78ELc84ELc76ELb0ELb0EfPKfS1_PfEviT_T9_T10_S3_lS5_S3_lS4_T11_S3_li.has_indirect_call, 0
	.section	.AMDGPU.csdata,"",@progbits
; Kernel info:
; codeLenInByte = 1636
; TotalNumSgprs: 38
; NumVgprs: 52
; ScratchSize: 0
; MemoryBound: 0
; FloatMode: 240
; IeeeMode: 1
; LDSByteSize: 2048 bytes/workgroup (compile time only)
; SGPRBlocks: 0
; VGPRBlocks: 3
; NumSGPRsForWavesPerEU: 38
; NumVGPRsForWavesPerEU: 52
; NamedBarCnt: 0
; Occupancy: 16
; WaveLimiterHint : 0
; COMPUTE_PGM_RSRC2:SCRATCH_EN: 0
; COMPUTE_PGM_RSRC2:USER_SGPR: 2
; COMPUTE_PGM_RSRC2:TRAP_HANDLER: 0
; COMPUTE_PGM_RSRC2:TGID_X_EN: 1
; COMPUTE_PGM_RSRC2:TGID_Y_EN: 1
; COMPUTE_PGM_RSRC2:TGID_Z_EN: 1
; COMPUTE_PGM_RSRC2:TIDIG_COMP_CNT: 1
	.section	.text._ZL29rocblas_internal_gemmt_kernelIiLi16ELi32ELi8ELc78ELc67ELc76ELb0ELb0EfPKfS1_PfEviT_T9_T10_S3_lS5_S3_lS4_T11_S3_li,"axG",@progbits,_ZL29rocblas_internal_gemmt_kernelIiLi16ELi32ELi8ELc78ELc67ELc76ELb0ELb0EfPKfS1_PfEviT_T9_T10_S3_lS5_S3_lS4_T11_S3_li,comdat
	.globl	_ZL29rocblas_internal_gemmt_kernelIiLi16ELi32ELi8ELc78ELc67ELc76ELb0ELb0EfPKfS1_PfEviT_T9_T10_S3_lS5_S3_lS4_T11_S3_li ; -- Begin function _ZL29rocblas_internal_gemmt_kernelIiLi16ELi32ELi8ELc78ELc67ELc76ELb0ELb0EfPKfS1_PfEviT_T9_T10_S3_lS5_S3_lS4_T11_S3_li
	.p2align	8
	.type	_ZL29rocblas_internal_gemmt_kernelIiLi16ELi32ELi8ELc78ELc67ELc76ELb0ELb0EfPKfS1_PfEviT_T9_T10_S3_lS5_S3_lS4_T11_S3_li,@function
_ZL29rocblas_internal_gemmt_kernelIiLi16ELi32ELi8ELc78ELc67ELc76ELb0ELb0EfPKfS1_PfEviT_T9_T10_S3_lS5_S3_lS4_T11_S3_li: ; @_ZL29rocblas_internal_gemmt_kernelIiLi16ELi32ELi8ELc78ELc67ELc76ELb0ELb0EfPKfS1_PfEviT_T9_T10_S3_lS5_S3_lS4_T11_S3_li
; %bb.0:
	s_clause 0x1
	s_load_b128 s[8:11], s[0:1], 0x38
	s_load_b128 s[4:7], s[0:1], 0x8
	s_wait_kmcnt 0x0
	s_load_b32 s19, s[10:11], 0x0
	s_load_b64 s[20:21], s[0:1], 0x0
	s_load_b32 s28, s[4:5], 0x0
	s_wait_kmcnt 0x0
	s_cmp_neq_f32 s19, 1.0
	s_cselect_b32 s2, -1, 0
	s_delay_alu instid0(SALU_CYCLE_1)
	s_and_b32 vcc_lo, exec_lo, s2
	s_cbranch_vccnz .LBB11_2
; %bb.1:
	s_cmp_lg_u32 s21, 0
	s_cselect_b32 s2, -1, 0
	s_cmp_neq_f32 s28, 0
	s_cselect_b32 s3, -1, 0
	s_delay_alu instid0(SALU_CYCLE_1)
	s_and_b32 s2, s2, s3
.LBB11_2:
	s_delay_alu instid0(SALU_CYCLE_1)
	s_and_not1_b32 vcc_lo, exec_lo, s2
	s_cbranch_vccnz .LBB11_33
; %bb.3:
	s_load_b32 s29, s[0:1], 0x60
	s_bfe_u32 s2, ttmp6, 0x40014
	s_lshr_b32 s3, ttmp7, 16
	s_add_co_i32 s2, s2, 1
	s_bfe_u32 s5, ttmp6, 0x40008
	s_mul_i32 s4, s3, s2
	s_getreg_b32 s2, hwreg(HW_REG_IB_STS2, 6, 4)
	s_add_co_i32 s5, s5, s4
	s_cmp_eq_u32 s2, 0
	s_mov_b32 s11, 0
	s_cselect_b32 s10, s3, s5
	s_wait_kmcnt 0x0
	s_cmp_ge_u32 s10, s29
	s_cbranch_scc1 .LBB11_33
; %bb.4:
	s_clause 0x3
	s_load_b32 s24, s[0:1], 0x18
	s_load_b32 s26, s[0:1], 0x30
	s_load_b96 s[16:18], s[0:1], 0x48
	s_load_b128 s[12:15], s[0:1], 0x20
	v_and_b32_e32 v5, 0x3ff, v0
	v_bfe_u32 v10, v0, 10, 10
	s_load_b64 s[22:23], s[0:1], 0x58
	s_wait_xcnt 0x0
	s_bfe_u32 s1, ttmp6, 0x4000c
	s_bfe_u32 s4, ttmp6, 0x40010
	s_and_b32 s3, ttmp7, 0xffff
	s_add_co_i32 s1, s1, 1
	s_add_co_i32 s30, s4, 1
	v_lshl_add_u32 v1, v10, 4, v5
	s_and_b32 s0, ttmp6, 15
	s_mul_i32 s1, ttmp9, s1
	v_and_b32_e32 v0, 7, v0
	s_add_co_i32 s0, s0, s1
	v_dual_lshrrev_b32 v6, 3, v1 :: v_dual_bitop2_b32 v4, 31, v1 bitop3:0x40
	v_lshrrev_b32_e32 v2, 5, v1
	s_wait_kmcnt 0x0
	s_ashr_i32 s25, s24, 31
	s_ashr_i32 s27, s26, 31
	;; [unrolled: 1-line block ×3, first 2 shown]
	s_mov_b32 s4, s18
	s_mul_i32 s18, s3, s30
	s_bfe_u32 s30, ttmp6, 0x40004
	v_lshl_add_u32 v25, v10, 5, 0x400
	s_add_co_i32 s30, s30, s18
	s_cmp_eq_u32 s2, 0
	v_mov_b32_e32 v3, 0
	s_cselect_b32 s0, ttmp9, s0
	s_cselect_b32 s1, s3, s30
	s_lshl_b32 s2, s0, 5
	s_lshl_b32 s0, s1, 5
	s_delay_alu instid0(SALU_CYCLE_1) | instskip(SKIP_3) | instid1(VALU_DEP_4)
	v_dual_add_nc_u32 v14, s0, v6 :: v_dual_bitop2_b32 v12, s2, v4 bitop3:0x54
	v_dual_mov_b32 v1, v3 :: v_dual_lshlrev_b32 v7, 2, v0
	v_add_nc_u32_e32 v16, s0, v10
	v_mul_u64_e32 v[18:19], s[24:25], v[2:3]
	v_ashrrev_i32_e32 v15, 31, v14
	s_delay_alu instid0(VALU_DEP_4)
	v_mul_u64_e32 v[20:21], s[26:27], v[0:1]
	v_cmp_gt_i32_e64 s0, s20, v12
	v_dual_add_nc_u32 v22, 16, v16 :: v_dual_ashrrev_i32 v17, 31, v16
	v_lshlrev_b32_e32 v3, 2, v4
	v_lshl_or_b32 v4, v6, 5, v7
	v_cmp_gt_i32_e64 s1, s20, v14
	s_delay_alu instid0(VALU_DEP_4)
	v_ashrrev_i32_e32 v23, 31, v22
	v_mul_u64_e32 v[6:7], s[4:5], v[16:17]
	v_lshl_or_b32 v1, v2, 7, v3
	v_add_nc_u32_e32 v3, 0x400, v4
	v_add_nc_u32_e32 v4, s2, v5
	v_mul_u64_e32 v[8:9], s[4:5], v[22:23]
	v_lshlrev_b32_e32 v24, 2, v5
	v_lshlrev_b64_e32 v[14:15], 2, v[14:15]
	s_cmp_neq_f32 s28, 0
	v_add_nc_u32_e32 v10, 16, v4
	v_ashrrev_i32_e32 v13, 31, v12
	v_cmp_le_i32_e32 vcc_lo, v16, v4
	s_cselect_b32 s34, -1, 0
	s_cmp_gt_i32 s21, 0
	v_ashrrev_i32_e32 v11, 31, v10
	v_lshlrev_b64_e32 v[12:13], 2, v[12:13]
	v_cmp_gt_i32_e64 s2, s20, v4
	v_cmp_le_i32_e64 s3, v16, v10
	v_cmp_gt_i32_e64 s4, s20, v10
	s_cselect_b32 s35, -1, 0
	s_cmp_neq_f32 s19, 0
	v_ashrrev_i32_e32 v5, 31, v4
	v_lshl_add_u64 v[12:13], v[18:19], 2, v[12:13]
	s_cselect_b32 s18, -1, 0
	v_lshl_add_u64 v[14:15], v[20:21], 2, v[14:15]
	s_and_b32 s20, vcc_lo, s2
	s_and_b32 s30, s3, s4
	v_cmp_le_i32_e32 vcc_lo, v22, v4
	v_cmp_le_i32_e64 s3, v22, v10
	v_add_nc_u64_e32 v[12:13], s[6:7], v[12:13]
	v_add_nc_u64_e32 v[14:15], s[14:15], v[14:15]
	s_and_b32 s14, s34, s35
	s_and_b32 s31, vcc_lo, s2
	s_and_b32 s33, s3, s4
	s_lshl_b64 s[2:3], s[12:13], 2
	s_lshl_b64 s[4:5], s[24:25], 5
	s_lshl_b64 s[6:7], s[8:9], 2
	s_lshl_b64 s[8:9], s[26:27], 5
	s_branch .LBB11_6
.LBB11_5:                               ;   in Loop: Header=BB11_6 Depth=1
	s_wait_xcnt 0x0
	s_or_b32 exec_lo, exec_lo, s12
	s_add_co_i32 s10, s10, 0x10000
	s_delay_alu instid0(SALU_CYCLE_1)
	s_cmp_lt_u32 s10, s29
	s_cbranch_scc0 .LBB11_33
.LBB11_6:                               ; =>This Loop Header: Depth=1
                                        ;     Child Loop BB11_9 Depth 2
	v_dual_mov_b32 v23, 0 :: v_dual_mov_b32 v22, 0
	v_dual_mov_b32 v17, 0 :: v_dual_mov_b32 v16, 0
	s_and_not1_b32 vcc_lo, exec_lo, s14
	s_cbranch_vccnz .LBB11_13
; %bb.7:                                ;   in Loop: Header=BB11_6 Depth=1
	v_mad_nc_u64_u32 v[18:19], s2, s10, v[12:13]
	v_mad_nc_u64_u32 v[20:21], s6, s10, v[14:15]
	v_mov_b32_e32 v16, 0
	s_mov_b32 s12, 0
	s_delay_alu instid0(VALU_DEP_1)
	v_dual_mov_b32 v17, v16 :: v_dual_mov_b32 v22, v16
	v_mov_b32_e32 v23, v16
	v_mad_u32 v19, s3, s10, v19
	v_mad_u32 v21, s7, s10, v21
	s_branch .LBB11_9
.LBB11_8:                               ;   in Loop: Header=BB11_9 Depth=2
	s_wait_xcnt 0x0
	s_or_b32 exec_lo, exec_lo, s13
	s_wait_loadcnt 0x0
	ds_store_b32 v3, v27
	s_wait_dscnt 0x0
	s_barrier_signal -1
	s_barrier_wait -1
	ds_load_b128 v[26:29], v25
	ds_load_2addr_b32 v[42:43], v24 offset1:16
	ds_load_b128 v[30:33], v25 offset:512
	ds_load_2addr_b32 v[44:45], v24 offset0:32 offset1:48
	ds_load_2addr_b32 v[46:47], v24 offset0:64 offset1:80
	ds_load_2addr_b32 v[48:49], v24 offset0:96 offset1:112
	ds_load_b128 v[34:37], v25 offset:16
	ds_load_2addr_b32 v[50:51], v24 offset0:128 offset1:144
	ds_load_b128 v[38:41], v25 offset:528
	v_add_nc_u64_e32 v[18:19], s[4:5], v[18:19]
	v_add_nc_u64_e32 v[20:21], s[8:9], v[20:21]
	s_add_co_i32 s12, s12, 8
	s_delay_alu instid0(SALU_CYCLE_1)
	s_cmp_lt_i32 s12, s21
	s_wait_dscnt 0x7
	v_pk_fma_f32 v[22:23], v[42:43], v[26:27], v[22:23] op_sel_hi:[1,0,1]
	s_wait_dscnt 0x6
	v_pk_fma_f32 v[16:17], v[42:43], v[30:31], v[16:17] op_sel_hi:[1,0,1]
	ds_load_2addr_b32 v[42:43], v24 offset0:160 offset1:176
	s_wait_dscnt 0x6
	v_pk_fma_f32 v[22:23], v[44:45], v[26:27], v[22:23] op_sel:[0,1,0]
	v_pk_fma_f32 v[16:17], v[44:45], v[30:31], v[16:17] op_sel:[0,1,0]
	ds_load_2addr_b32 v[26:27], v24 offset0:192 offset1:208
	v_dual_mov_b32 v30, v29 :: v_dual_mov_b32 v44, v33
	s_wait_dscnt 0x6
	v_pk_fma_f32 v[22:23], v[46:47], v[28:29], v[22:23] op_sel_hi:[1,0,1]
	v_pk_fma_f32 v[16:17], v[46:47], v[32:33], v[16:17] op_sel_hi:[1,0,1]
	ds_load_2addr_b32 v[28:29], v24 offset0:224 offset1:240
	s_wait_dscnt 0x3
	v_mov_b32_e32 v32, v41
	s_wait_dscnt 0x0
	v_pk_fma_f32 v[22:23], v[48:49], v[30:31], v[22:23] op_sel_hi:[1,0,1]
	v_pk_fma_f32 v[16:17], v[48:49], v[44:45], v[16:17] op_sel_hi:[1,0,1]
	v_mov_b32_e32 v30, v37
	s_barrier_signal -1
	s_barrier_wait -1
	v_pk_fma_f32 v[22:23], v[50:51], v[34:35], v[22:23] op_sel_hi:[1,0,1]
	v_pk_fma_f32 v[16:17], v[50:51], v[38:39], v[16:17] op_sel_hi:[1,0,1]
	s_delay_alu instid0(VALU_DEP_2) | instskip(NEXT) | instid1(VALU_DEP_2)
	v_pk_fma_f32 v[22:23], v[42:43], v[34:35], v[22:23] op_sel:[0,1,0]
	v_pk_fma_f32 v[16:17], v[42:43], v[38:39], v[16:17] op_sel:[0,1,0]
	s_delay_alu instid0(VALU_DEP_2) | instskip(NEXT) | instid1(VALU_DEP_2)
	v_pk_fma_f32 v[22:23], v[26:27], v[36:37], v[22:23] op_sel_hi:[1,0,1]
	v_pk_fma_f32 v[16:17], v[26:27], v[40:41], v[16:17] op_sel_hi:[1,0,1]
	s_delay_alu instid0(VALU_DEP_2) | instskip(NEXT) | instid1(VALU_DEP_2)
	v_pk_fma_f32 v[22:23], v[28:29], v[30:31], v[22:23] op_sel_hi:[1,0,1]
	v_pk_fma_f32 v[16:17], v[28:29], v[32:33], v[16:17] op_sel_hi:[1,0,1]
	s_cbranch_scc0 .LBB11_13
.LBB11_9:                               ;   Parent Loop BB11_6 Depth=1
                                        ; =>  This Inner Loop Header: Depth=2
	v_add_nc_u32_e32 v26, s12, v2
	s_delay_alu instid0(VALU_DEP_1) | instskip(SKIP_2) | instid1(SALU_CYCLE_1)
	v_cmp_gt_i32_e32 vcc_lo, s21, v26
	v_mov_b32_e32 v26, 0
	s_and_b32 s15, s0, vcc_lo
	s_and_saveexec_b32 s13, s15
	s_cbranch_execz .LBB11_11
; %bb.10:                               ;   in Loop: Header=BB11_9 Depth=2
	global_load_b32 v26, v[18:19], off
.LBB11_11:                              ;   in Loop: Header=BB11_9 Depth=2
	s_wait_xcnt 0x0
	s_or_b32 exec_lo, exec_lo, s13
	v_add_nc_u32_e32 v27, s12, v0
	s_wait_loadcnt 0x0
	ds_store_b32 v1, v26
	v_cmp_gt_i32_e32 vcc_lo, s21, v27
	v_mov_b32_e32 v27, 0
	s_and_b32 s15, vcc_lo, s1
	s_delay_alu instid0(SALU_CYCLE_1)
	s_and_saveexec_b32 s13, s15
	s_cbranch_execz .LBB11_8
; %bb.12:                               ;   in Loop: Header=BB11_9 Depth=2
	global_load_b32 v27, v[20:21], off
	s_branch .LBB11_8
.LBB11_13:                              ;   in Loop: Header=BB11_6 Depth=1
	s_mul_u64 s[12:13], s[22:23], s[10:11]
	s_delay_alu instid0(SALU_CYCLE_1) | instskip(NEXT) | instid1(SALU_CYCLE_1)
	s_lshl_b64 s[12:13], s[12:13], 2
	s_add_nc_u64 s[12:13], s[16:17], s[12:13]
	s_delay_alu instid0(SALU_CYCLE_1)
	v_lshl_add_u64 v[18:19], v[6:7], 2, s[12:13]
	s_and_saveexec_b32 s15, s20
	s_cbranch_execz .LBB11_17
; %bb.14:                               ;   in Loop: Header=BB11_6 Depth=1
	v_mul_f32_e32 v22, s28, v22
	s_delay_alu instid0(VALU_DEP_2)
	v_lshl_add_u64 v[20:21], v[4:5], 2, v[18:19]
	s_and_b32 vcc_lo, exec_lo, s18
	s_cbranch_vccz .LBB11_28
; %bb.15:                               ;   in Loop: Header=BB11_6 Depth=1
	global_load_b32 v26, v[20:21], off
	s_wait_loadcnt 0x0
	v_fma_f32 v26, s19, v26, v22
	global_store_b32 v[20:21], v26, off
	s_cbranch_execnz .LBB11_17
.LBB11_16:                              ;   in Loop: Header=BB11_6 Depth=1
	global_store_b32 v[20:21], v22, off
.LBB11_17:                              ;   in Loop: Header=BB11_6 Depth=1
	s_wait_xcnt 0x0
	s_or_b32 exec_lo, exec_lo, s15
	s_and_saveexec_b32 s15, s30
	s_cbranch_execz .LBB11_21
; %bb.18:                               ;   in Loop: Header=BB11_6 Depth=1
	v_mul_f32_e32 v20, s28, v23
	v_lshl_add_u64 v[18:19], v[10:11], 2, v[18:19]
	s_and_not1_b32 vcc_lo, exec_lo, s18
	s_cbranch_vccnz .LBB11_29
; %bb.19:                               ;   in Loop: Header=BB11_6 Depth=1
	global_load_b32 v21, v[18:19], off
	s_wait_loadcnt 0x0
	v_fma_f32 v21, s19, v21, v20
	global_store_b32 v[18:19], v21, off
	s_cbranch_execnz .LBB11_21
.LBB11_20:                              ;   in Loop: Header=BB11_6 Depth=1
	global_store_b32 v[18:19], v20, off
.LBB11_21:                              ;   in Loop: Header=BB11_6 Depth=1
	s_wait_xcnt 0x0
	s_or_b32 exec_lo, exec_lo, s15
	v_lshl_add_u64 v[18:19], v[8:9], 2, s[12:13]
	s_and_saveexec_b32 s12, s31
	s_cbranch_execz .LBB11_25
; %bb.22:                               ;   in Loop: Header=BB11_6 Depth=1
	v_mul_f32_e32 v16, s28, v16
	s_delay_alu instid0(VALU_DEP_2)
	v_lshl_add_u64 v[20:21], v[4:5], 2, v[18:19]
	s_and_not1_b32 vcc_lo, exec_lo, s18
	s_cbranch_vccnz .LBB11_30
; %bb.23:                               ;   in Loop: Header=BB11_6 Depth=1
	global_load_b32 v22, v[20:21], off
	s_wait_loadcnt 0x0
	v_fma_f32 v22, s19, v22, v16
	global_store_b32 v[20:21], v22, off
	s_cbranch_execnz .LBB11_25
.LBB11_24:                              ;   in Loop: Header=BB11_6 Depth=1
	global_store_b32 v[20:21], v16, off
.LBB11_25:                              ;   in Loop: Header=BB11_6 Depth=1
	s_wait_xcnt 0x0
	s_or_b32 exec_lo, exec_lo, s12
	s_and_saveexec_b32 s12, s33
	s_cbranch_execz .LBB11_5
; %bb.26:                               ;   in Loop: Header=BB11_6 Depth=1
	v_mul_f32_e32 v20, s28, v17
	v_lshl_add_u64 v[16:17], v[10:11], 2, v[18:19]
	s_and_not1_b32 vcc_lo, exec_lo, s18
	s_cbranch_vccnz .LBB11_31
; %bb.27:                               ;   in Loop: Header=BB11_6 Depth=1
	global_load_b32 v18, v[16:17], off
	s_wait_loadcnt 0x0
	v_fma_f32 v18, s19, v18, v20
	global_store_b32 v[16:17], v18, off
	s_cbranch_execnz .LBB11_5
	s_branch .LBB11_32
.LBB11_28:                              ;   in Loop: Header=BB11_6 Depth=1
	s_branch .LBB11_16
.LBB11_29:                              ;   in Loop: Header=BB11_6 Depth=1
	s_branch .LBB11_20
.LBB11_30:                              ;   in Loop: Header=BB11_6 Depth=1
	s_branch .LBB11_24
.LBB11_31:                              ;   in Loop: Header=BB11_6 Depth=1
.LBB11_32:                              ;   in Loop: Header=BB11_6 Depth=1
	global_store_b32 v[16:17], v20, off
	s_branch .LBB11_5
.LBB11_33:
	s_endpgm
	.section	.rodata,"a",@progbits
	.p2align	6, 0x0
	.amdhsa_kernel _ZL29rocblas_internal_gemmt_kernelIiLi16ELi32ELi8ELc78ELc67ELc76ELb0ELb0EfPKfS1_PfEviT_T9_T10_S3_lS5_S3_lS4_T11_S3_li
		.amdhsa_group_segment_fixed_size 2048
		.amdhsa_private_segment_fixed_size 0
		.amdhsa_kernarg_size 100
		.amdhsa_user_sgpr_count 2
		.amdhsa_user_sgpr_dispatch_ptr 0
		.amdhsa_user_sgpr_queue_ptr 0
		.amdhsa_user_sgpr_kernarg_segment_ptr 1
		.amdhsa_user_sgpr_dispatch_id 0
		.amdhsa_user_sgpr_kernarg_preload_length 0
		.amdhsa_user_sgpr_kernarg_preload_offset 0
		.amdhsa_user_sgpr_private_segment_size 0
		.amdhsa_wavefront_size32 1
		.amdhsa_uses_dynamic_stack 0
		.amdhsa_enable_private_segment 0
		.amdhsa_system_sgpr_workgroup_id_x 1
		.amdhsa_system_sgpr_workgroup_id_y 1
		.amdhsa_system_sgpr_workgroup_id_z 1
		.amdhsa_system_sgpr_workgroup_info 0
		.amdhsa_system_vgpr_workitem_id 1
		.amdhsa_next_free_vgpr 52
		.amdhsa_next_free_sgpr 36
		.amdhsa_named_barrier_count 0
		.amdhsa_reserve_vcc 1
		.amdhsa_float_round_mode_32 0
		.amdhsa_float_round_mode_16_64 0
		.amdhsa_float_denorm_mode_32 3
		.amdhsa_float_denorm_mode_16_64 3
		.amdhsa_fp16_overflow 0
		.amdhsa_memory_ordered 1
		.amdhsa_forward_progress 1
		.amdhsa_inst_pref_size 13
		.amdhsa_round_robin_scheduling 0
		.amdhsa_exception_fp_ieee_invalid_op 0
		.amdhsa_exception_fp_denorm_src 0
		.amdhsa_exception_fp_ieee_div_zero 0
		.amdhsa_exception_fp_ieee_overflow 0
		.amdhsa_exception_fp_ieee_underflow 0
		.amdhsa_exception_fp_ieee_inexact 0
		.amdhsa_exception_int_div_zero 0
	.end_amdhsa_kernel
	.section	.text._ZL29rocblas_internal_gemmt_kernelIiLi16ELi32ELi8ELc78ELc67ELc76ELb0ELb0EfPKfS1_PfEviT_T9_T10_S3_lS5_S3_lS4_T11_S3_li,"axG",@progbits,_ZL29rocblas_internal_gemmt_kernelIiLi16ELi32ELi8ELc78ELc67ELc76ELb0ELb0EfPKfS1_PfEviT_T9_T10_S3_lS5_S3_lS4_T11_S3_li,comdat
.Lfunc_end11:
	.size	_ZL29rocblas_internal_gemmt_kernelIiLi16ELi32ELi8ELc78ELc67ELc76ELb0ELb0EfPKfS1_PfEviT_T9_T10_S3_lS5_S3_lS4_T11_S3_li, .Lfunc_end11-_ZL29rocblas_internal_gemmt_kernelIiLi16ELi32ELi8ELc78ELc67ELc76ELb0ELb0EfPKfS1_PfEviT_T9_T10_S3_lS5_S3_lS4_T11_S3_li
                                        ; -- End function
	.set _ZL29rocblas_internal_gemmt_kernelIiLi16ELi32ELi8ELc78ELc67ELc76ELb0ELb0EfPKfS1_PfEviT_T9_T10_S3_lS5_S3_lS4_T11_S3_li.num_vgpr, 52
	.set _ZL29rocblas_internal_gemmt_kernelIiLi16ELi32ELi8ELc78ELc67ELc76ELb0ELb0EfPKfS1_PfEviT_T9_T10_S3_lS5_S3_lS4_T11_S3_li.num_agpr, 0
	.set _ZL29rocblas_internal_gemmt_kernelIiLi16ELi32ELi8ELc78ELc67ELc76ELb0ELb0EfPKfS1_PfEviT_T9_T10_S3_lS5_S3_lS4_T11_S3_li.numbered_sgpr, 36
	.set _ZL29rocblas_internal_gemmt_kernelIiLi16ELi32ELi8ELc78ELc67ELc76ELb0ELb0EfPKfS1_PfEviT_T9_T10_S3_lS5_S3_lS4_T11_S3_li.num_named_barrier, 0
	.set _ZL29rocblas_internal_gemmt_kernelIiLi16ELi32ELi8ELc78ELc67ELc76ELb0ELb0EfPKfS1_PfEviT_T9_T10_S3_lS5_S3_lS4_T11_S3_li.private_seg_size, 0
	.set _ZL29rocblas_internal_gemmt_kernelIiLi16ELi32ELi8ELc78ELc67ELc76ELb0ELb0EfPKfS1_PfEviT_T9_T10_S3_lS5_S3_lS4_T11_S3_li.uses_vcc, 1
	.set _ZL29rocblas_internal_gemmt_kernelIiLi16ELi32ELi8ELc78ELc67ELc76ELb0ELb0EfPKfS1_PfEviT_T9_T10_S3_lS5_S3_lS4_T11_S3_li.uses_flat_scratch, 0
	.set _ZL29rocblas_internal_gemmt_kernelIiLi16ELi32ELi8ELc78ELc67ELc76ELb0ELb0EfPKfS1_PfEviT_T9_T10_S3_lS5_S3_lS4_T11_S3_li.has_dyn_sized_stack, 0
	.set _ZL29rocblas_internal_gemmt_kernelIiLi16ELi32ELi8ELc78ELc67ELc76ELb0ELb0EfPKfS1_PfEviT_T9_T10_S3_lS5_S3_lS4_T11_S3_li.has_recursion, 0
	.set _ZL29rocblas_internal_gemmt_kernelIiLi16ELi32ELi8ELc78ELc67ELc76ELb0ELb0EfPKfS1_PfEviT_T9_T10_S3_lS5_S3_lS4_T11_S3_li.has_indirect_call, 0
	.section	.AMDGPU.csdata,"",@progbits
; Kernel info:
; codeLenInByte = 1636
; TotalNumSgprs: 38
; NumVgprs: 52
; ScratchSize: 0
; MemoryBound: 0
; FloatMode: 240
; IeeeMode: 1
; LDSByteSize: 2048 bytes/workgroup (compile time only)
; SGPRBlocks: 0
; VGPRBlocks: 3
; NumSGPRsForWavesPerEU: 38
; NumVGPRsForWavesPerEU: 52
; NamedBarCnt: 0
; Occupancy: 16
; WaveLimiterHint : 0
; COMPUTE_PGM_RSRC2:SCRATCH_EN: 0
; COMPUTE_PGM_RSRC2:USER_SGPR: 2
; COMPUTE_PGM_RSRC2:TRAP_HANDLER: 0
; COMPUTE_PGM_RSRC2:TGID_X_EN: 1
; COMPUTE_PGM_RSRC2:TGID_Y_EN: 1
; COMPUTE_PGM_RSRC2:TGID_Z_EN: 1
; COMPUTE_PGM_RSRC2:TIDIG_COMP_CNT: 1
	.section	.text._ZL29rocblas_internal_gemmt_kernelIiLi16ELi32ELi8ELc84ELc78ELc76ELb0ELb0EfPKfS1_PfEviT_T9_T10_S3_lS5_S3_lS4_T11_S3_li,"axG",@progbits,_ZL29rocblas_internal_gemmt_kernelIiLi16ELi32ELi8ELc84ELc78ELc76ELb0ELb0EfPKfS1_PfEviT_T9_T10_S3_lS5_S3_lS4_T11_S3_li,comdat
	.globl	_ZL29rocblas_internal_gemmt_kernelIiLi16ELi32ELi8ELc84ELc78ELc76ELb0ELb0EfPKfS1_PfEviT_T9_T10_S3_lS5_S3_lS4_T11_S3_li ; -- Begin function _ZL29rocblas_internal_gemmt_kernelIiLi16ELi32ELi8ELc84ELc78ELc76ELb0ELb0EfPKfS1_PfEviT_T9_T10_S3_lS5_S3_lS4_T11_S3_li
	.p2align	8
	.type	_ZL29rocblas_internal_gemmt_kernelIiLi16ELi32ELi8ELc84ELc78ELc76ELb0ELb0EfPKfS1_PfEviT_T9_T10_S3_lS5_S3_lS4_T11_S3_li,@function
_ZL29rocblas_internal_gemmt_kernelIiLi16ELi32ELi8ELc84ELc78ELc76ELb0ELb0EfPKfS1_PfEviT_T9_T10_S3_lS5_S3_lS4_T11_S3_li: ; @_ZL29rocblas_internal_gemmt_kernelIiLi16ELi32ELi8ELc84ELc78ELc76ELb0ELb0EfPKfS1_PfEviT_T9_T10_S3_lS5_S3_lS4_T11_S3_li
; %bb.0:
	s_clause 0x1
	s_load_b128 s[8:11], s[0:1], 0x38
	s_load_b128 s[4:7], s[0:1], 0x8
	s_wait_kmcnt 0x0
	s_load_b32 s19, s[10:11], 0x0
	s_load_b64 s[20:21], s[0:1], 0x0
	s_load_b32 s24, s[4:5], 0x0
	s_wait_kmcnt 0x0
	s_cmp_neq_f32 s19, 1.0
	s_cselect_b32 s2, -1, 0
	s_delay_alu instid0(SALU_CYCLE_1)
	s_and_b32 vcc_lo, exec_lo, s2
	s_cbranch_vccnz .LBB12_2
; %bb.1:
	s_cmp_lg_u32 s21, 0
	s_cselect_b32 s2, -1, 0
	s_cmp_neq_f32 s24, 0
	s_cselect_b32 s3, -1, 0
	s_delay_alu instid0(SALU_CYCLE_1)
	s_and_b32 s2, s2, s3
.LBB12_2:
	s_delay_alu instid0(SALU_CYCLE_1)
	s_and_not1_b32 vcc_lo, exec_lo, s2
	s_cbranch_vccnz .LBB12_33
; %bb.3:
	s_load_b32 s25, s[0:1], 0x60
	s_bfe_u32 s2, ttmp6, 0x40014
	s_lshr_b32 s3, ttmp7, 16
	s_add_co_i32 s2, s2, 1
	s_bfe_u32 s4, ttmp6, 0x40008
	s_mul_i32 s2, s3, s2
	s_getreg_b32 s26, hwreg(HW_REG_IB_STS2, 6, 4)
	s_add_co_i32 s4, s4, s2
	s_cmp_eq_u32 s26, 0
	s_mov_b32 s11, 0
	s_cselect_b32 s10, s3, s4
	s_wait_kmcnt 0x0
	s_cmp_ge_u32 s10, s25
	s_cbranch_scc1 .LBB12_33
; %bb.4:
	s_clause 0x4
	s_load_b32 s4, s[0:1], 0x18
	s_load_b32 s2, s[0:1], 0x30
	s_load_b96 s[16:18], s[0:1], 0x48
	s_load_b128 s[12:15], s[0:1], 0x20
	s_load_b64 s[22:23], s[0:1], 0x58
	s_wait_xcnt 0x0
	s_bfe_u32 s1, ttmp6, 0x4000c
	s_bfe_u32 s3, ttmp6, 0x40010
	v_and_b32_e32 v1, 0x3ff, v0
	v_bfe_u32 v17, v0, 10, 10
	s_and_b32 s28, ttmp7, 0xffff
	s_add_co_i32 s1, s1, 1
	s_add_co_i32 s3, s3, 1
	s_and_b32 s0, ttmp6, 15
	s_mul_i32 s1, ttmp9, s1
	s_mul_i32 s29, s28, s3
	s_bfe_u32 s30, ttmp6, 0x40004
	v_lshl_add_u32 v2, v17, 4, v1
	s_add_co_i32 s0, s0, s1
	s_add_co_i32 s30, s30, s29
	v_lshl_add_u32 v25, v17, 5, 0x400
	s_wait_kmcnt 0x0
	s_ashr_i32 s5, s4, 31
	s_ashr_i32 s3, s2, 31
	;; [unrolled: 1-line block ×3, first 2 shown]
	s_cmp_eq_u32 s26, 0
	v_dual_lshrrev_b32 v20, 5, v2 :: v_dual_lshrrev_b32 v4, 3, v2
	s_cselect_b32 s0, ttmp9, s0
	s_cselect_b32 s1, s28, s30
	s_lshl_b32 s28, s0, 5
	s_lshl_b32 s0, s1, 5
	s_delay_alu instid0(SALU_CYCLE_1) | instskip(SKIP_3) | instid1(VALU_DEP_2)
	v_dual_add_nc_u32 v6, s0, v4 :: v_dual_bitop2_b32 v5, 31, v2 bitop3:0x40
	v_add_nc_u32_e32 v8, s0, v17
	s_mov_b32 s26, s18
	s_cmp_neq_f32 s24, 0
	v_dual_ashrrev_i32 v7, 31, v6 :: v_dual_bitop2_b32 v2, s28, v5 bitop3:0x54
	v_and_b32_e32 v21, 7, v0
	v_dual_add_nc_u32 v14, 16, v8 :: v_dual_lshlrev_b32 v0, 2, v5
	s_delay_alu instid0(VALU_DEP_3) | instskip(NEXT) | instid1(VALU_DEP_4)
	v_ashrrev_i32_e32 v3, 31, v2
	v_mul_u64_e32 v[12:13], s[2:3], v[6:7]
	v_cmp_gt_i32_e64 s0, s20, v2
	s_delay_alu instid0(VALU_DEP_4)
	v_dual_ashrrev_i32 v15, 31, v14 :: v_dual_lshlrev_b32 v16, 2, v21
	v_ashrrev_i32_e32 v9, 31, v8
	v_mul_u64_e32 v[10:11], s[4:5], v[2:3]
	v_lshl_or_b32 v22, v20, 7, v0
	v_dual_add_nc_u32 v0, s28, v1 :: v_dual_lshlrev_b32 v24, 2, v1
	v_lshl_or_b32 v7, v4, 5, v16
	v_mul_u64_e32 v[2:3], s[26:27], v[8:9]
	v_mul_u64_e32 v[4:5], s[26:27], v[14:15]
	s_cselect_b32 s29, -1, 0
	s_cmp_gt_i32 s21, 0
	v_cmp_gt_i32_e64 s1, s20, v6
	v_cmp_le_i32_e32 vcc_lo, v8, v0
	v_cmp_gt_i32_e64 s2, s20, v0
	v_dual_mov_b32 v9, 0 :: v_dual_add_nc_u32 v6, 16, v0
	s_cselect_b32 s5, -1, 0
	s_cmp_neq_f32 s19, 0
	v_cmp_le_i32_e64 s4, v14, v0
	s_delay_alu instid0(VALU_DEP_2)
	v_cmp_gt_i32_e64 s3, s20, v6
	v_mov_b32_e32 v17, v9
	s_cselect_b32 s18, -1, 0
	s_and_b32 s26, vcc_lo, s2
	v_cmp_le_i32_e32 vcc_lo, v8, v6
	v_lshlrev_b32_e32 v8, 2, v20
	v_add_nc_u32_e32 v23, 0x400, v7
	v_dual_ashrrev_i32 v1, 31, v0 :: v_dual_ashrrev_i32 v7, 31, v6
	s_and_b32 s20, vcc_lo, s3
	v_cmp_le_i32_e32 vcc_lo, v14, v6
	s_and_b32 s27, s4, s2
	v_lshl_add_u64 v[8:9], v[10:11], 2, v[8:9]
	v_lshl_add_u64 v[10:11], v[12:13], 2, v[16:17]
	s_delay_alu instid0(VALU_DEP_2) | instskip(NEXT) | instid1(VALU_DEP_2)
	v_add_nc_u64_e32 v[8:9], s[6:7], v[8:9]
	v_add_nc_u64_e32 v[10:11], s[14:15], v[10:11]
	s_and_b32 s14, s29, s5
	s_and_b32 s15, vcc_lo, s3
	s_lshl_b64 s[2:3], s[12:13], 2
	s_lshl_b64 s[4:5], s[8:9], 2
	s_branch .LBB12_6
.LBB12_5:                               ;   in Loop: Header=BB12_6 Depth=1
	s_wait_xcnt 0x0
	s_or_b32 exec_lo, exec_lo, s6
	s_add_co_i32 s10, s10, 0x10000
	s_delay_alu instid0(SALU_CYCLE_1)
	s_cmp_lt_u32 s10, s25
	s_cbranch_scc0 .LBB12_33
.LBB12_6:                               ; =>This Loop Header: Depth=1
                                        ;     Child Loop BB12_9 Depth 2
	v_dual_mov_b32 v19, 0 :: v_dual_mov_b32 v18, 0
	v_dual_mov_b32 v13, 0 :: v_dual_mov_b32 v12, 0
	s_and_not1_b32 vcc_lo, exec_lo, s14
	s_cbranch_vccnz .LBB12_13
; %bb.7:                                ;   in Loop: Header=BB12_6 Depth=1
	v_mad_nc_u64_u32 v[14:15], s2, s10, v[8:9]
	v_mad_nc_u64_u32 v[16:17], s4, s10, v[10:11]
	v_mov_b32_e32 v12, 0
	s_mov_b32 s6, 0
	s_delay_alu instid0(VALU_DEP_1)
	v_dual_mov_b32 v13, v12 :: v_dual_mov_b32 v18, v12
	v_mov_b32_e32 v19, v12
	v_mad_u32 v15, s3, s10, v15
	v_mad_u32 v17, s5, s10, v17
	s_branch .LBB12_9
.LBB12_8:                               ;   in Loop: Header=BB12_9 Depth=2
	s_wait_xcnt 0x0
	s_or_b32 exec_lo, exec_lo, s7
	s_wait_loadcnt 0x0
	ds_store_b32 v23, v27
	s_wait_dscnt 0x0
	s_barrier_signal -1
	s_barrier_wait -1
	ds_load_b128 v[26:29], v25
	ds_load_2addr_b32 v[42:43], v24 offset1:16
	ds_load_b128 v[30:33], v25 offset:512
	ds_load_2addr_b32 v[44:45], v24 offset0:32 offset1:48
	ds_load_2addr_b32 v[46:47], v24 offset0:64 offset1:80
	;; [unrolled: 1-line block ×3, first 2 shown]
	ds_load_b128 v[34:37], v25 offset:16
	ds_load_2addr_b32 v[50:51], v24 offset0:128 offset1:144
	ds_load_b128 v[38:41], v25 offset:528
	v_add_nc_u64_e32 v[14:15], 32, v[14:15]
	v_add_nc_u64_e32 v[16:17], 32, v[16:17]
	s_add_co_i32 s6, s6, 8
	s_delay_alu instid0(SALU_CYCLE_1)
	s_cmp_lt_i32 s6, s21
	s_wait_dscnt 0x7
	v_pk_fma_f32 v[18:19], v[42:43], v[26:27], v[18:19] op_sel_hi:[1,0,1]
	s_wait_dscnt 0x6
	v_pk_fma_f32 v[12:13], v[42:43], v[30:31], v[12:13] op_sel_hi:[1,0,1]
	ds_load_2addr_b32 v[42:43], v24 offset0:160 offset1:176
	s_wait_dscnt 0x6
	v_pk_fma_f32 v[18:19], v[44:45], v[26:27], v[18:19] op_sel:[0,1,0]
	v_pk_fma_f32 v[12:13], v[44:45], v[30:31], v[12:13] op_sel:[0,1,0]
	ds_load_2addr_b32 v[26:27], v24 offset0:192 offset1:208
	v_dual_mov_b32 v30, v29 :: v_dual_mov_b32 v44, v33
	s_wait_dscnt 0x6
	v_pk_fma_f32 v[18:19], v[46:47], v[28:29], v[18:19] op_sel_hi:[1,0,1]
	v_pk_fma_f32 v[12:13], v[46:47], v[32:33], v[12:13] op_sel_hi:[1,0,1]
	ds_load_2addr_b32 v[28:29], v24 offset0:224 offset1:240
	s_wait_dscnt 0x3
	v_mov_b32_e32 v32, v41
	s_wait_dscnt 0x0
	v_pk_fma_f32 v[18:19], v[48:49], v[30:31], v[18:19] op_sel_hi:[1,0,1]
	v_pk_fma_f32 v[12:13], v[48:49], v[44:45], v[12:13] op_sel_hi:[1,0,1]
	v_mov_b32_e32 v30, v37
	s_barrier_signal -1
	s_barrier_wait -1
	v_pk_fma_f32 v[18:19], v[50:51], v[34:35], v[18:19] op_sel_hi:[1,0,1]
	v_pk_fma_f32 v[12:13], v[50:51], v[38:39], v[12:13] op_sel_hi:[1,0,1]
	s_delay_alu instid0(VALU_DEP_2) | instskip(NEXT) | instid1(VALU_DEP_2)
	v_pk_fma_f32 v[18:19], v[42:43], v[34:35], v[18:19] op_sel:[0,1,0]
	v_pk_fma_f32 v[12:13], v[42:43], v[38:39], v[12:13] op_sel:[0,1,0]
	s_delay_alu instid0(VALU_DEP_2) | instskip(NEXT) | instid1(VALU_DEP_2)
	v_pk_fma_f32 v[18:19], v[26:27], v[36:37], v[18:19] op_sel_hi:[1,0,1]
	v_pk_fma_f32 v[12:13], v[26:27], v[40:41], v[12:13] op_sel_hi:[1,0,1]
	s_delay_alu instid0(VALU_DEP_2) | instskip(NEXT) | instid1(VALU_DEP_2)
	v_pk_fma_f32 v[18:19], v[28:29], v[30:31], v[18:19] op_sel_hi:[1,0,1]
	v_pk_fma_f32 v[12:13], v[28:29], v[32:33], v[12:13] op_sel_hi:[1,0,1]
	s_cbranch_scc0 .LBB12_13
.LBB12_9:                               ;   Parent Loop BB12_6 Depth=1
                                        ; =>  This Inner Loop Header: Depth=2
	v_add_nc_u32_e32 v26, s6, v20
	s_delay_alu instid0(VALU_DEP_1) | instskip(SKIP_2) | instid1(SALU_CYCLE_1)
	v_cmp_gt_i32_e32 vcc_lo, s21, v26
	v_mov_b32_e32 v26, 0
	s_and_b32 s8, s0, vcc_lo
	s_and_saveexec_b32 s7, s8
	s_cbranch_execz .LBB12_11
; %bb.10:                               ;   in Loop: Header=BB12_9 Depth=2
	global_load_b32 v26, v[14:15], off
.LBB12_11:                              ;   in Loop: Header=BB12_9 Depth=2
	s_wait_xcnt 0x0
	s_or_b32 exec_lo, exec_lo, s7
	v_add_nc_u32_e32 v27, s6, v21
	s_wait_loadcnt 0x0
	ds_store_b32 v22, v26
	v_cmp_gt_i32_e32 vcc_lo, s21, v27
	v_mov_b32_e32 v27, 0
	s_and_b32 s8, vcc_lo, s1
	s_delay_alu instid0(SALU_CYCLE_1)
	s_and_saveexec_b32 s7, s8
	s_cbranch_execz .LBB12_8
; %bb.12:                               ;   in Loop: Header=BB12_9 Depth=2
	global_load_b32 v27, v[16:17], off
	s_branch .LBB12_8
.LBB12_13:                              ;   in Loop: Header=BB12_6 Depth=1
	s_mul_u64 s[6:7], s[22:23], s[10:11]
	s_delay_alu instid0(SALU_CYCLE_1) | instskip(NEXT) | instid1(SALU_CYCLE_1)
	s_lshl_b64 s[6:7], s[6:7], 2
	s_add_nc_u64 s[6:7], s[16:17], s[6:7]
	s_delay_alu instid0(SALU_CYCLE_1)
	v_lshl_add_u64 v[14:15], v[2:3], 2, s[6:7]
	s_and_saveexec_b32 s8, s26
	s_cbranch_execz .LBB12_17
; %bb.14:                               ;   in Loop: Header=BB12_6 Depth=1
	v_mul_f32_e32 v18, s24, v18
	s_delay_alu instid0(VALU_DEP_2)
	v_lshl_add_u64 v[16:17], v[0:1], 2, v[14:15]
	s_and_b32 vcc_lo, exec_lo, s18
	s_cbranch_vccz .LBB12_28
; %bb.15:                               ;   in Loop: Header=BB12_6 Depth=1
	global_load_b32 v26, v[16:17], off
	s_wait_loadcnt 0x0
	v_fma_f32 v26, s19, v26, v18
	global_store_b32 v[16:17], v26, off
	s_cbranch_execnz .LBB12_17
.LBB12_16:                              ;   in Loop: Header=BB12_6 Depth=1
	global_store_b32 v[16:17], v18, off
.LBB12_17:                              ;   in Loop: Header=BB12_6 Depth=1
	s_wait_xcnt 0x0
	s_or_b32 exec_lo, exec_lo, s8
	s_and_saveexec_b32 s8, s20
	s_cbranch_execz .LBB12_21
; %bb.18:                               ;   in Loop: Header=BB12_6 Depth=1
	v_mul_f32_e32 v16, s24, v19
	v_lshl_add_u64 v[14:15], v[6:7], 2, v[14:15]
	s_and_not1_b32 vcc_lo, exec_lo, s18
	s_cbranch_vccnz .LBB12_29
; %bb.19:                               ;   in Loop: Header=BB12_6 Depth=1
	global_load_b32 v17, v[14:15], off
	s_wait_loadcnt 0x0
	v_fma_f32 v17, s19, v17, v16
	global_store_b32 v[14:15], v17, off
	s_cbranch_execnz .LBB12_21
.LBB12_20:                              ;   in Loop: Header=BB12_6 Depth=1
	global_store_b32 v[14:15], v16, off
.LBB12_21:                              ;   in Loop: Header=BB12_6 Depth=1
	s_wait_xcnt 0x0
	s_or_b32 exec_lo, exec_lo, s8
	v_lshl_add_u64 v[14:15], v[4:5], 2, s[6:7]
	s_and_saveexec_b32 s6, s27
	s_cbranch_execz .LBB12_25
; %bb.22:                               ;   in Loop: Header=BB12_6 Depth=1
	v_mul_f32_e32 v12, s24, v12
	s_delay_alu instid0(VALU_DEP_2)
	v_lshl_add_u64 v[16:17], v[0:1], 2, v[14:15]
	s_and_not1_b32 vcc_lo, exec_lo, s18
	s_cbranch_vccnz .LBB12_30
; %bb.23:                               ;   in Loop: Header=BB12_6 Depth=1
	global_load_b32 v18, v[16:17], off
	s_wait_loadcnt 0x0
	v_fma_f32 v18, s19, v18, v12
	global_store_b32 v[16:17], v18, off
	s_cbranch_execnz .LBB12_25
.LBB12_24:                              ;   in Loop: Header=BB12_6 Depth=1
	global_store_b32 v[16:17], v12, off
.LBB12_25:                              ;   in Loop: Header=BB12_6 Depth=1
	s_wait_xcnt 0x0
	s_or_b32 exec_lo, exec_lo, s6
	s_and_saveexec_b32 s6, s15
	s_cbranch_execz .LBB12_5
; %bb.26:                               ;   in Loop: Header=BB12_6 Depth=1
	v_mul_f32_e32 v16, s24, v13
	v_lshl_add_u64 v[12:13], v[6:7], 2, v[14:15]
	s_and_not1_b32 vcc_lo, exec_lo, s18
	s_cbranch_vccnz .LBB12_31
; %bb.27:                               ;   in Loop: Header=BB12_6 Depth=1
	global_load_b32 v14, v[12:13], off
	s_wait_loadcnt 0x0
	v_fma_f32 v14, s19, v14, v16
	global_store_b32 v[12:13], v14, off
	s_cbranch_execnz .LBB12_5
	s_branch .LBB12_32
.LBB12_28:                              ;   in Loop: Header=BB12_6 Depth=1
	s_branch .LBB12_16
.LBB12_29:                              ;   in Loop: Header=BB12_6 Depth=1
	s_branch .LBB12_20
.LBB12_30:                              ;   in Loop: Header=BB12_6 Depth=1
	s_branch .LBB12_24
.LBB12_31:                              ;   in Loop: Header=BB12_6 Depth=1
.LBB12_32:                              ;   in Loop: Header=BB12_6 Depth=1
	global_store_b32 v[12:13], v16, off
	s_branch .LBB12_5
.LBB12_33:
	s_endpgm
	.section	.rodata,"a",@progbits
	.p2align	6, 0x0
	.amdhsa_kernel _ZL29rocblas_internal_gemmt_kernelIiLi16ELi32ELi8ELc84ELc78ELc76ELb0ELb0EfPKfS1_PfEviT_T9_T10_S3_lS5_S3_lS4_T11_S3_li
		.amdhsa_group_segment_fixed_size 2048
		.amdhsa_private_segment_fixed_size 0
		.amdhsa_kernarg_size 100
		.amdhsa_user_sgpr_count 2
		.amdhsa_user_sgpr_dispatch_ptr 0
		.amdhsa_user_sgpr_queue_ptr 0
		.amdhsa_user_sgpr_kernarg_segment_ptr 1
		.amdhsa_user_sgpr_dispatch_id 0
		.amdhsa_user_sgpr_kernarg_preload_length 0
		.amdhsa_user_sgpr_kernarg_preload_offset 0
		.amdhsa_user_sgpr_private_segment_size 0
		.amdhsa_wavefront_size32 1
		.amdhsa_uses_dynamic_stack 0
		.amdhsa_enable_private_segment 0
		.amdhsa_system_sgpr_workgroup_id_x 1
		.amdhsa_system_sgpr_workgroup_id_y 1
		.amdhsa_system_sgpr_workgroup_id_z 1
		.amdhsa_system_sgpr_workgroup_info 0
		.amdhsa_system_vgpr_workitem_id 1
		.amdhsa_next_free_vgpr 52
		.amdhsa_next_free_sgpr 31
		.amdhsa_named_barrier_count 0
		.amdhsa_reserve_vcc 1
		.amdhsa_float_round_mode_32 0
		.amdhsa_float_round_mode_16_64 0
		.amdhsa_float_denorm_mode_32 3
		.amdhsa_float_denorm_mode_16_64 3
		.amdhsa_fp16_overflow 0
		.amdhsa_memory_ordered 1
		.amdhsa_forward_progress 1
		.amdhsa_inst_pref_size 13
		.amdhsa_round_robin_scheduling 0
		.amdhsa_exception_fp_ieee_invalid_op 0
		.amdhsa_exception_fp_denorm_src 0
		.amdhsa_exception_fp_ieee_div_zero 0
		.amdhsa_exception_fp_ieee_overflow 0
		.amdhsa_exception_fp_ieee_underflow 0
		.amdhsa_exception_fp_ieee_inexact 0
		.amdhsa_exception_int_div_zero 0
	.end_amdhsa_kernel
	.section	.text._ZL29rocblas_internal_gemmt_kernelIiLi16ELi32ELi8ELc84ELc78ELc76ELb0ELb0EfPKfS1_PfEviT_T9_T10_S3_lS5_S3_lS4_T11_S3_li,"axG",@progbits,_ZL29rocblas_internal_gemmt_kernelIiLi16ELi32ELi8ELc84ELc78ELc76ELb0ELb0EfPKfS1_PfEviT_T9_T10_S3_lS5_S3_lS4_T11_S3_li,comdat
.Lfunc_end12:
	.size	_ZL29rocblas_internal_gemmt_kernelIiLi16ELi32ELi8ELc84ELc78ELc76ELb0ELb0EfPKfS1_PfEviT_T9_T10_S3_lS5_S3_lS4_T11_S3_li, .Lfunc_end12-_ZL29rocblas_internal_gemmt_kernelIiLi16ELi32ELi8ELc84ELc78ELc76ELb0ELb0EfPKfS1_PfEviT_T9_T10_S3_lS5_S3_lS4_T11_S3_li
                                        ; -- End function
	.set _ZL29rocblas_internal_gemmt_kernelIiLi16ELi32ELi8ELc84ELc78ELc76ELb0ELb0EfPKfS1_PfEviT_T9_T10_S3_lS5_S3_lS4_T11_S3_li.num_vgpr, 52
	.set _ZL29rocblas_internal_gemmt_kernelIiLi16ELi32ELi8ELc84ELc78ELc76ELb0ELb0EfPKfS1_PfEviT_T9_T10_S3_lS5_S3_lS4_T11_S3_li.num_agpr, 0
	.set _ZL29rocblas_internal_gemmt_kernelIiLi16ELi32ELi8ELc84ELc78ELc76ELb0ELb0EfPKfS1_PfEviT_T9_T10_S3_lS5_S3_lS4_T11_S3_li.numbered_sgpr, 31
	.set _ZL29rocblas_internal_gemmt_kernelIiLi16ELi32ELi8ELc84ELc78ELc76ELb0ELb0EfPKfS1_PfEviT_T9_T10_S3_lS5_S3_lS4_T11_S3_li.num_named_barrier, 0
	.set _ZL29rocblas_internal_gemmt_kernelIiLi16ELi32ELi8ELc84ELc78ELc76ELb0ELb0EfPKfS1_PfEviT_T9_T10_S3_lS5_S3_lS4_T11_S3_li.private_seg_size, 0
	.set _ZL29rocblas_internal_gemmt_kernelIiLi16ELi32ELi8ELc84ELc78ELc76ELb0ELb0EfPKfS1_PfEviT_T9_T10_S3_lS5_S3_lS4_T11_S3_li.uses_vcc, 1
	.set _ZL29rocblas_internal_gemmt_kernelIiLi16ELi32ELi8ELc84ELc78ELc76ELb0ELb0EfPKfS1_PfEviT_T9_T10_S3_lS5_S3_lS4_T11_S3_li.uses_flat_scratch, 0
	.set _ZL29rocblas_internal_gemmt_kernelIiLi16ELi32ELi8ELc84ELc78ELc76ELb0ELb0EfPKfS1_PfEviT_T9_T10_S3_lS5_S3_lS4_T11_S3_li.has_dyn_sized_stack, 0
	.set _ZL29rocblas_internal_gemmt_kernelIiLi16ELi32ELi8ELc84ELc78ELc76ELb0ELb0EfPKfS1_PfEviT_T9_T10_S3_lS5_S3_lS4_T11_S3_li.has_recursion, 0
	.set _ZL29rocblas_internal_gemmt_kernelIiLi16ELi32ELi8ELc84ELc78ELc76ELb0ELb0EfPKfS1_PfEviT_T9_T10_S3_lS5_S3_lS4_T11_S3_li.has_indirect_call, 0
	.section	.AMDGPU.csdata,"",@progbits
; Kernel info:
; codeLenInByte = 1640
; TotalNumSgprs: 33
; NumVgprs: 52
; ScratchSize: 0
; MemoryBound: 0
; FloatMode: 240
; IeeeMode: 1
; LDSByteSize: 2048 bytes/workgroup (compile time only)
; SGPRBlocks: 0
; VGPRBlocks: 3
; NumSGPRsForWavesPerEU: 33
; NumVGPRsForWavesPerEU: 52
; NamedBarCnt: 0
; Occupancy: 16
; WaveLimiterHint : 0
; COMPUTE_PGM_RSRC2:SCRATCH_EN: 0
; COMPUTE_PGM_RSRC2:USER_SGPR: 2
; COMPUTE_PGM_RSRC2:TRAP_HANDLER: 0
; COMPUTE_PGM_RSRC2:TGID_X_EN: 1
; COMPUTE_PGM_RSRC2:TGID_Y_EN: 1
; COMPUTE_PGM_RSRC2:TGID_Z_EN: 1
; COMPUTE_PGM_RSRC2:TIDIG_COMP_CNT: 1
	.section	.text._ZL29rocblas_internal_gemmt_kernelIiLi16ELi32ELi8ELc84ELc84ELc76ELb0ELb0EfPKfS1_PfEviT_T9_T10_S3_lS5_S3_lS4_T11_S3_li,"axG",@progbits,_ZL29rocblas_internal_gemmt_kernelIiLi16ELi32ELi8ELc84ELc84ELc76ELb0ELb0EfPKfS1_PfEviT_T9_T10_S3_lS5_S3_lS4_T11_S3_li,comdat
	.globl	_ZL29rocblas_internal_gemmt_kernelIiLi16ELi32ELi8ELc84ELc84ELc76ELb0ELb0EfPKfS1_PfEviT_T9_T10_S3_lS5_S3_lS4_T11_S3_li ; -- Begin function _ZL29rocblas_internal_gemmt_kernelIiLi16ELi32ELi8ELc84ELc84ELc76ELb0ELb0EfPKfS1_PfEviT_T9_T10_S3_lS5_S3_lS4_T11_S3_li
	.p2align	8
	.type	_ZL29rocblas_internal_gemmt_kernelIiLi16ELi32ELi8ELc84ELc84ELc76ELb0ELb0EfPKfS1_PfEviT_T9_T10_S3_lS5_S3_lS4_T11_S3_li,@function
_ZL29rocblas_internal_gemmt_kernelIiLi16ELi32ELi8ELc84ELc84ELc76ELb0ELb0EfPKfS1_PfEviT_T9_T10_S3_lS5_S3_lS4_T11_S3_li: ; @_ZL29rocblas_internal_gemmt_kernelIiLi16ELi32ELi8ELc84ELc84ELc76ELb0ELb0EfPKfS1_PfEviT_T9_T10_S3_lS5_S3_lS4_T11_S3_li
; %bb.0:
	s_clause 0x1
	s_load_b128 s[8:11], s[0:1], 0x38
	s_load_b128 s[4:7], s[0:1], 0x8
	s_wait_kmcnt 0x0
	s_load_b32 s19, s[10:11], 0x0
	s_load_b64 s[20:21], s[0:1], 0x0
	s_load_b32 s26, s[4:5], 0x0
	s_wait_kmcnt 0x0
	s_cmp_neq_f32 s19, 1.0
	s_cselect_b32 s2, -1, 0
	s_delay_alu instid0(SALU_CYCLE_1)
	s_and_b32 vcc_lo, exec_lo, s2
	s_cbranch_vccnz .LBB13_2
; %bb.1:
	s_cmp_lg_u32 s21, 0
	s_cselect_b32 s2, -1, 0
	s_cmp_neq_f32 s26, 0
	s_cselect_b32 s3, -1, 0
	s_delay_alu instid0(SALU_CYCLE_1)
	s_and_b32 s2, s2, s3
.LBB13_2:
	s_delay_alu instid0(SALU_CYCLE_1)
	s_and_not1_b32 vcc_lo, exec_lo, s2
	s_cbranch_vccnz .LBB13_33
; %bb.3:
	s_load_b32 s27, s[0:1], 0x60
	s_bfe_u32 s2, ttmp6, 0x40014
	s_lshr_b32 s3, ttmp7, 16
	s_add_co_i32 s2, s2, 1
	s_bfe_u32 s5, ttmp6, 0x40008
	s_mul_i32 s2, s3, s2
	s_getreg_b32 s4, hwreg(HW_REG_IB_STS2, 6, 4)
	s_add_co_i32 s5, s5, s2
	s_cmp_eq_u32 s4, 0
	s_mov_b32 s11, 0
	s_cselect_b32 s10, s3, s5
	s_wait_kmcnt 0x0
	s_cmp_ge_u32 s10, s27
	s_cbranch_scc1 .LBB13_33
; %bb.4:
	s_clause 0x3
	s_load_b32 s2, s[0:1], 0x18
	s_load_b32 s24, s[0:1], 0x30
	s_load_b96 s[16:18], s[0:1], 0x48
	s_load_b128 s[12:15], s[0:1], 0x20
	v_and_b32_e32 v8, 0x3ff, v0
	v_bfe_u32 v9, v0, 10, 10
	s_load_b64 s[22:23], s[0:1], 0x58
	s_wait_xcnt 0x0
	s_bfe_u32 s1, ttmp6, 0x4000c
	s_bfe_u32 s3, ttmp6, 0x40010
	s_and_b32 s28, ttmp7, 0xffff
	s_add_co_i32 s1, s1, 1
	s_add_co_i32 s3, s3, 1
	v_lshl_add_u32 v1, v9, 4, v8
	s_and_b32 s0, ttmp6, 15
	s_mul_i32 s1, ttmp9, s1
	s_mul_i32 s29, s28, s3
	s_bfe_u32 s30, ttmp6, 0x40004
	s_add_co_i32 s0, s0, s1
	s_add_co_i32 s30, s30, s29
	v_dual_lshrrev_b32 v5, 3, v1 :: v_dual_bitop2_b32 v4, 31, v1 bitop3:0x40
	s_wait_kmcnt 0x0
	s_ashr_i32 s3, s2, 31
	s_ashr_i32 s25, s24, 31
	s_ashr_i32 s5, s18, 31
	s_cmp_eq_u32 s4, 0
	v_dual_lshrrev_b32 v22, 5, v1 :: v_dual_bitop2_b32 v0, 7, v0 bitop3:0x40
	s_cselect_b32 s0, ttmp9, s0
	s_cselect_b32 s1, s28, s30
	s_lshl_b32 s28, s0, 5
	s_delay_alu instid0(SALU_CYCLE_1) | instskip(SKIP_2) | instid1(VALU_DEP_1)
	v_dual_mov_b32 v11, 0 :: v_dual_bitop2_b32 v2, s28, v4 bitop3:0x54
	s_lshl_b32 s0, s1, 5
	s_mov_b32 s4, s18
	v_dual_mov_b32 v1, v11 :: v_dual_add_nc_u32 v12, s0, v5
	s_delay_alu instid0(VALU_DEP_2) | instskip(SKIP_2) | instid1(VALU_DEP_4)
	v_dual_add_nc_u32 v14, s0, v9 :: v_dual_ashrrev_i32 v3, 31, v2
	v_lshlrev_b32_e32 v4, 2, v4
	v_cmp_gt_i32_e64 s0, s20, v2
	v_mul_u64_e32 v[18:19], s[24:25], v[0:1]
	s_delay_alu instid0(VALU_DEP_4) | instskip(SKIP_3) | instid1(VALU_DEP_4)
	v_add_nc_u32_e32 v20, 16, v14
	v_mul_u64_e32 v[16:17], s[2:3], v[2:3]
	v_dual_lshlrev_b32 v3, 2, v0 :: v_dual_ashrrev_i32 v15, 31, v14
	v_dual_add_nc_u32 v2, s28, v8 :: v_dual_lshlrev_b32 v24, 2, v8
	v_ashrrev_i32_e32 v21, 31, v20
	v_lshl_or_b32 v1, v22, 7, v4
	s_delay_alu instid0(VALU_DEP_4)
	v_lshl_or_b32 v3, v5, 5, v3
	v_mul_u64_e32 v[4:5], s[4:5], v[14:15]
	v_add_nc_u32_e32 v8, 16, v2
	v_mul_u64_e32 v[6:7], s[4:5], v[20:21]
	v_dual_ashrrev_i32 v13, 31, v12 :: v_dual_lshlrev_b32 v10, 2, v22
	v_cmp_gt_i32_e64 s1, s20, v12
	s_cmp_neq_f32 s26, 0
	v_cmp_le_i32_e32 vcc_lo, v14, v2
	v_lshlrev_b64_e32 v[12:13], 2, v[12:13]
	v_cmp_gt_i32_e64 s2, s20, v2
	s_cselect_b32 s31, -1, 0
	s_cmp_gt_i32 s21, 0
	v_cmp_le_i32_e64 s3, v14, v8
	v_cmp_gt_i32_e64 s4, s20, v8
	s_cselect_b32 s33, -1, 0
	s_cmp_neq_f32 s19, 0
	v_add_nc_u32_e32 v23, 0x400, v3
	v_lshl_add_u32 v25, v9, 5, 0x400
	v_dual_ashrrev_i32 v3, 31, v2 :: v_dual_ashrrev_i32 v9, 31, v8
	s_cselect_b32 s18, -1, 0
	s_and_b32 s20, vcc_lo, s2
	v_lshl_add_u64 v[12:13], v[18:19], 2, v[12:13]
	s_and_b32 s28, s3, s4
	v_lshl_add_u64 v[10:11], v[16:17], 2, v[10:11]
	v_cmp_le_i32_e32 vcc_lo, v20, v2
	v_cmp_le_i32_e64 s3, v20, v8
	v_add_nc_u64_e32 v[12:13], s[14:15], v[12:13]
	s_and_b32 s14, s31, s33
	v_add_nc_u64_e32 v[10:11], s[6:7], v[10:11]
	s_and_b32 s29, vcc_lo, s2
	s_and_b32 s30, s3, s4
	s_lshl_b64 s[2:3], s[12:13], 2
	s_lshl_b64 s[4:5], s[8:9], 2
	;; [unrolled: 1-line block ×3, first 2 shown]
	s_branch .LBB13_6
.LBB13_5:                               ;   in Loop: Header=BB13_6 Depth=1
	s_wait_xcnt 0x0
	s_or_b32 exec_lo, exec_lo, s8
	s_add_co_i32 s10, s10, 0x10000
	s_delay_alu instid0(SALU_CYCLE_1)
	s_cmp_lt_u32 s10, s27
	s_cbranch_scc0 .LBB13_33
.LBB13_6:                               ; =>This Loop Header: Depth=1
                                        ;     Child Loop BB13_9 Depth 2
	v_dual_mov_b32 v21, 0 :: v_dual_mov_b32 v20, 0
	v_dual_mov_b32 v15, 0 :: v_dual_mov_b32 v14, 0
	s_and_not1_b32 vcc_lo, exec_lo, s14
	s_cbranch_vccnz .LBB13_13
; %bb.7:                                ;   in Loop: Header=BB13_6 Depth=1
	v_mad_nc_u64_u32 v[16:17], s2, s10, v[10:11]
	v_mad_nc_u64_u32 v[18:19], s4, s10, v[12:13]
	v_mov_b32_e32 v14, 0
	s_mov_b32 s8, 0
	s_delay_alu instid0(VALU_DEP_1)
	v_dual_mov_b32 v15, v14 :: v_dual_mov_b32 v20, v14
	v_mov_b32_e32 v21, v14
	v_mad_u32 v17, s3, s10, v17
	v_mad_u32 v19, s5, s10, v19
	s_branch .LBB13_9
.LBB13_8:                               ;   in Loop: Header=BB13_9 Depth=2
	s_wait_xcnt 0x0
	s_or_b32 exec_lo, exec_lo, s9
	s_wait_loadcnt 0x0
	ds_store_b32 v23, v27
	s_wait_dscnt 0x0
	s_barrier_signal -1
	s_barrier_wait -1
	ds_load_b128 v[26:29], v25
	ds_load_2addr_b32 v[42:43], v24 offset1:16
	ds_load_b128 v[30:33], v25 offset:512
	ds_load_2addr_b32 v[44:45], v24 offset0:32 offset1:48
	ds_load_2addr_b32 v[46:47], v24 offset0:64 offset1:80
	;; [unrolled: 1-line block ×3, first 2 shown]
	ds_load_b128 v[34:37], v25 offset:16
	ds_load_2addr_b32 v[50:51], v24 offset0:128 offset1:144
	ds_load_b128 v[38:41], v25 offset:528
	v_add_nc_u64_e32 v[16:17], 32, v[16:17]
	v_add_nc_u64_e32 v[18:19], s[6:7], v[18:19]
	s_add_co_i32 s8, s8, 8
	s_delay_alu instid0(SALU_CYCLE_1)
	s_cmp_lt_i32 s8, s21
	s_wait_dscnt 0x7
	v_pk_fma_f32 v[20:21], v[42:43], v[26:27], v[20:21] op_sel_hi:[1,0,1]
	s_wait_dscnt 0x6
	v_pk_fma_f32 v[14:15], v[42:43], v[30:31], v[14:15] op_sel_hi:[1,0,1]
	ds_load_2addr_b32 v[42:43], v24 offset0:160 offset1:176
	s_wait_dscnt 0x6
	v_pk_fma_f32 v[20:21], v[44:45], v[26:27], v[20:21] op_sel:[0,1,0]
	v_pk_fma_f32 v[14:15], v[44:45], v[30:31], v[14:15] op_sel:[0,1,0]
	ds_load_2addr_b32 v[26:27], v24 offset0:192 offset1:208
	v_dual_mov_b32 v30, v29 :: v_dual_mov_b32 v44, v33
	s_wait_dscnt 0x6
	v_pk_fma_f32 v[20:21], v[46:47], v[28:29], v[20:21] op_sel_hi:[1,0,1]
	v_pk_fma_f32 v[14:15], v[46:47], v[32:33], v[14:15] op_sel_hi:[1,0,1]
	ds_load_2addr_b32 v[28:29], v24 offset0:224 offset1:240
	s_wait_dscnt 0x3
	v_mov_b32_e32 v32, v41
	s_wait_dscnt 0x0
	v_pk_fma_f32 v[20:21], v[48:49], v[30:31], v[20:21] op_sel_hi:[1,0,1]
	v_pk_fma_f32 v[14:15], v[48:49], v[44:45], v[14:15] op_sel_hi:[1,0,1]
	v_mov_b32_e32 v30, v37
	s_barrier_signal -1
	s_barrier_wait -1
	v_pk_fma_f32 v[20:21], v[50:51], v[34:35], v[20:21] op_sel_hi:[1,0,1]
	v_pk_fma_f32 v[14:15], v[50:51], v[38:39], v[14:15] op_sel_hi:[1,0,1]
	s_delay_alu instid0(VALU_DEP_2) | instskip(NEXT) | instid1(VALU_DEP_2)
	v_pk_fma_f32 v[20:21], v[42:43], v[34:35], v[20:21] op_sel:[0,1,0]
	v_pk_fma_f32 v[14:15], v[42:43], v[38:39], v[14:15] op_sel:[0,1,0]
	s_delay_alu instid0(VALU_DEP_2) | instskip(NEXT) | instid1(VALU_DEP_2)
	v_pk_fma_f32 v[20:21], v[26:27], v[36:37], v[20:21] op_sel_hi:[1,0,1]
	v_pk_fma_f32 v[14:15], v[26:27], v[40:41], v[14:15] op_sel_hi:[1,0,1]
	s_delay_alu instid0(VALU_DEP_2) | instskip(NEXT) | instid1(VALU_DEP_2)
	v_pk_fma_f32 v[20:21], v[28:29], v[30:31], v[20:21] op_sel_hi:[1,0,1]
	v_pk_fma_f32 v[14:15], v[28:29], v[32:33], v[14:15] op_sel_hi:[1,0,1]
	s_cbranch_scc0 .LBB13_13
.LBB13_9:                               ;   Parent Loop BB13_6 Depth=1
                                        ; =>  This Inner Loop Header: Depth=2
	v_add_nc_u32_e32 v26, s8, v22
	s_delay_alu instid0(VALU_DEP_1) | instskip(SKIP_2) | instid1(SALU_CYCLE_1)
	v_cmp_gt_i32_e32 vcc_lo, s21, v26
	v_mov_b32_e32 v26, 0
	s_and_b32 s12, s0, vcc_lo
	s_and_saveexec_b32 s9, s12
	s_cbranch_execz .LBB13_11
; %bb.10:                               ;   in Loop: Header=BB13_9 Depth=2
	global_load_b32 v26, v[16:17], off
.LBB13_11:                              ;   in Loop: Header=BB13_9 Depth=2
	s_wait_xcnt 0x0
	s_or_b32 exec_lo, exec_lo, s9
	v_add_nc_u32_e32 v27, s8, v0
	s_wait_loadcnt 0x0
	ds_store_b32 v1, v26
	v_cmp_gt_i32_e32 vcc_lo, s21, v27
	v_mov_b32_e32 v27, 0
	s_and_b32 s12, vcc_lo, s1
	s_delay_alu instid0(SALU_CYCLE_1)
	s_and_saveexec_b32 s9, s12
	s_cbranch_execz .LBB13_8
; %bb.12:                               ;   in Loop: Header=BB13_9 Depth=2
	global_load_b32 v27, v[18:19], off
	s_branch .LBB13_8
.LBB13_13:                              ;   in Loop: Header=BB13_6 Depth=1
	s_mul_u64 s[8:9], s[22:23], s[10:11]
	s_delay_alu instid0(SALU_CYCLE_1) | instskip(NEXT) | instid1(SALU_CYCLE_1)
	s_lshl_b64 s[8:9], s[8:9], 2
	s_add_nc_u64 s[8:9], s[16:17], s[8:9]
	s_delay_alu instid0(SALU_CYCLE_1)
	v_lshl_add_u64 v[16:17], v[4:5], 2, s[8:9]
	s_and_saveexec_b32 s12, s20
	s_cbranch_execz .LBB13_17
; %bb.14:                               ;   in Loop: Header=BB13_6 Depth=1
	v_mul_f32_e32 v20, s26, v20
	s_delay_alu instid0(VALU_DEP_2)
	v_lshl_add_u64 v[18:19], v[2:3], 2, v[16:17]
	s_and_b32 vcc_lo, exec_lo, s18
	s_cbranch_vccz .LBB13_28
; %bb.15:                               ;   in Loop: Header=BB13_6 Depth=1
	global_load_b32 v26, v[18:19], off
	s_wait_loadcnt 0x0
	v_fma_f32 v26, s19, v26, v20
	global_store_b32 v[18:19], v26, off
	s_cbranch_execnz .LBB13_17
.LBB13_16:                              ;   in Loop: Header=BB13_6 Depth=1
	global_store_b32 v[18:19], v20, off
.LBB13_17:                              ;   in Loop: Header=BB13_6 Depth=1
	s_wait_xcnt 0x0
	s_or_b32 exec_lo, exec_lo, s12
	s_and_saveexec_b32 s12, s28
	s_cbranch_execz .LBB13_21
; %bb.18:                               ;   in Loop: Header=BB13_6 Depth=1
	v_mul_f32_e32 v18, s26, v21
	v_lshl_add_u64 v[16:17], v[8:9], 2, v[16:17]
	s_and_not1_b32 vcc_lo, exec_lo, s18
	s_cbranch_vccnz .LBB13_29
; %bb.19:                               ;   in Loop: Header=BB13_6 Depth=1
	global_load_b32 v19, v[16:17], off
	s_wait_loadcnt 0x0
	v_fma_f32 v19, s19, v19, v18
	global_store_b32 v[16:17], v19, off
	s_cbranch_execnz .LBB13_21
.LBB13_20:                              ;   in Loop: Header=BB13_6 Depth=1
	global_store_b32 v[16:17], v18, off
.LBB13_21:                              ;   in Loop: Header=BB13_6 Depth=1
	s_wait_xcnt 0x0
	s_or_b32 exec_lo, exec_lo, s12
	v_lshl_add_u64 v[16:17], v[6:7], 2, s[8:9]
	s_and_saveexec_b32 s8, s29
	s_cbranch_execz .LBB13_25
; %bb.22:                               ;   in Loop: Header=BB13_6 Depth=1
	v_mul_f32_e32 v14, s26, v14
	s_delay_alu instid0(VALU_DEP_2)
	v_lshl_add_u64 v[18:19], v[2:3], 2, v[16:17]
	s_and_not1_b32 vcc_lo, exec_lo, s18
	s_cbranch_vccnz .LBB13_30
; %bb.23:                               ;   in Loop: Header=BB13_6 Depth=1
	global_load_b32 v20, v[18:19], off
	s_wait_loadcnt 0x0
	v_fma_f32 v20, s19, v20, v14
	global_store_b32 v[18:19], v20, off
	s_cbranch_execnz .LBB13_25
.LBB13_24:                              ;   in Loop: Header=BB13_6 Depth=1
	global_store_b32 v[18:19], v14, off
.LBB13_25:                              ;   in Loop: Header=BB13_6 Depth=1
	s_wait_xcnt 0x0
	s_or_b32 exec_lo, exec_lo, s8
	s_and_saveexec_b32 s8, s30
	s_cbranch_execz .LBB13_5
; %bb.26:                               ;   in Loop: Header=BB13_6 Depth=1
	v_mul_f32_e32 v18, s26, v15
	v_lshl_add_u64 v[14:15], v[8:9], 2, v[16:17]
	s_and_not1_b32 vcc_lo, exec_lo, s18
	s_cbranch_vccnz .LBB13_31
; %bb.27:                               ;   in Loop: Header=BB13_6 Depth=1
	global_load_b32 v16, v[14:15], off
	s_wait_loadcnt 0x0
	v_fma_f32 v16, s19, v16, v18
	global_store_b32 v[14:15], v16, off
	s_cbranch_execnz .LBB13_5
	s_branch .LBB13_32
.LBB13_28:                              ;   in Loop: Header=BB13_6 Depth=1
	s_branch .LBB13_16
.LBB13_29:                              ;   in Loop: Header=BB13_6 Depth=1
	s_branch .LBB13_20
.LBB13_30:                              ;   in Loop: Header=BB13_6 Depth=1
	s_branch .LBB13_24
.LBB13_31:                              ;   in Loop: Header=BB13_6 Depth=1
.LBB13_32:                              ;   in Loop: Header=BB13_6 Depth=1
	global_store_b32 v[14:15], v18, off
	s_branch .LBB13_5
.LBB13_33:
	s_endpgm
	.section	.rodata,"a",@progbits
	.p2align	6, 0x0
	.amdhsa_kernel _ZL29rocblas_internal_gemmt_kernelIiLi16ELi32ELi8ELc84ELc84ELc76ELb0ELb0EfPKfS1_PfEviT_T9_T10_S3_lS5_S3_lS4_T11_S3_li
		.amdhsa_group_segment_fixed_size 2048
		.amdhsa_private_segment_fixed_size 0
		.amdhsa_kernarg_size 100
		.amdhsa_user_sgpr_count 2
		.amdhsa_user_sgpr_dispatch_ptr 0
		.amdhsa_user_sgpr_queue_ptr 0
		.amdhsa_user_sgpr_kernarg_segment_ptr 1
		.amdhsa_user_sgpr_dispatch_id 0
		.amdhsa_user_sgpr_kernarg_preload_length 0
		.amdhsa_user_sgpr_kernarg_preload_offset 0
		.amdhsa_user_sgpr_private_segment_size 0
		.amdhsa_wavefront_size32 1
		.amdhsa_uses_dynamic_stack 0
		.amdhsa_enable_private_segment 0
		.amdhsa_system_sgpr_workgroup_id_x 1
		.amdhsa_system_sgpr_workgroup_id_y 1
		.amdhsa_system_sgpr_workgroup_id_z 1
		.amdhsa_system_sgpr_workgroup_info 0
		.amdhsa_system_vgpr_workitem_id 1
		.amdhsa_next_free_vgpr 52
		.amdhsa_next_free_sgpr 34
		.amdhsa_named_barrier_count 0
		.amdhsa_reserve_vcc 1
		.amdhsa_float_round_mode_32 0
		.amdhsa_float_round_mode_16_64 0
		.amdhsa_float_denorm_mode_32 3
		.amdhsa_float_denorm_mode_16_64 3
		.amdhsa_fp16_overflow 0
		.amdhsa_memory_ordered 1
		.amdhsa_forward_progress 1
		.amdhsa_inst_pref_size 13
		.amdhsa_round_robin_scheduling 0
		.amdhsa_exception_fp_ieee_invalid_op 0
		.amdhsa_exception_fp_denorm_src 0
		.amdhsa_exception_fp_ieee_div_zero 0
		.amdhsa_exception_fp_ieee_overflow 0
		.amdhsa_exception_fp_ieee_underflow 0
		.amdhsa_exception_fp_ieee_inexact 0
		.amdhsa_exception_int_div_zero 0
	.end_amdhsa_kernel
	.section	.text._ZL29rocblas_internal_gemmt_kernelIiLi16ELi32ELi8ELc84ELc84ELc76ELb0ELb0EfPKfS1_PfEviT_T9_T10_S3_lS5_S3_lS4_T11_S3_li,"axG",@progbits,_ZL29rocblas_internal_gemmt_kernelIiLi16ELi32ELi8ELc84ELc84ELc76ELb0ELb0EfPKfS1_PfEviT_T9_T10_S3_lS5_S3_lS4_T11_S3_li,comdat
.Lfunc_end13:
	.size	_ZL29rocblas_internal_gemmt_kernelIiLi16ELi32ELi8ELc84ELc84ELc76ELb0ELb0EfPKfS1_PfEviT_T9_T10_S3_lS5_S3_lS4_T11_S3_li, .Lfunc_end13-_ZL29rocblas_internal_gemmt_kernelIiLi16ELi32ELi8ELc84ELc84ELc76ELb0ELb0EfPKfS1_PfEviT_T9_T10_S3_lS5_S3_lS4_T11_S3_li
                                        ; -- End function
	.set _ZL29rocblas_internal_gemmt_kernelIiLi16ELi32ELi8ELc84ELc84ELc76ELb0ELb0EfPKfS1_PfEviT_T9_T10_S3_lS5_S3_lS4_T11_S3_li.num_vgpr, 52
	.set _ZL29rocblas_internal_gemmt_kernelIiLi16ELi32ELi8ELc84ELc84ELc76ELb0ELb0EfPKfS1_PfEviT_T9_T10_S3_lS5_S3_lS4_T11_S3_li.num_agpr, 0
	.set _ZL29rocblas_internal_gemmt_kernelIiLi16ELi32ELi8ELc84ELc84ELc76ELb0ELb0EfPKfS1_PfEviT_T9_T10_S3_lS5_S3_lS4_T11_S3_li.numbered_sgpr, 34
	.set _ZL29rocblas_internal_gemmt_kernelIiLi16ELi32ELi8ELc84ELc84ELc76ELb0ELb0EfPKfS1_PfEviT_T9_T10_S3_lS5_S3_lS4_T11_S3_li.num_named_barrier, 0
	.set _ZL29rocblas_internal_gemmt_kernelIiLi16ELi32ELi8ELc84ELc84ELc76ELb0ELb0EfPKfS1_PfEviT_T9_T10_S3_lS5_S3_lS4_T11_S3_li.private_seg_size, 0
	.set _ZL29rocblas_internal_gemmt_kernelIiLi16ELi32ELi8ELc84ELc84ELc76ELb0ELb0EfPKfS1_PfEviT_T9_T10_S3_lS5_S3_lS4_T11_S3_li.uses_vcc, 1
	.set _ZL29rocblas_internal_gemmt_kernelIiLi16ELi32ELi8ELc84ELc84ELc76ELb0ELb0EfPKfS1_PfEviT_T9_T10_S3_lS5_S3_lS4_T11_S3_li.uses_flat_scratch, 0
	.set _ZL29rocblas_internal_gemmt_kernelIiLi16ELi32ELi8ELc84ELc84ELc76ELb0ELb0EfPKfS1_PfEviT_T9_T10_S3_lS5_S3_lS4_T11_S3_li.has_dyn_sized_stack, 0
	.set _ZL29rocblas_internal_gemmt_kernelIiLi16ELi32ELi8ELc84ELc84ELc76ELb0ELb0EfPKfS1_PfEviT_T9_T10_S3_lS5_S3_lS4_T11_S3_li.has_recursion, 0
	.set _ZL29rocblas_internal_gemmt_kernelIiLi16ELi32ELi8ELc84ELc84ELc76ELb0ELb0EfPKfS1_PfEviT_T9_T10_S3_lS5_S3_lS4_T11_S3_li.has_indirect_call, 0
	.section	.AMDGPU.csdata,"",@progbits
; Kernel info:
; codeLenInByte = 1652
; TotalNumSgprs: 36
; NumVgprs: 52
; ScratchSize: 0
; MemoryBound: 0
; FloatMode: 240
; IeeeMode: 1
; LDSByteSize: 2048 bytes/workgroup (compile time only)
; SGPRBlocks: 0
; VGPRBlocks: 3
; NumSGPRsForWavesPerEU: 36
; NumVGPRsForWavesPerEU: 52
; NamedBarCnt: 0
; Occupancy: 16
; WaveLimiterHint : 0
; COMPUTE_PGM_RSRC2:SCRATCH_EN: 0
; COMPUTE_PGM_RSRC2:USER_SGPR: 2
; COMPUTE_PGM_RSRC2:TRAP_HANDLER: 0
; COMPUTE_PGM_RSRC2:TGID_X_EN: 1
; COMPUTE_PGM_RSRC2:TGID_Y_EN: 1
; COMPUTE_PGM_RSRC2:TGID_Z_EN: 1
; COMPUTE_PGM_RSRC2:TIDIG_COMP_CNT: 1
	.section	.text._ZL29rocblas_internal_gemmt_kernelIiLi16ELi32ELi8ELc84ELc67ELc76ELb0ELb0EfPKfS1_PfEviT_T9_T10_S3_lS5_S3_lS4_T11_S3_li,"axG",@progbits,_ZL29rocblas_internal_gemmt_kernelIiLi16ELi32ELi8ELc84ELc67ELc76ELb0ELb0EfPKfS1_PfEviT_T9_T10_S3_lS5_S3_lS4_T11_S3_li,comdat
	.globl	_ZL29rocblas_internal_gemmt_kernelIiLi16ELi32ELi8ELc84ELc67ELc76ELb0ELb0EfPKfS1_PfEviT_T9_T10_S3_lS5_S3_lS4_T11_S3_li ; -- Begin function _ZL29rocblas_internal_gemmt_kernelIiLi16ELi32ELi8ELc84ELc67ELc76ELb0ELb0EfPKfS1_PfEviT_T9_T10_S3_lS5_S3_lS4_T11_S3_li
	.p2align	8
	.type	_ZL29rocblas_internal_gemmt_kernelIiLi16ELi32ELi8ELc84ELc67ELc76ELb0ELb0EfPKfS1_PfEviT_T9_T10_S3_lS5_S3_lS4_T11_S3_li,@function
_ZL29rocblas_internal_gemmt_kernelIiLi16ELi32ELi8ELc84ELc67ELc76ELb0ELb0EfPKfS1_PfEviT_T9_T10_S3_lS5_S3_lS4_T11_S3_li: ; @_ZL29rocblas_internal_gemmt_kernelIiLi16ELi32ELi8ELc84ELc67ELc76ELb0ELb0EfPKfS1_PfEviT_T9_T10_S3_lS5_S3_lS4_T11_S3_li
; %bb.0:
	s_clause 0x1
	s_load_b128 s[8:11], s[0:1], 0x38
	s_load_b128 s[4:7], s[0:1], 0x8
	s_wait_kmcnt 0x0
	s_load_b32 s19, s[10:11], 0x0
	s_load_b64 s[20:21], s[0:1], 0x0
	s_load_b32 s26, s[4:5], 0x0
	s_wait_kmcnt 0x0
	s_cmp_neq_f32 s19, 1.0
	s_cselect_b32 s2, -1, 0
	s_delay_alu instid0(SALU_CYCLE_1)
	s_and_b32 vcc_lo, exec_lo, s2
	s_cbranch_vccnz .LBB14_2
; %bb.1:
	s_cmp_lg_u32 s21, 0
	s_cselect_b32 s2, -1, 0
	s_cmp_neq_f32 s26, 0
	s_cselect_b32 s3, -1, 0
	s_delay_alu instid0(SALU_CYCLE_1)
	s_and_b32 s2, s2, s3
.LBB14_2:
	s_delay_alu instid0(SALU_CYCLE_1)
	s_and_not1_b32 vcc_lo, exec_lo, s2
	s_cbranch_vccnz .LBB14_33
; %bb.3:
	s_load_b32 s27, s[0:1], 0x60
	s_bfe_u32 s2, ttmp6, 0x40014
	s_lshr_b32 s3, ttmp7, 16
	s_add_co_i32 s2, s2, 1
	s_bfe_u32 s5, ttmp6, 0x40008
	s_mul_i32 s2, s3, s2
	s_getreg_b32 s4, hwreg(HW_REG_IB_STS2, 6, 4)
	s_add_co_i32 s5, s5, s2
	s_cmp_eq_u32 s4, 0
	s_mov_b32 s11, 0
	s_cselect_b32 s10, s3, s5
	s_wait_kmcnt 0x0
	s_cmp_ge_u32 s10, s27
	s_cbranch_scc1 .LBB14_33
; %bb.4:
	s_clause 0x3
	s_load_b32 s2, s[0:1], 0x18
	s_load_b32 s24, s[0:1], 0x30
	s_load_b96 s[16:18], s[0:1], 0x48
	s_load_b128 s[12:15], s[0:1], 0x20
	v_and_b32_e32 v8, 0x3ff, v0
	v_bfe_u32 v9, v0, 10, 10
	s_load_b64 s[22:23], s[0:1], 0x58
	s_wait_xcnt 0x0
	s_bfe_u32 s1, ttmp6, 0x4000c
	s_bfe_u32 s3, ttmp6, 0x40010
	s_and_b32 s28, ttmp7, 0xffff
	s_add_co_i32 s1, s1, 1
	s_add_co_i32 s3, s3, 1
	v_lshl_add_u32 v1, v9, 4, v8
	s_and_b32 s0, ttmp6, 15
	s_mul_i32 s1, ttmp9, s1
	s_mul_i32 s29, s28, s3
	s_bfe_u32 s30, ttmp6, 0x40004
	s_add_co_i32 s0, s0, s1
	s_add_co_i32 s30, s30, s29
	v_dual_lshrrev_b32 v5, 3, v1 :: v_dual_bitop2_b32 v4, 31, v1 bitop3:0x40
	s_wait_kmcnt 0x0
	s_ashr_i32 s3, s2, 31
	s_ashr_i32 s25, s24, 31
	;; [unrolled: 1-line block ×3, first 2 shown]
	s_cmp_eq_u32 s4, 0
	v_dual_lshrrev_b32 v22, 5, v1 :: v_dual_bitop2_b32 v0, 7, v0 bitop3:0x40
	s_cselect_b32 s0, ttmp9, s0
	s_cselect_b32 s1, s28, s30
	s_lshl_b32 s28, s0, 5
	s_delay_alu instid0(SALU_CYCLE_1) | instskip(SKIP_2) | instid1(VALU_DEP_1)
	v_dual_mov_b32 v11, 0 :: v_dual_bitop2_b32 v2, s28, v4 bitop3:0x54
	s_lshl_b32 s0, s1, 5
	s_mov_b32 s4, s18
	v_dual_mov_b32 v1, v11 :: v_dual_add_nc_u32 v12, s0, v5
	s_delay_alu instid0(VALU_DEP_2) | instskip(SKIP_2) | instid1(VALU_DEP_4)
	v_dual_add_nc_u32 v14, s0, v9 :: v_dual_ashrrev_i32 v3, 31, v2
	v_lshlrev_b32_e32 v4, 2, v4
	v_cmp_gt_i32_e64 s0, s20, v2
	v_mul_u64_e32 v[18:19], s[24:25], v[0:1]
	s_delay_alu instid0(VALU_DEP_4) | instskip(SKIP_3) | instid1(VALU_DEP_4)
	v_add_nc_u32_e32 v20, 16, v14
	v_mul_u64_e32 v[16:17], s[2:3], v[2:3]
	v_dual_lshlrev_b32 v3, 2, v0 :: v_dual_ashrrev_i32 v15, 31, v14
	v_dual_add_nc_u32 v2, s28, v8 :: v_dual_lshlrev_b32 v24, 2, v8
	v_ashrrev_i32_e32 v21, 31, v20
	v_lshl_or_b32 v1, v22, 7, v4
	s_delay_alu instid0(VALU_DEP_4)
	v_lshl_or_b32 v3, v5, 5, v3
	v_mul_u64_e32 v[4:5], s[4:5], v[14:15]
	v_add_nc_u32_e32 v8, 16, v2
	v_mul_u64_e32 v[6:7], s[4:5], v[20:21]
	v_dual_ashrrev_i32 v13, 31, v12 :: v_dual_lshlrev_b32 v10, 2, v22
	v_cmp_gt_i32_e64 s1, s20, v12
	s_cmp_neq_f32 s26, 0
	v_cmp_le_i32_e32 vcc_lo, v14, v2
	v_lshlrev_b64_e32 v[12:13], 2, v[12:13]
	v_cmp_gt_i32_e64 s2, s20, v2
	s_cselect_b32 s31, -1, 0
	s_cmp_gt_i32 s21, 0
	v_cmp_le_i32_e64 s3, v14, v8
	v_cmp_gt_i32_e64 s4, s20, v8
	s_cselect_b32 s33, -1, 0
	s_cmp_neq_f32 s19, 0
	v_add_nc_u32_e32 v23, 0x400, v3
	v_lshl_add_u32 v25, v9, 5, 0x400
	v_dual_ashrrev_i32 v3, 31, v2 :: v_dual_ashrrev_i32 v9, 31, v8
	s_cselect_b32 s18, -1, 0
	s_and_b32 s20, vcc_lo, s2
	v_lshl_add_u64 v[12:13], v[18:19], 2, v[12:13]
	s_and_b32 s28, s3, s4
	v_lshl_add_u64 v[10:11], v[16:17], 2, v[10:11]
	v_cmp_le_i32_e32 vcc_lo, v20, v2
	v_cmp_le_i32_e64 s3, v20, v8
	v_add_nc_u64_e32 v[12:13], s[14:15], v[12:13]
	s_and_b32 s14, s31, s33
	v_add_nc_u64_e32 v[10:11], s[6:7], v[10:11]
	s_and_b32 s29, vcc_lo, s2
	s_and_b32 s30, s3, s4
	s_lshl_b64 s[2:3], s[12:13], 2
	s_lshl_b64 s[4:5], s[8:9], 2
	;; [unrolled: 1-line block ×3, first 2 shown]
	s_branch .LBB14_6
.LBB14_5:                               ;   in Loop: Header=BB14_6 Depth=1
	s_wait_xcnt 0x0
	s_or_b32 exec_lo, exec_lo, s8
	s_add_co_i32 s10, s10, 0x10000
	s_delay_alu instid0(SALU_CYCLE_1)
	s_cmp_lt_u32 s10, s27
	s_cbranch_scc0 .LBB14_33
.LBB14_6:                               ; =>This Loop Header: Depth=1
                                        ;     Child Loop BB14_9 Depth 2
	v_dual_mov_b32 v21, 0 :: v_dual_mov_b32 v20, 0
	v_dual_mov_b32 v15, 0 :: v_dual_mov_b32 v14, 0
	s_and_not1_b32 vcc_lo, exec_lo, s14
	s_cbranch_vccnz .LBB14_13
; %bb.7:                                ;   in Loop: Header=BB14_6 Depth=1
	v_mad_nc_u64_u32 v[16:17], s2, s10, v[10:11]
	v_mad_nc_u64_u32 v[18:19], s4, s10, v[12:13]
	v_mov_b32_e32 v14, 0
	s_mov_b32 s8, 0
	s_delay_alu instid0(VALU_DEP_1)
	v_dual_mov_b32 v15, v14 :: v_dual_mov_b32 v20, v14
	v_mov_b32_e32 v21, v14
	v_mad_u32 v17, s3, s10, v17
	v_mad_u32 v19, s5, s10, v19
	s_branch .LBB14_9
.LBB14_8:                               ;   in Loop: Header=BB14_9 Depth=2
	s_wait_xcnt 0x0
	s_or_b32 exec_lo, exec_lo, s9
	s_wait_loadcnt 0x0
	ds_store_b32 v23, v27
	s_wait_dscnt 0x0
	s_barrier_signal -1
	s_barrier_wait -1
	ds_load_b128 v[26:29], v25
	ds_load_2addr_b32 v[42:43], v24 offset1:16
	ds_load_b128 v[30:33], v25 offset:512
	ds_load_2addr_b32 v[44:45], v24 offset0:32 offset1:48
	ds_load_2addr_b32 v[46:47], v24 offset0:64 offset1:80
	;; [unrolled: 1-line block ×3, first 2 shown]
	ds_load_b128 v[34:37], v25 offset:16
	ds_load_2addr_b32 v[50:51], v24 offset0:128 offset1:144
	ds_load_b128 v[38:41], v25 offset:528
	v_add_nc_u64_e32 v[16:17], 32, v[16:17]
	v_add_nc_u64_e32 v[18:19], s[6:7], v[18:19]
	s_add_co_i32 s8, s8, 8
	s_delay_alu instid0(SALU_CYCLE_1)
	s_cmp_lt_i32 s8, s21
	s_wait_dscnt 0x7
	v_pk_fma_f32 v[20:21], v[42:43], v[26:27], v[20:21] op_sel_hi:[1,0,1]
	s_wait_dscnt 0x6
	v_pk_fma_f32 v[14:15], v[42:43], v[30:31], v[14:15] op_sel_hi:[1,0,1]
	ds_load_2addr_b32 v[42:43], v24 offset0:160 offset1:176
	s_wait_dscnt 0x6
	v_pk_fma_f32 v[20:21], v[44:45], v[26:27], v[20:21] op_sel:[0,1,0]
	v_pk_fma_f32 v[14:15], v[44:45], v[30:31], v[14:15] op_sel:[0,1,0]
	ds_load_2addr_b32 v[26:27], v24 offset0:192 offset1:208
	v_dual_mov_b32 v30, v29 :: v_dual_mov_b32 v44, v33
	s_wait_dscnt 0x6
	v_pk_fma_f32 v[20:21], v[46:47], v[28:29], v[20:21] op_sel_hi:[1,0,1]
	v_pk_fma_f32 v[14:15], v[46:47], v[32:33], v[14:15] op_sel_hi:[1,0,1]
	ds_load_2addr_b32 v[28:29], v24 offset0:224 offset1:240
	s_wait_dscnt 0x3
	v_mov_b32_e32 v32, v41
	s_wait_dscnt 0x0
	v_pk_fma_f32 v[20:21], v[48:49], v[30:31], v[20:21] op_sel_hi:[1,0,1]
	v_pk_fma_f32 v[14:15], v[48:49], v[44:45], v[14:15] op_sel_hi:[1,0,1]
	v_mov_b32_e32 v30, v37
	s_barrier_signal -1
	s_barrier_wait -1
	v_pk_fma_f32 v[20:21], v[50:51], v[34:35], v[20:21] op_sel_hi:[1,0,1]
	v_pk_fma_f32 v[14:15], v[50:51], v[38:39], v[14:15] op_sel_hi:[1,0,1]
	s_delay_alu instid0(VALU_DEP_2) | instskip(NEXT) | instid1(VALU_DEP_2)
	v_pk_fma_f32 v[20:21], v[42:43], v[34:35], v[20:21] op_sel:[0,1,0]
	v_pk_fma_f32 v[14:15], v[42:43], v[38:39], v[14:15] op_sel:[0,1,0]
	s_delay_alu instid0(VALU_DEP_2) | instskip(NEXT) | instid1(VALU_DEP_2)
	v_pk_fma_f32 v[20:21], v[26:27], v[36:37], v[20:21] op_sel_hi:[1,0,1]
	v_pk_fma_f32 v[14:15], v[26:27], v[40:41], v[14:15] op_sel_hi:[1,0,1]
	s_delay_alu instid0(VALU_DEP_2) | instskip(NEXT) | instid1(VALU_DEP_2)
	v_pk_fma_f32 v[20:21], v[28:29], v[30:31], v[20:21] op_sel_hi:[1,0,1]
	v_pk_fma_f32 v[14:15], v[28:29], v[32:33], v[14:15] op_sel_hi:[1,0,1]
	s_cbranch_scc0 .LBB14_13
.LBB14_9:                               ;   Parent Loop BB14_6 Depth=1
                                        ; =>  This Inner Loop Header: Depth=2
	v_add_nc_u32_e32 v26, s8, v22
	s_delay_alu instid0(VALU_DEP_1) | instskip(SKIP_2) | instid1(SALU_CYCLE_1)
	v_cmp_gt_i32_e32 vcc_lo, s21, v26
	v_mov_b32_e32 v26, 0
	s_and_b32 s12, s0, vcc_lo
	s_and_saveexec_b32 s9, s12
	s_cbranch_execz .LBB14_11
; %bb.10:                               ;   in Loop: Header=BB14_9 Depth=2
	global_load_b32 v26, v[16:17], off
.LBB14_11:                              ;   in Loop: Header=BB14_9 Depth=2
	s_wait_xcnt 0x0
	s_or_b32 exec_lo, exec_lo, s9
	v_add_nc_u32_e32 v27, s8, v0
	s_wait_loadcnt 0x0
	ds_store_b32 v1, v26
	v_cmp_gt_i32_e32 vcc_lo, s21, v27
	v_mov_b32_e32 v27, 0
	s_and_b32 s12, vcc_lo, s1
	s_delay_alu instid0(SALU_CYCLE_1)
	s_and_saveexec_b32 s9, s12
	s_cbranch_execz .LBB14_8
; %bb.12:                               ;   in Loop: Header=BB14_9 Depth=2
	global_load_b32 v27, v[18:19], off
	s_branch .LBB14_8
.LBB14_13:                              ;   in Loop: Header=BB14_6 Depth=1
	s_mul_u64 s[8:9], s[22:23], s[10:11]
	s_delay_alu instid0(SALU_CYCLE_1) | instskip(NEXT) | instid1(SALU_CYCLE_1)
	s_lshl_b64 s[8:9], s[8:9], 2
	s_add_nc_u64 s[8:9], s[16:17], s[8:9]
	s_delay_alu instid0(SALU_CYCLE_1)
	v_lshl_add_u64 v[16:17], v[4:5], 2, s[8:9]
	s_and_saveexec_b32 s12, s20
	s_cbranch_execz .LBB14_17
; %bb.14:                               ;   in Loop: Header=BB14_6 Depth=1
	v_mul_f32_e32 v20, s26, v20
	s_delay_alu instid0(VALU_DEP_2)
	v_lshl_add_u64 v[18:19], v[2:3], 2, v[16:17]
	s_and_b32 vcc_lo, exec_lo, s18
	s_cbranch_vccz .LBB14_28
; %bb.15:                               ;   in Loop: Header=BB14_6 Depth=1
	global_load_b32 v26, v[18:19], off
	s_wait_loadcnt 0x0
	v_fma_f32 v26, s19, v26, v20
	global_store_b32 v[18:19], v26, off
	s_cbranch_execnz .LBB14_17
.LBB14_16:                              ;   in Loop: Header=BB14_6 Depth=1
	global_store_b32 v[18:19], v20, off
.LBB14_17:                              ;   in Loop: Header=BB14_6 Depth=1
	s_wait_xcnt 0x0
	s_or_b32 exec_lo, exec_lo, s12
	s_and_saveexec_b32 s12, s28
	s_cbranch_execz .LBB14_21
; %bb.18:                               ;   in Loop: Header=BB14_6 Depth=1
	v_mul_f32_e32 v18, s26, v21
	v_lshl_add_u64 v[16:17], v[8:9], 2, v[16:17]
	s_and_not1_b32 vcc_lo, exec_lo, s18
	s_cbranch_vccnz .LBB14_29
; %bb.19:                               ;   in Loop: Header=BB14_6 Depth=1
	global_load_b32 v19, v[16:17], off
	s_wait_loadcnt 0x0
	v_fma_f32 v19, s19, v19, v18
	global_store_b32 v[16:17], v19, off
	s_cbranch_execnz .LBB14_21
.LBB14_20:                              ;   in Loop: Header=BB14_6 Depth=1
	global_store_b32 v[16:17], v18, off
.LBB14_21:                              ;   in Loop: Header=BB14_6 Depth=1
	s_wait_xcnt 0x0
	s_or_b32 exec_lo, exec_lo, s12
	v_lshl_add_u64 v[16:17], v[6:7], 2, s[8:9]
	s_and_saveexec_b32 s8, s29
	s_cbranch_execz .LBB14_25
; %bb.22:                               ;   in Loop: Header=BB14_6 Depth=1
	v_mul_f32_e32 v14, s26, v14
	s_delay_alu instid0(VALU_DEP_2)
	v_lshl_add_u64 v[18:19], v[2:3], 2, v[16:17]
	s_and_not1_b32 vcc_lo, exec_lo, s18
	s_cbranch_vccnz .LBB14_30
; %bb.23:                               ;   in Loop: Header=BB14_6 Depth=1
	global_load_b32 v20, v[18:19], off
	s_wait_loadcnt 0x0
	v_fma_f32 v20, s19, v20, v14
	global_store_b32 v[18:19], v20, off
	s_cbranch_execnz .LBB14_25
.LBB14_24:                              ;   in Loop: Header=BB14_6 Depth=1
	global_store_b32 v[18:19], v14, off
.LBB14_25:                              ;   in Loop: Header=BB14_6 Depth=1
	s_wait_xcnt 0x0
	s_or_b32 exec_lo, exec_lo, s8
	s_and_saveexec_b32 s8, s30
	s_cbranch_execz .LBB14_5
; %bb.26:                               ;   in Loop: Header=BB14_6 Depth=1
	v_mul_f32_e32 v18, s26, v15
	v_lshl_add_u64 v[14:15], v[8:9], 2, v[16:17]
	s_and_not1_b32 vcc_lo, exec_lo, s18
	s_cbranch_vccnz .LBB14_31
; %bb.27:                               ;   in Loop: Header=BB14_6 Depth=1
	global_load_b32 v16, v[14:15], off
	s_wait_loadcnt 0x0
	v_fma_f32 v16, s19, v16, v18
	global_store_b32 v[14:15], v16, off
	s_cbranch_execnz .LBB14_5
	s_branch .LBB14_32
.LBB14_28:                              ;   in Loop: Header=BB14_6 Depth=1
	s_branch .LBB14_16
.LBB14_29:                              ;   in Loop: Header=BB14_6 Depth=1
	s_branch .LBB14_20
.LBB14_30:                              ;   in Loop: Header=BB14_6 Depth=1
	s_branch .LBB14_24
.LBB14_31:                              ;   in Loop: Header=BB14_6 Depth=1
.LBB14_32:                              ;   in Loop: Header=BB14_6 Depth=1
	global_store_b32 v[14:15], v18, off
	s_branch .LBB14_5
.LBB14_33:
	s_endpgm
	.section	.rodata,"a",@progbits
	.p2align	6, 0x0
	.amdhsa_kernel _ZL29rocblas_internal_gemmt_kernelIiLi16ELi32ELi8ELc84ELc67ELc76ELb0ELb0EfPKfS1_PfEviT_T9_T10_S3_lS5_S3_lS4_T11_S3_li
		.amdhsa_group_segment_fixed_size 2048
		.amdhsa_private_segment_fixed_size 0
		.amdhsa_kernarg_size 100
		.amdhsa_user_sgpr_count 2
		.amdhsa_user_sgpr_dispatch_ptr 0
		.amdhsa_user_sgpr_queue_ptr 0
		.amdhsa_user_sgpr_kernarg_segment_ptr 1
		.amdhsa_user_sgpr_dispatch_id 0
		.amdhsa_user_sgpr_kernarg_preload_length 0
		.amdhsa_user_sgpr_kernarg_preload_offset 0
		.amdhsa_user_sgpr_private_segment_size 0
		.amdhsa_wavefront_size32 1
		.amdhsa_uses_dynamic_stack 0
		.amdhsa_enable_private_segment 0
		.amdhsa_system_sgpr_workgroup_id_x 1
		.amdhsa_system_sgpr_workgroup_id_y 1
		.amdhsa_system_sgpr_workgroup_id_z 1
		.amdhsa_system_sgpr_workgroup_info 0
		.amdhsa_system_vgpr_workitem_id 1
		.amdhsa_next_free_vgpr 52
		.amdhsa_next_free_sgpr 34
		.amdhsa_named_barrier_count 0
		.amdhsa_reserve_vcc 1
		.amdhsa_float_round_mode_32 0
		.amdhsa_float_round_mode_16_64 0
		.amdhsa_float_denorm_mode_32 3
		.amdhsa_float_denorm_mode_16_64 3
		.amdhsa_fp16_overflow 0
		.amdhsa_memory_ordered 1
		.amdhsa_forward_progress 1
		.amdhsa_inst_pref_size 13
		.amdhsa_round_robin_scheduling 0
		.amdhsa_exception_fp_ieee_invalid_op 0
		.amdhsa_exception_fp_denorm_src 0
		.amdhsa_exception_fp_ieee_div_zero 0
		.amdhsa_exception_fp_ieee_overflow 0
		.amdhsa_exception_fp_ieee_underflow 0
		.amdhsa_exception_fp_ieee_inexact 0
		.amdhsa_exception_int_div_zero 0
	.end_amdhsa_kernel
	.section	.text._ZL29rocblas_internal_gemmt_kernelIiLi16ELi32ELi8ELc84ELc67ELc76ELb0ELb0EfPKfS1_PfEviT_T9_T10_S3_lS5_S3_lS4_T11_S3_li,"axG",@progbits,_ZL29rocblas_internal_gemmt_kernelIiLi16ELi32ELi8ELc84ELc67ELc76ELb0ELb0EfPKfS1_PfEviT_T9_T10_S3_lS5_S3_lS4_T11_S3_li,comdat
.Lfunc_end14:
	.size	_ZL29rocblas_internal_gemmt_kernelIiLi16ELi32ELi8ELc84ELc67ELc76ELb0ELb0EfPKfS1_PfEviT_T9_T10_S3_lS5_S3_lS4_T11_S3_li, .Lfunc_end14-_ZL29rocblas_internal_gemmt_kernelIiLi16ELi32ELi8ELc84ELc67ELc76ELb0ELb0EfPKfS1_PfEviT_T9_T10_S3_lS5_S3_lS4_T11_S3_li
                                        ; -- End function
	.set _ZL29rocblas_internal_gemmt_kernelIiLi16ELi32ELi8ELc84ELc67ELc76ELb0ELb0EfPKfS1_PfEviT_T9_T10_S3_lS5_S3_lS4_T11_S3_li.num_vgpr, 52
	.set _ZL29rocblas_internal_gemmt_kernelIiLi16ELi32ELi8ELc84ELc67ELc76ELb0ELb0EfPKfS1_PfEviT_T9_T10_S3_lS5_S3_lS4_T11_S3_li.num_agpr, 0
	.set _ZL29rocblas_internal_gemmt_kernelIiLi16ELi32ELi8ELc84ELc67ELc76ELb0ELb0EfPKfS1_PfEviT_T9_T10_S3_lS5_S3_lS4_T11_S3_li.numbered_sgpr, 34
	.set _ZL29rocblas_internal_gemmt_kernelIiLi16ELi32ELi8ELc84ELc67ELc76ELb0ELb0EfPKfS1_PfEviT_T9_T10_S3_lS5_S3_lS4_T11_S3_li.num_named_barrier, 0
	.set _ZL29rocblas_internal_gemmt_kernelIiLi16ELi32ELi8ELc84ELc67ELc76ELb0ELb0EfPKfS1_PfEviT_T9_T10_S3_lS5_S3_lS4_T11_S3_li.private_seg_size, 0
	.set _ZL29rocblas_internal_gemmt_kernelIiLi16ELi32ELi8ELc84ELc67ELc76ELb0ELb0EfPKfS1_PfEviT_T9_T10_S3_lS5_S3_lS4_T11_S3_li.uses_vcc, 1
	.set _ZL29rocblas_internal_gemmt_kernelIiLi16ELi32ELi8ELc84ELc67ELc76ELb0ELb0EfPKfS1_PfEviT_T9_T10_S3_lS5_S3_lS4_T11_S3_li.uses_flat_scratch, 0
	.set _ZL29rocblas_internal_gemmt_kernelIiLi16ELi32ELi8ELc84ELc67ELc76ELb0ELb0EfPKfS1_PfEviT_T9_T10_S3_lS5_S3_lS4_T11_S3_li.has_dyn_sized_stack, 0
	.set _ZL29rocblas_internal_gemmt_kernelIiLi16ELi32ELi8ELc84ELc67ELc76ELb0ELb0EfPKfS1_PfEviT_T9_T10_S3_lS5_S3_lS4_T11_S3_li.has_recursion, 0
	.set _ZL29rocblas_internal_gemmt_kernelIiLi16ELi32ELi8ELc84ELc67ELc76ELb0ELb0EfPKfS1_PfEviT_T9_T10_S3_lS5_S3_lS4_T11_S3_li.has_indirect_call, 0
	.section	.AMDGPU.csdata,"",@progbits
; Kernel info:
; codeLenInByte = 1652
; TotalNumSgprs: 36
; NumVgprs: 52
; ScratchSize: 0
; MemoryBound: 0
; FloatMode: 240
; IeeeMode: 1
; LDSByteSize: 2048 bytes/workgroup (compile time only)
; SGPRBlocks: 0
; VGPRBlocks: 3
; NumSGPRsForWavesPerEU: 36
; NumVGPRsForWavesPerEU: 52
; NamedBarCnt: 0
; Occupancy: 16
; WaveLimiterHint : 0
; COMPUTE_PGM_RSRC2:SCRATCH_EN: 0
; COMPUTE_PGM_RSRC2:USER_SGPR: 2
; COMPUTE_PGM_RSRC2:TRAP_HANDLER: 0
; COMPUTE_PGM_RSRC2:TGID_X_EN: 1
; COMPUTE_PGM_RSRC2:TGID_Y_EN: 1
; COMPUTE_PGM_RSRC2:TGID_Z_EN: 1
; COMPUTE_PGM_RSRC2:TIDIG_COMP_CNT: 1
	.section	.text._ZL29rocblas_internal_gemmt_kernelIiLi16ELi32ELi8ELc67ELc78ELc76ELb0ELb0EfPKfS1_PfEviT_T9_T10_S3_lS5_S3_lS4_T11_S3_li,"axG",@progbits,_ZL29rocblas_internal_gemmt_kernelIiLi16ELi32ELi8ELc67ELc78ELc76ELb0ELb0EfPKfS1_PfEviT_T9_T10_S3_lS5_S3_lS4_T11_S3_li,comdat
	.globl	_ZL29rocblas_internal_gemmt_kernelIiLi16ELi32ELi8ELc67ELc78ELc76ELb0ELb0EfPKfS1_PfEviT_T9_T10_S3_lS5_S3_lS4_T11_S3_li ; -- Begin function _ZL29rocblas_internal_gemmt_kernelIiLi16ELi32ELi8ELc67ELc78ELc76ELb0ELb0EfPKfS1_PfEviT_T9_T10_S3_lS5_S3_lS4_T11_S3_li
	.p2align	8
	.type	_ZL29rocblas_internal_gemmt_kernelIiLi16ELi32ELi8ELc67ELc78ELc76ELb0ELb0EfPKfS1_PfEviT_T9_T10_S3_lS5_S3_lS4_T11_S3_li,@function
_ZL29rocblas_internal_gemmt_kernelIiLi16ELi32ELi8ELc67ELc78ELc76ELb0ELb0EfPKfS1_PfEviT_T9_T10_S3_lS5_S3_lS4_T11_S3_li: ; @_ZL29rocblas_internal_gemmt_kernelIiLi16ELi32ELi8ELc67ELc78ELc76ELb0ELb0EfPKfS1_PfEviT_T9_T10_S3_lS5_S3_lS4_T11_S3_li
; %bb.0:
	s_clause 0x1
	s_load_b128 s[8:11], s[0:1], 0x38
	s_load_b128 s[4:7], s[0:1], 0x8
	s_wait_kmcnt 0x0
	s_load_b32 s19, s[10:11], 0x0
	s_load_b64 s[20:21], s[0:1], 0x0
	s_load_b32 s24, s[4:5], 0x0
	s_wait_kmcnt 0x0
	s_cmp_neq_f32 s19, 1.0
	s_cselect_b32 s2, -1, 0
	s_delay_alu instid0(SALU_CYCLE_1)
	s_and_b32 vcc_lo, exec_lo, s2
	s_cbranch_vccnz .LBB15_2
; %bb.1:
	s_cmp_lg_u32 s21, 0
	s_cselect_b32 s2, -1, 0
	s_cmp_neq_f32 s24, 0
	s_cselect_b32 s3, -1, 0
	s_delay_alu instid0(SALU_CYCLE_1)
	s_and_b32 s2, s2, s3
.LBB15_2:
	s_delay_alu instid0(SALU_CYCLE_1)
	s_and_not1_b32 vcc_lo, exec_lo, s2
	s_cbranch_vccnz .LBB15_33
; %bb.3:
	s_load_b32 s25, s[0:1], 0x60
	s_bfe_u32 s2, ttmp6, 0x40014
	s_lshr_b32 s3, ttmp7, 16
	s_add_co_i32 s2, s2, 1
	s_bfe_u32 s4, ttmp6, 0x40008
	s_mul_i32 s2, s3, s2
	s_getreg_b32 s26, hwreg(HW_REG_IB_STS2, 6, 4)
	s_add_co_i32 s4, s4, s2
	s_cmp_eq_u32 s26, 0
	s_mov_b32 s11, 0
	s_cselect_b32 s10, s3, s4
	s_wait_kmcnt 0x0
	s_cmp_ge_u32 s10, s25
	s_cbranch_scc1 .LBB15_33
; %bb.4:
	s_clause 0x4
	s_load_b32 s4, s[0:1], 0x18
	s_load_b32 s2, s[0:1], 0x30
	s_load_b96 s[16:18], s[0:1], 0x48
	s_load_b128 s[12:15], s[0:1], 0x20
	s_load_b64 s[22:23], s[0:1], 0x58
	s_wait_xcnt 0x0
	s_bfe_u32 s1, ttmp6, 0x4000c
	s_bfe_u32 s3, ttmp6, 0x40010
	v_and_b32_e32 v1, 0x3ff, v0
	v_bfe_u32 v17, v0, 10, 10
	s_and_b32 s28, ttmp7, 0xffff
	s_add_co_i32 s1, s1, 1
	s_add_co_i32 s3, s3, 1
	s_and_b32 s0, ttmp6, 15
	s_mul_i32 s1, ttmp9, s1
	s_mul_i32 s29, s28, s3
	s_bfe_u32 s30, ttmp6, 0x40004
	v_lshl_add_u32 v2, v17, 4, v1
	s_add_co_i32 s0, s0, s1
	s_add_co_i32 s30, s30, s29
	v_lshl_add_u32 v25, v17, 5, 0x400
	s_wait_kmcnt 0x0
	s_ashr_i32 s5, s4, 31
	s_ashr_i32 s3, s2, 31
	;; [unrolled: 1-line block ×3, first 2 shown]
	s_cmp_eq_u32 s26, 0
	v_dual_lshrrev_b32 v20, 5, v2 :: v_dual_lshrrev_b32 v4, 3, v2
	s_cselect_b32 s0, ttmp9, s0
	s_cselect_b32 s1, s28, s30
	s_lshl_b32 s28, s0, 5
	s_lshl_b32 s0, s1, 5
	s_delay_alu instid0(SALU_CYCLE_1) | instskip(SKIP_3) | instid1(VALU_DEP_2)
	v_dual_add_nc_u32 v6, s0, v4 :: v_dual_bitop2_b32 v5, 31, v2 bitop3:0x40
	v_add_nc_u32_e32 v8, s0, v17
	s_mov_b32 s26, s18
	s_cmp_neq_f32 s24, 0
	v_dual_ashrrev_i32 v7, 31, v6 :: v_dual_bitop2_b32 v2, s28, v5 bitop3:0x54
	v_and_b32_e32 v21, 7, v0
	v_dual_add_nc_u32 v14, 16, v8 :: v_dual_lshlrev_b32 v0, 2, v5
	s_delay_alu instid0(VALU_DEP_3) | instskip(NEXT) | instid1(VALU_DEP_4)
	v_ashrrev_i32_e32 v3, 31, v2
	v_mul_u64_e32 v[12:13], s[2:3], v[6:7]
	v_cmp_gt_i32_e64 s0, s20, v2
	s_delay_alu instid0(VALU_DEP_4)
	v_dual_ashrrev_i32 v15, 31, v14 :: v_dual_lshlrev_b32 v16, 2, v21
	v_ashrrev_i32_e32 v9, 31, v8
	v_mul_u64_e32 v[10:11], s[4:5], v[2:3]
	v_lshl_or_b32 v22, v20, 7, v0
	v_dual_add_nc_u32 v0, s28, v1 :: v_dual_lshlrev_b32 v24, 2, v1
	v_lshl_or_b32 v7, v4, 5, v16
	v_mul_u64_e32 v[2:3], s[26:27], v[8:9]
	v_mul_u64_e32 v[4:5], s[26:27], v[14:15]
	s_cselect_b32 s29, -1, 0
	s_cmp_gt_i32 s21, 0
	v_cmp_gt_i32_e64 s1, s20, v6
	v_cmp_le_i32_e32 vcc_lo, v8, v0
	v_cmp_gt_i32_e64 s2, s20, v0
	v_dual_mov_b32 v9, 0 :: v_dual_add_nc_u32 v6, 16, v0
	s_cselect_b32 s5, -1, 0
	s_cmp_neq_f32 s19, 0
	v_cmp_le_i32_e64 s4, v14, v0
	s_delay_alu instid0(VALU_DEP_2)
	v_cmp_gt_i32_e64 s3, s20, v6
	v_mov_b32_e32 v17, v9
	s_cselect_b32 s18, -1, 0
	s_and_b32 s26, vcc_lo, s2
	v_cmp_le_i32_e32 vcc_lo, v8, v6
	v_lshlrev_b32_e32 v8, 2, v20
	v_add_nc_u32_e32 v23, 0x400, v7
	v_dual_ashrrev_i32 v1, 31, v0 :: v_dual_ashrrev_i32 v7, 31, v6
	s_and_b32 s20, vcc_lo, s3
	v_cmp_le_i32_e32 vcc_lo, v14, v6
	s_and_b32 s27, s4, s2
	v_lshl_add_u64 v[8:9], v[10:11], 2, v[8:9]
	v_lshl_add_u64 v[10:11], v[12:13], 2, v[16:17]
	s_delay_alu instid0(VALU_DEP_2) | instskip(NEXT) | instid1(VALU_DEP_2)
	v_add_nc_u64_e32 v[8:9], s[6:7], v[8:9]
	v_add_nc_u64_e32 v[10:11], s[14:15], v[10:11]
	s_and_b32 s14, s29, s5
	s_and_b32 s15, vcc_lo, s3
	s_lshl_b64 s[2:3], s[12:13], 2
	s_lshl_b64 s[4:5], s[8:9], 2
	s_branch .LBB15_6
.LBB15_5:                               ;   in Loop: Header=BB15_6 Depth=1
	s_wait_xcnt 0x0
	s_or_b32 exec_lo, exec_lo, s6
	s_add_co_i32 s10, s10, 0x10000
	s_delay_alu instid0(SALU_CYCLE_1)
	s_cmp_lt_u32 s10, s25
	s_cbranch_scc0 .LBB15_33
.LBB15_6:                               ; =>This Loop Header: Depth=1
                                        ;     Child Loop BB15_9 Depth 2
	v_dual_mov_b32 v19, 0 :: v_dual_mov_b32 v18, 0
	v_dual_mov_b32 v13, 0 :: v_dual_mov_b32 v12, 0
	s_and_not1_b32 vcc_lo, exec_lo, s14
	s_cbranch_vccnz .LBB15_13
; %bb.7:                                ;   in Loop: Header=BB15_6 Depth=1
	v_mad_nc_u64_u32 v[14:15], s2, s10, v[8:9]
	v_mad_nc_u64_u32 v[16:17], s4, s10, v[10:11]
	v_mov_b32_e32 v12, 0
	s_mov_b32 s6, 0
	s_delay_alu instid0(VALU_DEP_1)
	v_dual_mov_b32 v13, v12 :: v_dual_mov_b32 v18, v12
	v_mov_b32_e32 v19, v12
	v_mad_u32 v15, s3, s10, v15
	v_mad_u32 v17, s5, s10, v17
	s_branch .LBB15_9
.LBB15_8:                               ;   in Loop: Header=BB15_9 Depth=2
	s_wait_xcnt 0x0
	s_or_b32 exec_lo, exec_lo, s7
	s_wait_loadcnt 0x0
	ds_store_b32 v23, v27
	s_wait_dscnt 0x0
	s_barrier_signal -1
	s_barrier_wait -1
	ds_load_b128 v[26:29], v25
	ds_load_2addr_b32 v[42:43], v24 offset1:16
	ds_load_b128 v[30:33], v25 offset:512
	ds_load_2addr_b32 v[44:45], v24 offset0:32 offset1:48
	ds_load_2addr_b32 v[46:47], v24 offset0:64 offset1:80
	;; [unrolled: 1-line block ×3, first 2 shown]
	ds_load_b128 v[34:37], v25 offset:16
	ds_load_2addr_b32 v[50:51], v24 offset0:128 offset1:144
	ds_load_b128 v[38:41], v25 offset:528
	v_add_nc_u64_e32 v[14:15], 32, v[14:15]
	v_add_nc_u64_e32 v[16:17], 32, v[16:17]
	s_add_co_i32 s6, s6, 8
	s_delay_alu instid0(SALU_CYCLE_1)
	s_cmp_lt_i32 s6, s21
	s_wait_dscnt 0x7
	v_pk_fma_f32 v[18:19], v[42:43], v[26:27], v[18:19] op_sel_hi:[1,0,1]
	s_wait_dscnt 0x6
	v_pk_fma_f32 v[12:13], v[42:43], v[30:31], v[12:13] op_sel_hi:[1,0,1]
	ds_load_2addr_b32 v[42:43], v24 offset0:160 offset1:176
	s_wait_dscnt 0x6
	v_pk_fma_f32 v[18:19], v[44:45], v[26:27], v[18:19] op_sel:[0,1,0]
	v_pk_fma_f32 v[12:13], v[44:45], v[30:31], v[12:13] op_sel:[0,1,0]
	ds_load_2addr_b32 v[26:27], v24 offset0:192 offset1:208
	v_dual_mov_b32 v30, v29 :: v_dual_mov_b32 v44, v33
	s_wait_dscnt 0x6
	v_pk_fma_f32 v[18:19], v[46:47], v[28:29], v[18:19] op_sel_hi:[1,0,1]
	v_pk_fma_f32 v[12:13], v[46:47], v[32:33], v[12:13] op_sel_hi:[1,0,1]
	ds_load_2addr_b32 v[28:29], v24 offset0:224 offset1:240
	s_wait_dscnt 0x3
	v_mov_b32_e32 v32, v41
	s_wait_dscnt 0x0
	v_pk_fma_f32 v[18:19], v[48:49], v[30:31], v[18:19] op_sel_hi:[1,0,1]
	v_pk_fma_f32 v[12:13], v[48:49], v[44:45], v[12:13] op_sel_hi:[1,0,1]
	v_mov_b32_e32 v30, v37
	s_barrier_signal -1
	s_barrier_wait -1
	v_pk_fma_f32 v[18:19], v[50:51], v[34:35], v[18:19] op_sel_hi:[1,0,1]
	v_pk_fma_f32 v[12:13], v[50:51], v[38:39], v[12:13] op_sel_hi:[1,0,1]
	s_delay_alu instid0(VALU_DEP_2) | instskip(NEXT) | instid1(VALU_DEP_2)
	v_pk_fma_f32 v[18:19], v[42:43], v[34:35], v[18:19] op_sel:[0,1,0]
	v_pk_fma_f32 v[12:13], v[42:43], v[38:39], v[12:13] op_sel:[0,1,0]
	s_delay_alu instid0(VALU_DEP_2) | instskip(NEXT) | instid1(VALU_DEP_2)
	v_pk_fma_f32 v[18:19], v[26:27], v[36:37], v[18:19] op_sel_hi:[1,0,1]
	v_pk_fma_f32 v[12:13], v[26:27], v[40:41], v[12:13] op_sel_hi:[1,0,1]
	s_delay_alu instid0(VALU_DEP_2) | instskip(NEXT) | instid1(VALU_DEP_2)
	v_pk_fma_f32 v[18:19], v[28:29], v[30:31], v[18:19] op_sel_hi:[1,0,1]
	v_pk_fma_f32 v[12:13], v[28:29], v[32:33], v[12:13] op_sel_hi:[1,0,1]
	s_cbranch_scc0 .LBB15_13
.LBB15_9:                               ;   Parent Loop BB15_6 Depth=1
                                        ; =>  This Inner Loop Header: Depth=2
	v_add_nc_u32_e32 v26, s6, v20
	s_delay_alu instid0(VALU_DEP_1) | instskip(SKIP_2) | instid1(SALU_CYCLE_1)
	v_cmp_gt_i32_e32 vcc_lo, s21, v26
	v_mov_b32_e32 v26, 0
	s_and_b32 s8, s0, vcc_lo
	s_and_saveexec_b32 s7, s8
	s_cbranch_execz .LBB15_11
; %bb.10:                               ;   in Loop: Header=BB15_9 Depth=2
	global_load_b32 v26, v[14:15], off
.LBB15_11:                              ;   in Loop: Header=BB15_9 Depth=2
	s_wait_xcnt 0x0
	s_or_b32 exec_lo, exec_lo, s7
	v_add_nc_u32_e32 v27, s6, v21
	s_wait_loadcnt 0x0
	ds_store_b32 v22, v26
	v_cmp_gt_i32_e32 vcc_lo, s21, v27
	v_mov_b32_e32 v27, 0
	s_and_b32 s8, vcc_lo, s1
	s_delay_alu instid0(SALU_CYCLE_1)
	s_and_saveexec_b32 s7, s8
	s_cbranch_execz .LBB15_8
; %bb.12:                               ;   in Loop: Header=BB15_9 Depth=2
	global_load_b32 v27, v[16:17], off
	s_branch .LBB15_8
.LBB15_13:                              ;   in Loop: Header=BB15_6 Depth=1
	s_mul_u64 s[6:7], s[22:23], s[10:11]
	s_delay_alu instid0(SALU_CYCLE_1) | instskip(NEXT) | instid1(SALU_CYCLE_1)
	s_lshl_b64 s[6:7], s[6:7], 2
	s_add_nc_u64 s[6:7], s[16:17], s[6:7]
	s_delay_alu instid0(SALU_CYCLE_1)
	v_lshl_add_u64 v[14:15], v[2:3], 2, s[6:7]
	s_and_saveexec_b32 s8, s26
	s_cbranch_execz .LBB15_17
; %bb.14:                               ;   in Loop: Header=BB15_6 Depth=1
	v_mul_f32_e32 v18, s24, v18
	s_delay_alu instid0(VALU_DEP_2)
	v_lshl_add_u64 v[16:17], v[0:1], 2, v[14:15]
	s_and_b32 vcc_lo, exec_lo, s18
	s_cbranch_vccz .LBB15_28
; %bb.15:                               ;   in Loop: Header=BB15_6 Depth=1
	global_load_b32 v26, v[16:17], off
	s_wait_loadcnt 0x0
	v_fma_f32 v26, s19, v26, v18
	global_store_b32 v[16:17], v26, off
	s_cbranch_execnz .LBB15_17
.LBB15_16:                              ;   in Loop: Header=BB15_6 Depth=1
	global_store_b32 v[16:17], v18, off
.LBB15_17:                              ;   in Loop: Header=BB15_6 Depth=1
	s_wait_xcnt 0x0
	s_or_b32 exec_lo, exec_lo, s8
	s_and_saveexec_b32 s8, s20
	s_cbranch_execz .LBB15_21
; %bb.18:                               ;   in Loop: Header=BB15_6 Depth=1
	v_mul_f32_e32 v16, s24, v19
	v_lshl_add_u64 v[14:15], v[6:7], 2, v[14:15]
	s_and_not1_b32 vcc_lo, exec_lo, s18
	s_cbranch_vccnz .LBB15_29
; %bb.19:                               ;   in Loop: Header=BB15_6 Depth=1
	global_load_b32 v17, v[14:15], off
	s_wait_loadcnt 0x0
	v_fma_f32 v17, s19, v17, v16
	global_store_b32 v[14:15], v17, off
	s_cbranch_execnz .LBB15_21
.LBB15_20:                              ;   in Loop: Header=BB15_6 Depth=1
	global_store_b32 v[14:15], v16, off
.LBB15_21:                              ;   in Loop: Header=BB15_6 Depth=1
	s_wait_xcnt 0x0
	s_or_b32 exec_lo, exec_lo, s8
	v_lshl_add_u64 v[14:15], v[4:5], 2, s[6:7]
	s_and_saveexec_b32 s6, s27
	s_cbranch_execz .LBB15_25
; %bb.22:                               ;   in Loop: Header=BB15_6 Depth=1
	v_mul_f32_e32 v12, s24, v12
	s_delay_alu instid0(VALU_DEP_2)
	v_lshl_add_u64 v[16:17], v[0:1], 2, v[14:15]
	s_and_not1_b32 vcc_lo, exec_lo, s18
	s_cbranch_vccnz .LBB15_30
; %bb.23:                               ;   in Loop: Header=BB15_6 Depth=1
	global_load_b32 v18, v[16:17], off
	s_wait_loadcnt 0x0
	v_fma_f32 v18, s19, v18, v12
	global_store_b32 v[16:17], v18, off
	s_cbranch_execnz .LBB15_25
.LBB15_24:                              ;   in Loop: Header=BB15_6 Depth=1
	global_store_b32 v[16:17], v12, off
.LBB15_25:                              ;   in Loop: Header=BB15_6 Depth=1
	s_wait_xcnt 0x0
	s_or_b32 exec_lo, exec_lo, s6
	s_and_saveexec_b32 s6, s15
	s_cbranch_execz .LBB15_5
; %bb.26:                               ;   in Loop: Header=BB15_6 Depth=1
	v_mul_f32_e32 v16, s24, v13
	v_lshl_add_u64 v[12:13], v[6:7], 2, v[14:15]
	s_and_not1_b32 vcc_lo, exec_lo, s18
	s_cbranch_vccnz .LBB15_31
; %bb.27:                               ;   in Loop: Header=BB15_6 Depth=1
	global_load_b32 v14, v[12:13], off
	s_wait_loadcnt 0x0
	v_fma_f32 v14, s19, v14, v16
	global_store_b32 v[12:13], v14, off
	s_cbranch_execnz .LBB15_5
	s_branch .LBB15_32
.LBB15_28:                              ;   in Loop: Header=BB15_6 Depth=1
	s_branch .LBB15_16
.LBB15_29:                              ;   in Loop: Header=BB15_6 Depth=1
	s_branch .LBB15_20
.LBB15_30:                              ;   in Loop: Header=BB15_6 Depth=1
	s_branch .LBB15_24
.LBB15_31:                              ;   in Loop: Header=BB15_6 Depth=1
.LBB15_32:                              ;   in Loop: Header=BB15_6 Depth=1
	global_store_b32 v[12:13], v16, off
	s_branch .LBB15_5
.LBB15_33:
	s_endpgm
	.section	.rodata,"a",@progbits
	.p2align	6, 0x0
	.amdhsa_kernel _ZL29rocblas_internal_gemmt_kernelIiLi16ELi32ELi8ELc67ELc78ELc76ELb0ELb0EfPKfS1_PfEviT_T9_T10_S3_lS5_S3_lS4_T11_S3_li
		.amdhsa_group_segment_fixed_size 2048
		.amdhsa_private_segment_fixed_size 0
		.amdhsa_kernarg_size 100
		.amdhsa_user_sgpr_count 2
		.amdhsa_user_sgpr_dispatch_ptr 0
		.amdhsa_user_sgpr_queue_ptr 0
		.amdhsa_user_sgpr_kernarg_segment_ptr 1
		.amdhsa_user_sgpr_dispatch_id 0
		.amdhsa_user_sgpr_kernarg_preload_length 0
		.amdhsa_user_sgpr_kernarg_preload_offset 0
		.amdhsa_user_sgpr_private_segment_size 0
		.amdhsa_wavefront_size32 1
		.amdhsa_uses_dynamic_stack 0
		.amdhsa_enable_private_segment 0
		.amdhsa_system_sgpr_workgroup_id_x 1
		.amdhsa_system_sgpr_workgroup_id_y 1
		.amdhsa_system_sgpr_workgroup_id_z 1
		.amdhsa_system_sgpr_workgroup_info 0
		.amdhsa_system_vgpr_workitem_id 1
		.amdhsa_next_free_vgpr 52
		.amdhsa_next_free_sgpr 31
		.amdhsa_named_barrier_count 0
		.amdhsa_reserve_vcc 1
		.amdhsa_float_round_mode_32 0
		.amdhsa_float_round_mode_16_64 0
		.amdhsa_float_denorm_mode_32 3
		.amdhsa_float_denorm_mode_16_64 3
		.amdhsa_fp16_overflow 0
		.amdhsa_memory_ordered 1
		.amdhsa_forward_progress 1
		.amdhsa_inst_pref_size 13
		.amdhsa_round_robin_scheduling 0
		.amdhsa_exception_fp_ieee_invalid_op 0
		.amdhsa_exception_fp_denorm_src 0
		.amdhsa_exception_fp_ieee_div_zero 0
		.amdhsa_exception_fp_ieee_overflow 0
		.amdhsa_exception_fp_ieee_underflow 0
		.amdhsa_exception_fp_ieee_inexact 0
		.amdhsa_exception_int_div_zero 0
	.end_amdhsa_kernel
	.section	.text._ZL29rocblas_internal_gemmt_kernelIiLi16ELi32ELi8ELc67ELc78ELc76ELb0ELb0EfPKfS1_PfEviT_T9_T10_S3_lS5_S3_lS4_T11_S3_li,"axG",@progbits,_ZL29rocblas_internal_gemmt_kernelIiLi16ELi32ELi8ELc67ELc78ELc76ELb0ELb0EfPKfS1_PfEviT_T9_T10_S3_lS5_S3_lS4_T11_S3_li,comdat
.Lfunc_end15:
	.size	_ZL29rocblas_internal_gemmt_kernelIiLi16ELi32ELi8ELc67ELc78ELc76ELb0ELb0EfPKfS1_PfEviT_T9_T10_S3_lS5_S3_lS4_T11_S3_li, .Lfunc_end15-_ZL29rocblas_internal_gemmt_kernelIiLi16ELi32ELi8ELc67ELc78ELc76ELb0ELb0EfPKfS1_PfEviT_T9_T10_S3_lS5_S3_lS4_T11_S3_li
                                        ; -- End function
	.set _ZL29rocblas_internal_gemmt_kernelIiLi16ELi32ELi8ELc67ELc78ELc76ELb0ELb0EfPKfS1_PfEviT_T9_T10_S3_lS5_S3_lS4_T11_S3_li.num_vgpr, 52
	.set _ZL29rocblas_internal_gemmt_kernelIiLi16ELi32ELi8ELc67ELc78ELc76ELb0ELb0EfPKfS1_PfEviT_T9_T10_S3_lS5_S3_lS4_T11_S3_li.num_agpr, 0
	.set _ZL29rocblas_internal_gemmt_kernelIiLi16ELi32ELi8ELc67ELc78ELc76ELb0ELb0EfPKfS1_PfEviT_T9_T10_S3_lS5_S3_lS4_T11_S3_li.numbered_sgpr, 31
	.set _ZL29rocblas_internal_gemmt_kernelIiLi16ELi32ELi8ELc67ELc78ELc76ELb0ELb0EfPKfS1_PfEviT_T9_T10_S3_lS5_S3_lS4_T11_S3_li.num_named_barrier, 0
	.set _ZL29rocblas_internal_gemmt_kernelIiLi16ELi32ELi8ELc67ELc78ELc76ELb0ELb0EfPKfS1_PfEviT_T9_T10_S3_lS5_S3_lS4_T11_S3_li.private_seg_size, 0
	.set _ZL29rocblas_internal_gemmt_kernelIiLi16ELi32ELi8ELc67ELc78ELc76ELb0ELb0EfPKfS1_PfEviT_T9_T10_S3_lS5_S3_lS4_T11_S3_li.uses_vcc, 1
	.set _ZL29rocblas_internal_gemmt_kernelIiLi16ELi32ELi8ELc67ELc78ELc76ELb0ELb0EfPKfS1_PfEviT_T9_T10_S3_lS5_S3_lS4_T11_S3_li.uses_flat_scratch, 0
	.set _ZL29rocblas_internal_gemmt_kernelIiLi16ELi32ELi8ELc67ELc78ELc76ELb0ELb0EfPKfS1_PfEviT_T9_T10_S3_lS5_S3_lS4_T11_S3_li.has_dyn_sized_stack, 0
	.set _ZL29rocblas_internal_gemmt_kernelIiLi16ELi32ELi8ELc67ELc78ELc76ELb0ELb0EfPKfS1_PfEviT_T9_T10_S3_lS5_S3_lS4_T11_S3_li.has_recursion, 0
	.set _ZL29rocblas_internal_gemmt_kernelIiLi16ELi32ELi8ELc67ELc78ELc76ELb0ELb0EfPKfS1_PfEviT_T9_T10_S3_lS5_S3_lS4_T11_S3_li.has_indirect_call, 0
	.section	.AMDGPU.csdata,"",@progbits
; Kernel info:
; codeLenInByte = 1640
; TotalNumSgprs: 33
; NumVgprs: 52
; ScratchSize: 0
; MemoryBound: 0
; FloatMode: 240
; IeeeMode: 1
; LDSByteSize: 2048 bytes/workgroup (compile time only)
; SGPRBlocks: 0
; VGPRBlocks: 3
; NumSGPRsForWavesPerEU: 33
; NumVGPRsForWavesPerEU: 52
; NamedBarCnt: 0
; Occupancy: 16
; WaveLimiterHint : 0
; COMPUTE_PGM_RSRC2:SCRATCH_EN: 0
; COMPUTE_PGM_RSRC2:USER_SGPR: 2
; COMPUTE_PGM_RSRC2:TRAP_HANDLER: 0
; COMPUTE_PGM_RSRC2:TGID_X_EN: 1
; COMPUTE_PGM_RSRC2:TGID_Y_EN: 1
; COMPUTE_PGM_RSRC2:TGID_Z_EN: 1
; COMPUTE_PGM_RSRC2:TIDIG_COMP_CNT: 1
	.section	.text._ZL29rocblas_internal_gemmt_kernelIiLi16ELi32ELi8ELc67ELc84ELc76ELb0ELb0EfPKfS1_PfEviT_T9_T10_S3_lS5_S3_lS4_T11_S3_li,"axG",@progbits,_ZL29rocblas_internal_gemmt_kernelIiLi16ELi32ELi8ELc67ELc84ELc76ELb0ELb0EfPKfS1_PfEviT_T9_T10_S3_lS5_S3_lS4_T11_S3_li,comdat
	.globl	_ZL29rocblas_internal_gemmt_kernelIiLi16ELi32ELi8ELc67ELc84ELc76ELb0ELb0EfPKfS1_PfEviT_T9_T10_S3_lS5_S3_lS4_T11_S3_li ; -- Begin function _ZL29rocblas_internal_gemmt_kernelIiLi16ELi32ELi8ELc67ELc84ELc76ELb0ELb0EfPKfS1_PfEviT_T9_T10_S3_lS5_S3_lS4_T11_S3_li
	.p2align	8
	.type	_ZL29rocblas_internal_gemmt_kernelIiLi16ELi32ELi8ELc67ELc84ELc76ELb0ELb0EfPKfS1_PfEviT_T9_T10_S3_lS5_S3_lS4_T11_S3_li,@function
_ZL29rocblas_internal_gemmt_kernelIiLi16ELi32ELi8ELc67ELc84ELc76ELb0ELb0EfPKfS1_PfEviT_T9_T10_S3_lS5_S3_lS4_T11_S3_li: ; @_ZL29rocblas_internal_gemmt_kernelIiLi16ELi32ELi8ELc67ELc84ELc76ELb0ELb0EfPKfS1_PfEviT_T9_T10_S3_lS5_S3_lS4_T11_S3_li
; %bb.0:
	s_clause 0x1
	s_load_b128 s[8:11], s[0:1], 0x38
	s_load_b128 s[4:7], s[0:1], 0x8
	s_wait_kmcnt 0x0
	s_load_b32 s19, s[10:11], 0x0
	s_load_b64 s[20:21], s[0:1], 0x0
	s_load_b32 s26, s[4:5], 0x0
	s_wait_kmcnt 0x0
	s_cmp_neq_f32 s19, 1.0
	s_cselect_b32 s2, -1, 0
	s_delay_alu instid0(SALU_CYCLE_1)
	s_and_b32 vcc_lo, exec_lo, s2
	s_cbranch_vccnz .LBB16_2
; %bb.1:
	s_cmp_lg_u32 s21, 0
	s_cselect_b32 s2, -1, 0
	s_cmp_neq_f32 s26, 0
	s_cselect_b32 s3, -1, 0
	s_delay_alu instid0(SALU_CYCLE_1)
	s_and_b32 s2, s2, s3
.LBB16_2:
	s_delay_alu instid0(SALU_CYCLE_1)
	s_and_not1_b32 vcc_lo, exec_lo, s2
	s_cbranch_vccnz .LBB16_33
; %bb.3:
	s_load_b32 s27, s[0:1], 0x60
	s_bfe_u32 s2, ttmp6, 0x40014
	s_lshr_b32 s3, ttmp7, 16
	s_add_co_i32 s2, s2, 1
	s_bfe_u32 s5, ttmp6, 0x40008
	s_mul_i32 s2, s3, s2
	s_getreg_b32 s4, hwreg(HW_REG_IB_STS2, 6, 4)
	s_add_co_i32 s5, s5, s2
	s_cmp_eq_u32 s4, 0
	s_mov_b32 s11, 0
	s_cselect_b32 s10, s3, s5
	s_wait_kmcnt 0x0
	s_cmp_ge_u32 s10, s27
	s_cbranch_scc1 .LBB16_33
; %bb.4:
	s_clause 0x3
	s_load_b32 s2, s[0:1], 0x18
	s_load_b32 s24, s[0:1], 0x30
	s_load_b96 s[16:18], s[0:1], 0x48
	s_load_b128 s[12:15], s[0:1], 0x20
	v_and_b32_e32 v8, 0x3ff, v0
	v_bfe_u32 v9, v0, 10, 10
	s_load_b64 s[22:23], s[0:1], 0x58
	s_wait_xcnt 0x0
	s_bfe_u32 s1, ttmp6, 0x4000c
	s_bfe_u32 s3, ttmp6, 0x40010
	s_and_b32 s28, ttmp7, 0xffff
	s_add_co_i32 s1, s1, 1
	s_add_co_i32 s3, s3, 1
	v_lshl_add_u32 v1, v9, 4, v8
	s_and_b32 s0, ttmp6, 15
	s_mul_i32 s1, ttmp9, s1
	s_mul_i32 s29, s28, s3
	s_bfe_u32 s30, ttmp6, 0x40004
	s_add_co_i32 s0, s0, s1
	s_add_co_i32 s30, s30, s29
	v_dual_lshrrev_b32 v5, 3, v1 :: v_dual_bitop2_b32 v4, 31, v1 bitop3:0x40
	s_wait_kmcnt 0x0
	s_ashr_i32 s3, s2, 31
	s_ashr_i32 s25, s24, 31
	;; [unrolled: 1-line block ×3, first 2 shown]
	s_cmp_eq_u32 s4, 0
	v_dual_lshrrev_b32 v22, 5, v1 :: v_dual_bitop2_b32 v0, 7, v0 bitop3:0x40
	s_cselect_b32 s0, ttmp9, s0
	s_cselect_b32 s1, s28, s30
	s_lshl_b32 s28, s0, 5
	s_delay_alu instid0(SALU_CYCLE_1) | instskip(SKIP_2) | instid1(VALU_DEP_1)
	v_dual_mov_b32 v11, 0 :: v_dual_bitop2_b32 v2, s28, v4 bitop3:0x54
	s_lshl_b32 s0, s1, 5
	s_mov_b32 s4, s18
	v_dual_mov_b32 v1, v11 :: v_dual_add_nc_u32 v12, s0, v5
	s_delay_alu instid0(VALU_DEP_2) | instskip(SKIP_2) | instid1(VALU_DEP_4)
	v_dual_add_nc_u32 v14, s0, v9 :: v_dual_ashrrev_i32 v3, 31, v2
	v_lshlrev_b32_e32 v4, 2, v4
	v_cmp_gt_i32_e64 s0, s20, v2
	v_mul_u64_e32 v[18:19], s[24:25], v[0:1]
	s_delay_alu instid0(VALU_DEP_4) | instskip(SKIP_3) | instid1(VALU_DEP_4)
	v_add_nc_u32_e32 v20, 16, v14
	v_mul_u64_e32 v[16:17], s[2:3], v[2:3]
	v_dual_lshlrev_b32 v3, 2, v0 :: v_dual_ashrrev_i32 v15, 31, v14
	v_dual_add_nc_u32 v2, s28, v8 :: v_dual_lshlrev_b32 v24, 2, v8
	v_ashrrev_i32_e32 v21, 31, v20
	v_lshl_or_b32 v1, v22, 7, v4
	s_delay_alu instid0(VALU_DEP_4)
	v_lshl_or_b32 v3, v5, 5, v3
	v_mul_u64_e32 v[4:5], s[4:5], v[14:15]
	v_add_nc_u32_e32 v8, 16, v2
	v_mul_u64_e32 v[6:7], s[4:5], v[20:21]
	v_dual_ashrrev_i32 v13, 31, v12 :: v_dual_lshlrev_b32 v10, 2, v22
	v_cmp_gt_i32_e64 s1, s20, v12
	s_cmp_neq_f32 s26, 0
	v_cmp_le_i32_e32 vcc_lo, v14, v2
	v_lshlrev_b64_e32 v[12:13], 2, v[12:13]
	v_cmp_gt_i32_e64 s2, s20, v2
	s_cselect_b32 s31, -1, 0
	s_cmp_gt_i32 s21, 0
	v_cmp_le_i32_e64 s3, v14, v8
	v_cmp_gt_i32_e64 s4, s20, v8
	s_cselect_b32 s33, -1, 0
	s_cmp_neq_f32 s19, 0
	v_add_nc_u32_e32 v23, 0x400, v3
	v_lshl_add_u32 v25, v9, 5, 0x400
	v_dual_ashrrev_i32 v3, 31, v2 :: v_dual_ashrrev_i32 v9, 31, v8
	s_cselect_b32 s18, -1, 0
	s_and_b32 s20, vcc_lo, s2
	v_lshl_add_u64 v[12:13], v[18:19], 2, v[12:13]
	s_and_b32 s28, s3, s4
	v_lshl_add_u64 v[10:11], v[16:17], 2, v[10:11]
	v_cmp_le_i32_e32 vcc_lo, v20, v2
	v_cmp_le_i32_e64 s3, v20, v8
	v_add_nc_u64_e32 v[12:13], s[14:15], v[12:13]
	s_and_b32 s14, s31, s33
	v_add_nc_u64_e32 v[10:11], s[6:7], v[10:11]
	s_and_b32 s29, vcc_lo, s2
	s_and_b32 s30, s3, s4
	s_lshl_b64 s[2:3], s[12:13], 2
	s_lshl_b64 s[4:5], s[8:9], 2
	;; [unrolled: 1-line block ×3, first 2 shown]
	s_branch .LBB16_6
.LBB16_5:                               ;   in Loop: Header=BB16_6 Depth=1
	s_wait_xcnt 0x0
	s_or_b32 exec_lo, exec_lo, s8
	s_add_co_i32 s10, s10, 0x10000
	s_delay_alu instid0(SALU_CYCLE_1)
	s_cmp_lt_u32 s10, s27
	s_cbranch_scc0 .LBB16_33
.LBB16_6:                               ; =>This Loop Header: Depth=1
                                        ;     Child Loop BB16_9 Depth 2
	v_dual_mov_b32 v21, 0 :: v_dual_mov_b32 v20, 0
	v_dual_mov_b32 v15, 0 :: v_dual_mov_b32 v14, 0
	s_and_not1_b32 vcc_lo, exec_lo, s14
	s_cbranch_vccnz .LBB16_13
; %bb.7:                                ;   in Loop: Header=BB16_6 Depth=1
	v_mad_nc_u64_u32 v[16:17], s2, s10, v[10:11]
	v_mad_nc_u64_u32 v[18:19], s4, s10, v[12:13]
	v_mov_b32_e32 v14, 0
	s_mov_b32 s8, 0
	s_delay_alu instid0(VALU_DEP_1)
	v_dual_mov_b32 v15, v14 :: v_dual_mov_b32 v20, v14
	v_mov_b32_e32 v21, v14
	v_mad_u32 v17, s3, s10, v17
	v_mad_u32 v19, s5, s10, v19
	s_branch .LBB16_9
.LBB16_8:                               ;   in Loop: Header=BB16_9 Depth=2
	s_wait_xcnt 0x0
	s_or_b32 exec_lo, exec_lo, s9
	s_wait_loadcnt 0x0
	ds_store_b32 v23, v27
	s_wait_dscnt 0x0
	s_barrier_signal -1
	s_barrier_wait -1
	ds_load_b128 v[26:29], v25
	ds_load_2addr_b32 v[42:43], v24 offset1:16
	ds_load_b128 v[30:33], v25 offset:512
	ds_load_2addr_b32 v[44:45], v24 offset0:32 offset1:48
	ds_load_2addr_b32 v[46:47], v24 offset0:64 offset1:80
	;; [unrolled: 1-line block ×3, first 2 shown]
	ds_load_b128 v[34:37], v25 offset:16
	ds_load_2addr_b32 v[50:51], v24 offset0:128 offset1:144
	ds_load_b128 v[38:41], v25 offset:528
	v_add_nc_u64_e32 v[16:17], 32, v[16:17]
	v_add_nc_u64_e32 v[18:19], s[6:7], v[18:19]
	s_add_co_i32 s8, s8, 8
	s_delay_alu instid0(SALU_CYCLE_1)
	s_cmp_lt_i32 s8, s21
	s_wait_dscnt 0x7
	v_pk_fma_f32 v[20:21], v[42:43], v[26:27], v[20:21] op_sel_hi:[1,0,1]
	s_wait_dscnt 0x6
	v_pk_fma_f32 v[14:15], v[42:43], v[30:31], v[14:15] op_sel_hi:[1,0,1]
	ds_load_2addr_b32 v[42:43], v24 offset0:160 offset1:176
	s_wait_dscnt 0x6
	v_pk_fma_f32 v[20:21], v[44:45], v[26:27], v[20:21] op_sel:[0,1,0]
	v_pk_fma_f32 v[14:15], v[44:45], v[30:31], v[14:15] op_sel:[0,1,0]
	ds_load_2addr_b32 v[26:27], v24 offset0:192 offset1:208
	v_dual_mov_b32 v30, v29 :: v_dual_mov_b32 v44, v33
	s_wait_dscnt 0x6
	v_pk_fma_f32 v[20:21], v[46:47], v[28:29], v[20:21] op_sel_hi:[1,0,1]
	v_pk_fma_f32 v[14:15], v[46:47], v[32:33], v[14:15] op_sel_hi:[1,0,1]
	ds_load_2addr_b32 v[28:29], v24 offset0:224 offset1:240
	s_wait_dscnt 0x3
	v_mov_b32_e32 v32, v41
	s_wait_dscnt 0x0
	v_pk_fma_f32 v[20:21], v[48:49], v[30:31], v[20:21] op_sel_hi:[1,0,1]
	v_pk_fma_f32 v[14:15], v[48:49], v[44:45], v[14:15] op_sel_hi:[1,0,1]
	v_mov_b32_e32 v30, v37
	s_barrier_signal -1
	s_barrier_wait -1
	v_pk_fma_f32 v[20:21], v[50:51], v[34:35], v[20:21] op_sel_hi:[1,0,1]
	v_pk_fma_f32 v[14:15], v[50:51], v[38:39], v[14:15] op_sel_hi:[1,0,1]
	s_delay_alu instid0(VALU_DEP_2) | instskip(NEXT) | instid1(VALU_DEP_2)
	v_pk_fma_f32 v[20:21], v[42:43], v[34:35], v[20:21] op_sel:[0,1,0]
	v_pk_fma_f32 v[14:15], v[42:43], v[38:39], v[14:15] op_sel:[0,1,0]
	s_delay_alu instid0(VALU_DEP_2) | instskip(NEXT) | instid1(VALU_DEP_2)
	v_pk_fma_f32 v[20:21], v[26:27], v[36:37], v[20:21] op_sel_hi:[1,0,1]
	v_pk_fma_f32 v[14:15], v[26:27], v[40:41], v[14:15] op_sel_hi:[1,0,1]
	s_delay_alu instid0(VALU_DEP_2) | instskip(NEXT) | instid1(VALU_DEP_2)
	v_pk_fma_f32 v[20:21], v[28:29], v[30:31], v[20:21] op_sel_hi:[1,0,1]
	v_pk_fma_f32 v[14:15], v[28:29], v[32:33], v[14:15] op_sel_hi:[1,0,1]
	s_cbranch_scc0 .LBB16_13
.LBB16_9:                               ;   Parent Loop BB16_6 Depth=1
                                        ; =>  This Inner Loop Header: Depth=2
	v_add_nc_u32_e32 v26, s8, v22
	s_delay_alu instid0(VALU_DEP_1) | instskip(SKIP_2) | instid1(SALU_CYCLE_1)
	v_cmp_gt_i32_e32 vcc_lo, s21, v26
	v_mov_b32_e32 v26, 0
	s_and_b32 s12, s0, vcc_lo
	s_and_saveexec_b32 s9, s12
	s_cbranch_execz .LBB16_11
; %bb.10:                               ;   in Loop: Header=BB16_9 Depth=2
	global_load_b32 v26, v[16:17], off
.LBB16_11:                              ;   in Loop: Header=BB16_9 Depth=2
	s_wait_xcnt 0x0
	s_or_b32 exec_lo, exec_lo, s9
	v_add_nc_u32_e32 v27, s8, v0
	s_wait_loadcnt 0x0
	ds_store_b32 v1, v26
	v_cmp_gt_i32_e32 vcc_lo, s21, v27
	v_mov_b32_e32 v27, 0
	s_and_b32 s12, vcc_lo, s1
	s_delay_alu instid0(SALU_CYCLE_1)
	s_and_saveexec_b32 s9, s12
	s_cbranch_execz .LBB16_8
; %bb.12:                               ;   in Loop: Header=BB16_9 Depth=2
	global_load_b32 v27, v[18:19], off
	s_branch .LBB16_8
.LBB16_13:                              ;   in Loop: Header=BB16_6 Depth=1
	s_mul_u64 s[8:9], s[22:23], s[10:11]
	s_delay_alu instid0(SALU_CYCLE_1) | instskip(NEXT) | instid1(SALU_CYCLE_1)
	s_lshl_b64 s[8:9], s[8:9], 2
	s_add_nc_u64 s[8:9], s[16:17], s[8:9]
	s_delay_alu instid0(SALU_CYCLE_1)
	v_lshl_add_u64 v[16:17], v[4:5], 2, s[8:9]
	s_and_saveexec_b32 s12, s20
	s_cbranch_execz .LBB16_17
; %bb.14:                               ;   in Loop: Header=BB16_6 Depth=1
	v_mul_f32_e32 v20, s26, v20
	s_delay_alu instid0(VALU_DEP_2)
	v_lshl_add_u64 v[18:19], v[2:3], 2, v[16:17]
	s_and_b32 vcc_lo, exec_lo, s18
	s_cbranch_vccz .LBB16_28
; %bb.15:                               ;   in Loop: Header=BB16_6 Depth=1
	global_load_b32 v26, v[18:19], off
	s_wait_loadcnt 0x0
	v_fma_f32 v26, s19, v26, v20
	global_store_b32 v[18:19], v26, off
	s_cbranch_execnz .LBB16_17
.LBB16_16:                              ;   in Loop: Header=BB16_6 Depth=1
	global_store_b32 v[18:19], v20, off
.LBB16_17:                              ;   in Loop: Header=BB16_6 Depth=1
	s_wait_xcnt 0x0
	s_or_b32 exec_lo, exec_lo, s12
	s_and_saveexec_b32 s12, s28
	s_cbranch_execz .LBB16_21
; %bb.18:                               ;   in Loop: Header=BB16_6 Depth=1
	v_mul_f32_e32 v18, s26, v21
	v_lshl_add_u64 v[16:17], v[8:9], 2, v[16:17]
	s_and_not1_b32 vcc_lo, exec_lo, s18
	s_cbranch_vccnz .LBB16_29
; %bb.19:                               ;   in Loop: Header=BB16_6 Depth=1
	global_load_b32 v19, v[16:17], off
	s_wait_loadcnt 0x0
	v_fma_f32 v19, s19, v19, v18
	global_store_b32 v[16:17], v19, off
	s_cbranch_execnz .LBB16_21
.LBB16_20:                              ;   in Loop: Header=BB16_6 Depth=1
	global_store_b32 v[16:17], v18, off
.LBB16_21:                              ;   in Loop: Header=BB16_6 Depth=1
	s_wait_xcnt 0x0
	s_or_b32 exec_lo, exec_lo, s12
	v_lshl_add_u64 v[16:17], v[6:7], 2, s[8:9]
	s_and_saveexec_b32 s8, s29
	s_cbranch_execz .LBB16_25
; %bb.22:                               ;   in Loop: Header=BB16_6 Depth=1
	v_mul_f32_e32 v14, s26, v14
	s_delay_alu instid0(VALU_DEP_2)
	v_lshl_add_u64 v[18:19], v[2:3], 2, v[16:17]
	s_and_not1_b32 vcc_lo, exec_lo, s18
	s_cbranch_vccnz .LBB16_30
; %bb.23:                               ;   in Loop: Header=BB16_6 Depth=1
	global_load_b32 v20, v[18:19], off
	s_wait_loadcnt 0x0
	v_fma_f32 v20, s19, v20, v14
	global_store_b32 v[18:19], v20, off
	s_cbranch_execnz .LBB16_25
.LBB16_24:                              ;   in Loop: Header=BB16_6 Depth=1
	global_store_b32 v[18:19], v14, off
.LBB16_25:                              ;   in Loop: Header=BB16_6 Depth=1
	s_wait_xcnt 0x0
	s_or_b32 exec_lo, exec_lo, s8
	s_and_saveexec_b32 s8, s30
	s_cbranch_execz .LBB16_5
; %bb.26:                               ;   in Loop: Header=BB16_6 Depth=1
	v_mul_f32_e32 v18, s26, v15
	v_lshl_add_u64 v[14:15], v[8:9], 2, v[16:17]
	s_and_not1_b32 vcc_lo, exec_lo, s18
	s_cbranch_vccnz .LBB16_31
; %bb.27:                               ;   in Loop: Header=BB16_6 Depth=1
	global_load_b32 v16, v[14:15], off
	s_wait_loadcnt 0x0
	v_fma_f32 v16, s19, v16, v18
	global_store_b32 v[14:15], v16, off
	s_cbranch_execnz .LBB16_5
	s_branch .LBB16_32
.LBB16_28:                              ;   in Loop: Header=BB16_6 Depth=1
	s_branch .LBB16_16
.LBB16_29:                              ;   in Loop: Header=BB16_6 Depth=1
	s_branch .LBB16_20
.LBB16_30:                              ;   in Loop: Header=BB16_6 Depth=1
	s_branch .LBB16_24
.LBB16_31:                              ;   in Loop: Header=BB16_6 Depth=1
.LBB16_32:                              ;   in Loop: Header=BB16_6 Depth=1
	global_store_b32 v[14:15], v18, off
	s_branch .LBB16_5
.LBB16_33:
	s_endpgm
	.section	.rodata,"a",@progbits
	.p2align	6, 0x0
	.amdhsa_kernel _ZL29rocblas_internal_gemmt_kernelIiLi16ELi32ELi8ELc67ELc84ELc76ELb0ELb0EfPKfS1_PfEviT_T9_T10_S3_lS5_S3_lS4_T11_S3_li
		.amdhsa_group_segment_fixed_size 2048
		.amdhsa_private_segment_fixed_size 0
		.amdhsa_kernarg_size 100
		.amdhsa_user_sgpr_count 2
		.amdhsa_user_sgpr_dispatch_ptr 0
		.amdhsa_user_sgpr_queue_ptr 0
		.amdhsa_user_sgpr_kernarg_segment_ptr 1
		.amdhsa_user_sgpr_dispatch_id 0
		.amdhsa_user_sgpr_kernarg_preload_length 0
		.amdhsa_user_sgpr_kernarg_preload_offset 0
		.amdhsa_user_sgpr_private_segment_size 0
		.amdhsa_wavefront_size32 1
		.amdhsa_uses_dynamic_stack 0
		.amdhsa_enable_private_segment 0
		.amdhsa_system_sgpr_workgroup_id_x 1
		.amdhsa_system_sgpr_workgroup_id_y 1
		.amdhsa_system_sgpr_workgroup_id_z 1
		.amdhsa_system_sgpr_workgroup_info 0
		.amdhsa_system_vgpr_workitem_id 1
		.amdhsa_next_free_vgpr 52
		.amdhsa_next_free_sgpr 34
		.amdhsa_named_barrier_count 0
		.amdhsa_reserve_vcc 1
		.amdhsa_float_round_mode_32 0
		.amdhsa_float_round_mode_16_64 0
		.amdhsa_float_denorm_mode_32 3
		.amdhsa_float_denorm_mode_16_64 3
		.amdhsa_fp16_overflow 0
		.amdhsa_memory_ordered 1
		.amdhsa_forward_progress 1
		.amdhsa_inst_pref_size 13
		.amdhsa_round_robin_scheduling 0
		.amdhsa_exception_fp_ieee_invalid_op 0
		.amdhsa_exception_fp_denorm_src 0
		.amdhsa_exception_fp_ieee_div_zero 0
		.amdhsa_exception_fp_ieee_overflow 0
		.amdhsa_exception_fp_ieee_underflow 0
		.amdhsa_exception_fp_ieee_inexact 0
		.amdhsa_exception_int_div_zero 0
	.end_amdhsa_kernel
	.section	.text._ZL29rocblas_internal_gemmt_kernelIiLi16ELi32ELi8ELc67ELc84ELc76ELb0ELb0EfPKfS1_PfEviT_T9_T10_S3_lS5_S3_lS4_T11_S3_li,"axG",@progbits,_ZL29rocblas_internal_gemmt_kernelIiLi16ELi32ELi8ELc67ELc84ELc76ELb0ELb0EfPKfS1_PfEviT_T9_T10_S3_lS5_S3_lS4_T11_S3_li,comdat
.Lfunc_end16:
	.size	_ZL29rocblas_internal_gemmt_kernelIiLi16ELi32ELi8ELc67ELc84ELc76ELb0ELb0EfPKfS1_PfEviT_T9_T10_S3_lS5_S3_lS4_T11_S3_li, .Lfunc_end16-_ZL29rocblas_internal_gemmt_kernelIiLi16ELi32ELi8ELc67ELc84ELc76ELb0ELb0EfPKfS1_PfEviT_T9_T10_S3_lS5_S3_lS4_T11_S3_li
                                        ; -- End function
	.set _ZL29rocblas_internal_gemmt_kernelIiLi16ELi32ELi8ELc67ELc84ELc76ELb0ELb0EfPKfS1_PfEviT_T9_T10_S3_lS5_S3_lS4_T11_S3_li.num_vgpr, 52
	.set _ZL29rocblas_internal_gemmt_kernelIiLi16ELi32ELi8ELc67ELc84ELc76ELb0ELb0EfPKfS1_PfEviT_T9_T10_S3_lS5_S3_lS4_T11_S3_li.num_agpr, 0
	.set _ZL29rocblas_internal_gemmt_kernelIiLi16ELi32ELi8ELc67ELc84ELc76ELb0ELb0EfPKfS1_PfEviT_T9_T10_S3_lS5_S3_lS4_T11_S3_li.numbered_sgpr, 34
	.set _ZL29rocblas_internal_gemmt_kernelIiLi16ELi32ELi8ELc67ELc84ELc76ELb0ELb0EfPKfS1_PfEviT_T9_T10_S3_lS5_S3_lS4_T11_S3_li.num_named_barrier, 0
	.set _ZL29rocblas_internal_gemmt_kernelIiLi16ELi32ELi8ELc67ELc84ELc76ELb0ELb0EfPKfS1_PfEviT_T9_T10_S3_lS5_S3_lS4_T11_S3_li.private_seg_size, 0
	.set _ZL29rocblas_internal_gemmt_kernelIiLi16ELi32ELi8ELc67ELc84ELc76ELb0ELb0EfPKfS1_PfEviT_T9_T10_S3_lS5_S3_lS4_T11_S3_li.uses_vcc, 1
	.set _ZL29rocblas_internal_gemmt_kernelIiLi16ELi32ELi8ELc67ELc84ELc76ELb0ELb0EfPKfS1_PfEviT_T9_T10_S3_lS5_S3_lS4_T11_S3_li.uses_flat_scratch, 0
	.set _ZL29rocblas_internal_gemmt_kernelIiLi16ELi32ELi8ELc67ELc84ELc76ELb0ELb0EfPKfS1_PfEviT_T9_T10_S3_lS5_S3_lS4_T11_S3_li.has_dyn_sized_stack, 0
	.set _ZL29rocblas_internal_gemmt_kernelIiLi16ELi32ELi8ELc67ELc84ELc76ELb0ELb0EfPKfS1_PfEviT_T9_T10_S3_lS5_S3_lS4_T11_S3_li.has_recursion, 0
	.set _ZL29rocblas_internal_gemmt_kernelIiLi16ELi32ELi8ELc67ELc84ELc76ELb0ELb0EfPKfS1_PfEviT_T9_T10_S3_lS5_S3_lS4_T11_S3_li.has_indirect_call, 0
	.section	.AMDGPU.csdata,"",@progbits
; Kernel info:
; codeLenInByte = 1652
; TotalNumSgprs: 36
; NumVgprs: 52
; ScratchSize: 0
; MemoryBound: 0
; FloatMode: 240
; IeeeMode: 1
; LDSByteSize: 2048 bytes/workgroup (compile time only)
; SGPRBlocks: 0
; VGPRBlocks: 3
; NumSGPRsForWavesPerEU: 36
; NumVGPRsForWavesPerEU: 52
; NamedBarCnt: 0
; Occupancy: 16
; WaveLimiterHint : 0
; COMPUTE_PGM_RSRC2:SCRATCH_EN: 0
; COMPUTE_PGM_RSRC2:USER_SGPR: 2
; COMPUTE_PGM_RSRC2:TRAP_HANDLER: 0
; COMPUTE_PGM_RSRC2:TGID_X_EN: 1
; COMPUTE_PGM_RSRC2:TGID_Y_EN: 1
; COMPUTE_PGM_RSRC2:TGID_Z_EN: 1
; COMPUTE_PGM_RSRC2:TIDIG_COMP_CNT: 1
	.section	.text._ZL29rocblas_internal_gemmt_kernelIiLi16ELi32ELi8ELc67ELc67ELc76ELb0ELb0EfPKfS1_PfEviT_T9_T10_S3_lS5_S3_lS4_T11_S3_li,"axG",@progbits,_ZL29rocblas_internal_gemmt_kernelIiLi16ELi32ELi8ELc67ELc67ELc76ELb0ELb0EfPKfS1_PfEviT_T9_T10_S3_lS5_S3_lS4_T11_S3_li,comdat
	.globl	_ZL29rocblas_internal_gemmt_kernelIiLi16ELi32ELi8ELc67ELc67ELc76ELb0ELb0EfPKfS1_PfEviT_T9_T10_S3_lS5_S3_lS4_T11_S3_li ; -- Begin function _ZL29rocblas_internal_gemmt_kernelIiLi16ELi32ELi8ELc67ELc67ELc76ELb0ELb0EfPKfS1_PfEviT_T9_T10_S3_lS5_S3_lS4_T11_S3_li
	.p2align	8
	.type	_ZL29rocblas_internal_gemmt_kernelIiLi16ELi32ELi8ELc67ELc67ELc76ELb0ELb0EfPKfS1_PfEviT_T9_T10_S3_lS5_S3_lS4_T11_S3_li,@function
_ZL29rocblas_internal_gemmt_kernelIiLi16ELi32ELi8ELc67ELc67ELc76ELb0ELb0EfPKfS1_PfEviT_T9_T10_S3_lS5_S3_lS4_T11_S3_li: ; @_ZL29rocblas_internal_gemmt_kernelIiLi16ELi32ELi8ELc67ELc67ELc76ELb0ELb0EfPKfS1_PfEviT_T9_T10_S3_lS5_S3_lS4_T11_S3_li
; %bb.0:
	s_clause 0x1
	s_load_b128 s[8:11], s[0:1], 0x38
	s_load_b128 s[4:7], s[0:1], 0x8
	s_wait_kmcnt 0x0
	s_load_b32 s19, s[10:11], 0x0
	s_load_b64 s[20:21], s[0:1], 0x0
	s_load_b32 s26, s[4:5], 0x0
	s_wait_kmcnt 0x0
	s_cmp_neq_f32 s19, 1.0
	s_cselect_b32 s2, -1, 0
	s_delay_alu instid0(SALU_CYCLE_1)
	s_and_b32 vcc_lo, exec_lo, s2
	s_cbranch_vccnz .LBB17_2
; %bb.1:
	s_cmp_lg_u32 s21, 0
	s_cselect_b32 s2, -1, 0
	s_cmp_neq_f32 s26, 0
	s_cselect_b32 s3, -1, 0
	s_delay_alu instid0(SALU_CYCLE_1)
	s_and_b32 s2, s2, s3
.LBB17_2:
	s_delay_alu instid0(SALU_CYCLE_1)
	s_and_not1_b32 vcc_lo, exec_lo, s2
	s_cbranch_vccnz .LBB17_33
; %bb.3:
	s_load_b32 s27, s[0:1], 0x60
	s_bfe_u32 s2, ttmp6, 0x40014
	s_lshr_b32 s3, ttmp7, 16
	s_add_co_i32 s2, s2, 1
	s_bfe_u32 s5, ttmp6, 0x40008
	s_mul_i32 s2, s3, s2
	s_getreg_b32 s4, hwreg(HW_REG_IB_STS2, 6, 4)
	s_add_co_i32 s5, s5, s2
	s_cmp_eq_u32 s4, 0
	s_mov_b32 s11, 0
	s_cselect_b32 s10, s3, s5
	s_wait_kmcnt 0x0
	s_cmp_ge_u32 s10, s27
	s_cbranch_scc1 .LBB17_33
; %bb.4:
	s_clause 0x3
	s_load_b32 s2, s[0:1], 0x18
	s_load_b32 s24, s[0:1], 0x30
	s_load_b96 s[16:18], s[0:1], 0x48
	s_load_b128 s[12:15], s[0:1], 0x20
	v_and_b32_e32 v8, 0x3ff, v0
	v_bfe_u32 v9, v0, 10, 10
	s_load_b64 s[22:23], s[0:1], 0x58
	s_wait_xcnt 0x0
	s_bfe_u32 s1, ttmp6, 0x4000c
	s_bfe_u32 s3, ttmp6, 0x40010
	s_and_b32 s28, ttmp7, 0xffff
	s_add_co_i32 s1, s1, 1
	s_add_co_i32 s3, s3, 1
	v_lshl_add_u32 v1, v9, 4, v8
	s_and_b32 s0, ttmp6, 15
	s_mul_i32 s1, ttmp9, s1
	s_mul_i32 s29, s28, s3
	s_bfe_u32 s30, ttmp6, 0x40004
	s_add_co_i32 s0, s0, s1
	s_add_co_i32 s30, s30, s29
	v_dual_lshrrev_b32 v5, 3, v1 :: v_dual_bitop2_b32 v4, 31, v1 bitop3:0x40
	s_wait_kmcnt 0x0
	s_ashr_i32 s3, s2, 31
	s_ashr_i32 s25, s24, 31
	;; [unrolled: 1-line block ×3, first 2 shown]
	s_cmp_eq_u32 s4, 0
	v_dual_lshrrev_b32 v22, 5, v1 :: v_dual_bitop2_b32 v0, 7, v0 bitop3:0x40
	s_cselect_b32 s0, ttmp9, s0
	s_cselect_b32 s1, s28, s30
	s_lshl_b32 s28, s0, 5
	s_delay_alu instid0(SALU_CYCLE_1) | instskip(SKIP_2) | instid1(VALU_DEP_1)
	v_dual_mov_b32 v11, 0 :: v_dual_bitop2_b32 v2, s28, v4 bitop3:0x54
	s_lshl_b32 s0, s1, 5
	s_mov_b32 s4, s18
	v_dual_mov_b32 v1, v11 :: v_dual_add_nc_u32 v12, s0, v5
	s_delay_alu instid0(VALU_DEP_2) | instskip(SKIP_2) | instid1(VALU_DEP_4)
	v_dual_add_nc_u32 v14, s0, v9 :: v_dual_ashrrev_i32 v3, 31, v2
	v_lshlrev_b32_e32 v4, 2, v4
	v_cmp_gt_i32_e64 s0, s20, v2
	v_mul_u64_e32 v[18:19], s[24:25], v[0:1]
	s_delay_alu instid0(VALU_DEP_4) | instskip(SKIP_3) | instid1(VALU_DEP_4)
	v_add_nc_u32_e32 v20, 16, v14
	v_mul_u64_e32 v[16:17], s[2:3], v[2:3]
	v_dual_lshlrev_b32 v3, 2, v0 :: v_dual_ashrrev_i32 v15, 31, v14
	v_dual_add_nc_u32 v2, s28, v8 :: v_dual_lshlrev_b32 v24, 2, v8
	v_ashrrev_i32_e32 v21, 31, v20
	v_lshl_or_b32 v1, v22, 7, v4
	s_delay_alu instid0(VALU_DEP_4)
	v_lshl_or_b32 v3, v5, 5, v3
	v_mul_u64_e32 v[4:5], s[4:5], v[14:15]
	v_add_nc_u32_e32 v8, 16, v2
	v_mul_u64_e32 v[6:7], s[4:5], v[20:21]
	v_dual_ashrrev_i32 v13, 31, v12 :: v_dual_lshlrev_b32 v10, 2, v22
	v_cmp_gt_i32_e64 s1, s20, v12
	s_cmp_neq_f32 s26, 0
	v_cmp_le_i32_e32 vcc_lo, v14, v2
	v_lshlrev_b64_e32 v[12:13], 2, v[12:13]
	v_cmp_gt_i32_e64 s2, s20, v2
	s_cselect_b32 s31, -1, 0
	s_cmp_gt_i32 s21, 0
	v_cmp_le_i32_e64 s3, v14, v8
	v_cmp_gt_i32_e64 s4, s20, v8
	s_cselect_b32 s33, -1, 0
	s_cmp_neq_f32 s19, 0
	v_add_nc_u32_e32 v23, 0x400, v3
	v_lshl_add_u32 v25, v9, 5, 0x400
	v_dual_ashrrev_i32 v3, 31, v2 :: v_dual_ashrrev_i32 v9, 31, v8
	s_cselect_b32 s18, -1, 0
	s_and_b32 s20, vcc_lo, s2
	v_lshl_add_u64 v[12:13], v[18:19], 2, v[12:13]
	s_and_b32 s28, s3, s4
	v_lshl_add_u64 v[10:11], v[16:17], 2, v[10:11]
	v_cmp_le_i32_e32 vcc_lo, v20, v2
	v_cmp_le_i32_e64 s3, v20, v8
	v_add_nc_u64_e32 v[12:13], s[14:15], v[12:13]
	s_and_b32 s14, s31, s33
	v_add_nc_u64_e32 v[10:11], s[6:7], v[10:11]
	s_and_b32 s29, vcc_lo, s2
	s_and_b32 s30, s3, s4
	s_lshl_b64 s[2:3], s[12:13], 2
	s_lshl_b64 s[4:5], s[8:9], 2
	;; [unrolled: 1-line block ×3, first 2 shown]
	s_branch .LBB17_6
.LBB17_5:                               ;   in Loop: Header=BB17_6 Depth=1
	s_wait_xcnt 0x0
	s_or_b32 exec_lo, exec_lo, s8
	s_add_co_i32 s10, s10, 0x10000
	s_delay_alu instid0(SALU_CYCLE_1)
	s_cmp_lt_u32 s10, s27
	s_cbranch_scc0 .LBB17_33
.LBB17_6:                               ; =>This Loop Header: Depth=1
                                        ;     Child Loop BB17_9 Depth 2
	v_dual_mov_b32 v21, 0 :: v_dual_mov_b32 v20, 0
	v_dual_mov_b32 v15, 0 :: v_dual_mov_b32 v14, 0
	s_and_not1_b32 vcc_lo, exec_lo, s14
	s_cbranch_vccnz .LBB17_13
; %bb.7:                                ;   in Loop: Header=BB17_6 Depth=1
	v_mad_nc_u64_u32 v[16:17], s2, s10, v[10:11]
	v_mad_nc_u64_u32 v[18:19], s4, s10, v[12:13]
	v_mov_b32_e32 v14, 0
	s_mov_b32 s8, 0
	s_delay_alu instid0(VALU_DEP_1)
	v_dual_mov_b32 v15, v14 :: v_dual_mov_b32 v20, v14
	v_mov_b32_e32 v21, v14
	v_mad_u32 v17, s3, s10, v17
	v_mad_u32 v19, s5, s10, v19
	s_branch .LBB17_9
.LBB17_8:                               ;   in Loop: Header=BB17_9 Depth=2
	s_wait_xcnt 0x0
	s_or_b32 exec_lo, exec_lo, s9
	s_wait_loadcnt 0x0
	ds_store_b32 v23, v27
	s_wait_dscnt 0x0
	s_barrier_signal -1
	s_barrier_wait -1
	ds_load_b128 v[26:29], v25
	ds_load_2addr_b32 v[42:43], v24 offset1:16
	ds_load_b128 v[30:33], v25 offset:512
	ds_load_2addr_b32 v[44:45], v24 offset0:32 offset1:48
	ds_load_2addr_b32 v[46:47], v24 offset0:64 offset1:80
	;; [unrolled: 1-line block ×3, first 2 shown]
	ds_load_b128 v[34:37], v25 offset:16
	ds_load_2addr_b32 v[50:51], v24 offset0:128 offset1:144
	ds_load_b128 v[38:41], v25 offset:528
	v_add_nc_u64_e32 v[16:17], 32, v[16:17]
	v_add_nc_u64_e32 v[18:19], s[6:7], v[18:19]
	s_add_co_i32 s8, s8, 8
	s_delay_alu instid0(SALU_CYCLE_1)
	s_cmp_lt_i32 s8, s21
	s_wait_dscnt 0x7
	v_pk_fma_f32 v[20:21], v[42:43], v[26:27], v[20:21] op_sel_hi:[1,0,1]
	s_wait_dscnt 0x6
	v_pk_fma_f32 v[14:15], v[42:43], v[30:31], v[14:15] op_sel_hi:[1,0,1]
	ds_load_2addr_b32 v[42:43], v24 offset0:160 offset1:176
	s_wait_dscnt 0x6
	v_pk_fma_f32 v[20:21], v[44:45], v[26:27], v[20:21] op_sel:[0,1,0]
	v_pk_fma_f32 v[14:15], v[44:45], v[30:31], v[14:15] op_sel:[0,1,0]
	ds_load_2addr_b32 v[26:27], v24 offset0:192 offset1:208
	v_dual_mov_b32 v30, v29 :: v_dual_mov_b32 v44, v33
	s_wait_dscnt 0x6
	v_pk_fma_f32 v[20:21], v[46:47], v[28:29], v[20:21] op_sel_hi:[1,0,1]
	v_pk_fma_f32 v[14:15], v[46:47], v[32:33], v[14:15] op_sel_hi:[1,0,1]
	ds_load_2addr_b32 v[28:29], v24 offset0:224 offset1:240
	s_wait_dscnt 0x3
	v_mov_b32_e32 v32, v41
	s_wait_dscnt 0x0
	v_pk_fma_f32 v[20:21], v[48:49], v[30:31], v[20:21] op_sel_hi:[1,0,1]
	v_pk_fma_f32 v[14:15], v[48:49], v[44:45], v[14:15] op_sel_hi:[1,0,1]
	v_mov_b32_e32 v30, v37
	s_barrier_signal -1
	s_barrier_wait -1
	v_pk_fma_f32 v[20:21], v[50:51], v[34:35], v[20:21] op_sel_hi:[1,0,1]
	v_pk_fma_f32 v[14:15], v[50:51], v[38:39], v[14:15] op_sel_hi:[1,0,1]
	s_delay_alu instid0(VALU_DEP_2) | instskip(NEXT) | instid1(VALU_DEP_2)
	v_pk_fma_f32 v[20:21], v[42:43], v[34:35], v[20:21] op_sel:[0,1,0]
	v_pk_fma_f32 v[14:15], v[42:43], v[38:39], v[14:15] op_sel:[0,1,0]
	s_delay_alu instid0(VALU_DEP_2) | instskip(NEXT) | instid1(VALU_DEP_2)
	v_pk_fma_f32 v[20:21], v[26:27], v[36:37], v[20:21] op_sel_hi:[1,0,1]
	v_pk_fma_f32 v[14:15], v[26:27], v[40:41], v[14:15] op_sel_hi:[1,0,1]
	s_delay_alu instid0(VALU_DEP_2) | instskip(NEXT) | instid1(VALU_DEP_2)
	v_pk_fma_f32 v[20:21], v[28:29], v[30:31], v[20:21] op_sel_hi:[1,0,1]
	v_pk_fma_f32 v[14:15], v[28:29], v[32:33], v[14:15] op_sel_hi:[1,0,1]
	s_cbranch_scc0 .LBB17_13
.LBB17_9:                               ;   Parent Loop BB17_6 Depth=1
                                        ; =>  This Inner Loop Header: Depth=2
	v_add_nc_u32_e32 v26, s8, v22
	s_delay_alu instid0(VALU_DEP_1) | instskip(SKIP_2) | instid1(SALU_CYCLE_1)
	v_cmp_gt_i32_e32 vcc_lo, s21, v26
	v_mov_b32_e32 v26, 0
	s_and_b32 s12, s0, vcc_lo
	s_and_saveexec_b32 s9, s12
	s_cbranch_execz .LBB17_11
; %bb.10:                               ;   in Loop: Header=BB17_9 Depth=2
	global_load_b32 v26, v[16:17], off
.LBB17_11:                              ;   in Loop: Header=BB17_9 Depth=2
	s_wait_xcnt 0x0
	s_or_b32 exec_lo, exec_lo, s9
	v_add_nc_u32_e32 v27, s8, v0
	s_wait_loadcnt 0x0
	ds_store_b32 v1, v26
	v_cmp_gt_i32_e32 vcc_lo, s21, v27
	v_mov_b32_e32 v27, 0
	s_and_b32 s12, vcc_lo, s1
	s_delay_alu instid0(SALU_CYCLE_1)
	s_and_saveexec_b32 s9, s12
	s_cbranch_execz .LBB17_8
; %bb.12:                               ;   in Loop: Header=BB17_9 Depth=2
	global_load_b32 v27, v[18:19], off
	s_branch .LBB17_8
.LBB17_13:                              ;   in Loop: Header=BB17_6 Depth=1
	s_mul_u64 s[8:9], s[22:23], s[10:11]
	s_delay_alu instid0(SALU_CYCLE_1) | instskip(NEXT) | instid1(SALU_CYCLE_1)
	s_lshl_b64 s[8:9], s[8:9], 2
	s_add_nc_u64 s[8:9], s[16:17], s[8:9]
	s_delay_alu instid0(SALU_CYCLE_1)
	v_lshl_add_u64 v[16:17], v[4:5], 2, s[8:9]
	s_and_saveexec_b32 s12, s20
	s_cbranch_execz .LBB17_17
; %bb.14:                               ;   in Loop: Header=BB17_6 Depth=1
	v_mul_f32_e32 v20, s26, v20
	s_delay_alu instid0(VALU_DEP_2)
	v_lshl_add_u64 v[18:19], v[2:3], 2, v[16:17]
	s_and_b32 vcc_lo, exec_lo, s18
	s_cbranch_vccz .LBB17_28
; %bb.15:                               ;   in Loop: Header=BB17_6 Depth=1
	global_load_b32 v26, v[18:19], off
	s_wait_loadcnt 0x0
	v_fma_f32 v26, s19, v26, v20
	global_store_b32 v[18:19], v26, off
	s_cbranch_execnz .LBB17_17
.LBB17_16:                              ;   in Loop: Header=BB17_6 Depth=1
	global_store_b32 v[18:19], v20, off
.LBB17_17:                              ;   in Loop: Header=BB17_6 Depth=1
	s_wait_xcnt 0x0
	s_or_b32 exec_lo, exec_lo, s12
	s_and_saveexec_b32 s12, s28
	s_cbranch_execz .LBB17_21
; %bb.18:                               ;   in Loop: Header=BB17_6 Depth=1
	v_mul_f32_e32 v18, s26, v21
	v_lshl_add_u64 v[16:17], v[8:9], 2, v[16:17]
	s_and_not1_b32 vcc_lo, exec_lo, s18
	s_cbranch_vccnz .LBB17_29
; %bb.19:                               ;   in Loop: Header=BB17_6 Depth=1
	global_load_b32 v19, v[16:17], off
	s_wait_loadcnt 0x0
	v_fma_f32 v19, s19, v19, v18
	global_store_b32 v[16:17], v19, off
	s_cbranch_execnz .LBB17_21
.LBB17_20:                              ;   in Loop: Header=BB17_6 Depth=1
	global_store_b32 v[16:17], v18, off
.LBB17_21:                              ;   in Loop: Header=BB17_6 Depth=1
	s_wait_xcnt 0x0
	s_or_b32 exec_lo, exec_lo, s12
	v_lshl_add_u64 v[16:17], v[6:7], 2, s[8:9]
	s_and_saveexec_b32 s8, s29
	s_cbranch_execz .LBB17_25
; %bb.22:                               ;   in Loop: Header=BB17_6 Depth=1
	v_mul_f32_e32 v14, s26, v14
	s_delay_alu instid0(VALU_DEP_2)
	v_lshl_add_u64 v[18:19], v[2:3], 2, v[16:17]
	s_and_not1_b32 vcc_lo, exec_lo, s18
	s_cbranch_vccnz .LBB17_30
; %bb.23:                               ;   in Loop: Header=BB17_6 Depth=1
	global_load_b32 v20, v[18:19], off
	s_wait_loadcnt 0x0
	v_fma_f32 v20, s19, v20, v14
	global_store_b32 v[18:19], v20, off
	s_cbranch_execnz .LBB17_25
.LBB17_24:                              ;   in Loop: Header=BB17_6 Depth=1
	global_store_b32 v[18:19], v14, off
.LBB17_25:                              ;   in Loop: Header=BB17_6 Depth=1
	s_wait_xcnt 0x0
	s_or_b32 exec_lo, exec_lo, s8
	s_and_saveexec_b32 s8, s30
	s_cbranch_execz .LBB17_5
; %bb.26:                               ;   in Loop: Header=BB17_6 Depth=1
	v_mul_f32_e32 v18, s26, v15
	v_lshl_add_u64 v[14:15], v[8:9], 2, v[16:17]
	s_and_not1_b32 vcc_lo, exec_lo, s18
	s_cbranch_vccnz .LBB17_31
; %bb.27:                               ;   in Loop: Header=BB17_6 Depth=1
	global_load_b32 v16, v[14:15], off
	s_wait_loadcnt 0x0
	v_fma_f32 v16, s19, v16, v18
	global_store_b32 v[14:15], v16, off
	s_cbranch_execnz .LBB17_5
	s_branch .LBB17_32
.LBB17_28:                              ;   in Loop: Header=BB17_6 Depth=1
	s_branch .LBB17_16
.LBB17_29:                              ;   in Loop: Header=BB17_6 Depth=1
	s_branch .LBB17_20
.LBB17_30:                              ;   in Loop: Header=BB17_6 Depth=1
	s_branch .LBB17_24
.LBB17_31:                              ;   in Loop: Header=BB17_6 Depth=1
.LBB17_32:                              ;   in Loop: Header=BB17_6 Depth=1
	global_store_b32 v[14:15], v18, off
	s_branch .LBB17_5
.LBB17_33:
	s_endpgm
	.section	.rodata,"a",@progbits
	.p2align	6, 0x0
	.amdhsa_kernel _ZL29rocblas_internal_gemmt_kernelIiLi16ELi32ELi8ELc67ELc67ELc76ELb0ELb0EfPKfS1_PfEviT_T9_T10_S3_lS5_S3_lS4_T11_S3_li
		.amdhsa_group_segment_fixed_size 2048
		.amdhsa_private_segment_fixed_size 0
		.amdhsa_kernarg_size 100
		.amdhsa_user_sgpr_count 2
		.amdhsa_user_sgpr_dispatch_ptr 0
		.amdhsa_user_sgpr_queue_ptr 0
		.amdhsa_user_sgpr_kernarg_segment_ptr 1
		.amdhsa_user_sgpr_dispatch_id 0
		.amdhsa_user_sgpr_kernarg_preload_length 0
		.amdhsa_user_sgpr_kernarg_preload_offset 0
		.amdhsa_user_sgpr_private_segment_size 0
		.amdhsa_wavefront_size32 1
		.amdhsa_uses_dynamic_stack 0
		.amdhsa_enable_private_segment 0
		.amdhsa_system_sgpr_workgroup_id_x 1
		.amdhsa_system_sgpr_workgroup_id_y 1
		.amdhsa_system_sgpr_workgroup_id_z 1
		.amdhsa_system_sgpr_workgroup_info 0
		.amdhsa_system_vgpr_workitem_id 1
		.amdhsa_next_free_vgpr 52
		.amdhsa_next_free_sgpr 34
		.amdhsa_named_barrier_count 0
		.amdhsa_reserve_vcc 1
		.amdhsa_float_round_mode_32 0
		.amdhsa_float_round_mode_16_64 0
		.amdhsa_float_denorm_mode_32 3
		.amdhsa_float_denorm_mode_16_64 3
		.amdhsa_fp16_overflow 0
		.amdhsa_memory_ordered 1
		.amdhsa_forward_progress 1
		.amdhsa_inst_pref_size 13
		.amdhsa_round_robin_scheduling 0
		.amdhsa_exception_fp_ieee_invalid_op 0
		.amdhsa_exception_fp_denorm_src 0
		.amdhsa_exception_fp_ieee_div_zero 0
		.amdhsa_exception_fp_ieee_overflow 0
		.amdhsa_exception_fp_ieee_underflow 0
		.amdhsa_exception_fp_ieee_inexact 0
		.amdhsa_exception_int_div_zero 0
	.end_amdhsa_kernel
	.section	.text._ZL29rocblas_internal_gemmt_kernelIiLi16ELi32ELi8ELc67ELc67ELc76ELb0ELb0EfPKfS1_PfEviT_T9_T10_S3_lS5_S3_lS4_T11_S3_li,"axG",@progbits,_ZL29rocblas_internal_gemmt_kernelIiLi16ELi32ELi8ELc67ELc67ELc76ELb0ELb0EfPKfS1_PfEviT_T9_T10_S3_lS5_S3_lS4_T11_S3_li,comdat
.Lfunc_end17:
	.size	_ZL29rocblas_internal_gemmt_kernelIiLi16ELi32ELi8ELc67ELc67ELc76ELb0ELb0EfPKfS1_PfEviT_T9_T10_S3_lS5_S3_lS4_T11_S3_li, .Lfunc_end17-_ZL29rocblas_internal_gemmt_kernelIiLi16ELi32ELi8ELc67ELc67ELc76ELb0ELb0EfPKfS1_PfEviT_T9_T10_S3_lS5_S3_lS4_T11_S3_li
                                        ; -- End function
	.set _ZL29rocblas_internal_gemmt_kernelIiLi16ELi32ELi8ELc67ELc67ELc76ELb0ELb0EfPKfS1_PfEviT_T9_T10_S3_lS5_S3_lS4_T11_S3_li.num_vgpr, 52
	.set _ZL29rocblas_internal_gemmt_kernelIiLi16ELi32ELi8ELc67ELc67ELc76ELb0ELb0EfPKfS1_PfEviT_T9_T10_S3_lS5_S3_lS4_T11_S3_li.num_agpr, 0
	.set _ZL29rocblas_internal_gemmt_kernelIiLi16ELi32ELi8ELc67ELc67ELc76ELb0ELb0EfPKfS1_PfEviT_T9_T10_S3_lS5_S3_lS4_T11_S3_li.numbered_sgpr, 34
	.set _ZL29rocblas_internal_gemmt_kernelIiLi16ELi32ELi8ELc67ELc67ELc76ELb0ELb0EfPKfS1_PfEviT_T9_T10_S3_lS5_S3_lS4_T11_S3_li.num_named_barrier, 0
	.set _ZL29rocblas_internal_gemmt_kernelIiLi16ELi32ELi8ELc67ELc67ELc76ELb0ELb0EfPKfS1_PfEviT_T9_T10_S3_lS5_S3_lS4_T11_S3_li.private_seg_size, 0
	.set _ZL29rocblas_internal_gemmt_kernelIiLi16ELi32ELi8ELc67ELc67ELc76ELb0ELb0EfPKfS1_PfEviT_T9_T10_S3_lS5_S3_lS4_T11_S3_li.uses_vcc, 1
	.set _ZL29rocblas_internal_gemmt_kernelIiLi16ELi32ELi8ELc67ELc67ELc76ELb0ELb0EfPKfS1_PfEviT_T9_T10_S3_lS5_S3_lS4_T11_S3_li.uses_flat_scratch, 0
	.set _ZL29rocblas_internal_gemmt_kernelIiLi16ELi32ELi8ELc67ELc67ELc76ELb0ELb0EfPKfS1_PfEviT_T9_T10_S3_lS5_S3_lS4_T11_S3_li.has_dyn_sized_stack, 0
	.set _ZL29rocblas_internal_gemmt_kernelIiLi16ELi32ELi8ELc67ELc67ELc76ELb0ELb0EfPKfS1_PfEviT_T9_T10_S3_lS5_S3_lS4_T11_S3_li.has_recursion, 0
	.set _ZL29rocblas_internal_gemmt_kernelIiLi16ELi32ELi8ELc67ELc67ELc76ELb0ELb0EfPKfS1_PfEviT_T9_T10_S3_lS5_S3_lS4_T11_S3_li.has_indirect_call, 0
	.section	.AMDGPU.csdata,"",@progbits
; Kernel info:
; codeLenInByte = 1652
; TotalNumSgprs: 36
; NumVgprs: 52
; ScratchSize: 0
; MemoryBound: 0
; FloatMode: 240
; IeeeMode: 1
; LDSByteSize: 2048 bytes/workgroup (compile time only)
; SGPRBlocks: 0
; VGPRBlocks: 3
; NumSGPRsForWavesPerEU: 36
; NumVGPRsForWavesPerEU: 52
; NamedBarCnt: 0
; Occupancy: 16
; WaveLimiterHint : 0
; COMPUTE_PGM_RSRC2:SCRATCH_EN: 0
; COMPUTE_PGM_RSRC2:USER_SGPR: 2
; COMPUTE_PGM_RSRC2:TRAP_HANDLER: 0
; COMPUTE_PGM_RSRC2:TGID_X_EN: 1
; COMPUTE_PGM_RSRC2:TGID_Y_EN: 1
; COMPUTE_PGM_RSRC2:TGID_Z_EN: 1
; COMPUTE_PGM_RSRC2:TIDIG_COMP_CNT: 1
	.section	.text._ZL29rocblas_internal_gemmt_kernelIiLi16ELi32ELi8ELc78ELc78ELc85ELb0ELb0EffPKfPfEviT_T9_T10_S3_lS5_S3_lS4_T11_S3_li,"axG",@progbits,_ZL29rocblas_internal_gemmt_kernelIiLi16ELi32ELi8ELc78ELc78ELc85ELb0ELb0EffPKfPfEviT_T9_T10_S3_lS5_S3_lS4_T11_S3_li,comdat
	.globl	_ZL29rocblas_internal_gemmt_kernelIiLi16ELi32ELi8ELc78ELc78ELc85ELb0ELb0EffPKfPfEviT_T9_T10_S3_lS5_S3_lS4_T11_S3_li ; -- Begin function _ZL29rocblas_internal_gemmt_kernelIiLi16ELi32ELi8ELc78ELc78ELc85ELb0ELb0EffPKfPfEviT_T9_T10_S3_lS5_S3_lS4_T11_S3_li
	.p2align	8
	.type	_ZL29rocblas_internal_gemmt_kernelIiLi16ELi32ELi8ELc78ELc78ELc85ELb0ELb0EffPKfPfEviT_T9_T10_S3_lS5_S3_lS4_T11_S3_li,@function
_ZL29rocblas_internal_gemmt_kernelIiLi16ELi32ELi8ELc78ELc78ELc85ELb0ELb0EffPKfPfEviT_T9_T10_S3_lS5_S3_lS4_T11_S3_li: ; @_ZL29rocblas_internal_gemmt_kernelIiLi16ELi32ELi8ELc78ELc78ELc85ELb0ELb0EffPKfPfEviT_T9_T10_S3_lS5_S3_lS4_T11_S3_li
; %bb.0:
	s_clause 0x1
	s_load_b32 s11, s[0:1], 0x40
	s_load_b96 s[8:10], s[0:1], 0x0
	s_wait_kmcnt 0x0
	s_cmp_neq_f32 s11, 1.0
	s_cselect_b32 s2, -1, 0
	s_delay_alu instid0(SALU_CYCLE_1)
	s_and_b32 vcc_lo, exec_lo, s2
	s_cbranch_vccnz .LBB18_2
; %bb.1:
	s_cmp_lg_u32 s9, 0
	s_cselect_b32 s2, -1, 0
	s_cmp_neq_f32 s10, 0
	s_cselect_b32 s3, -1, 0
	s_delay_alu instid0(SALU_CYCLE_1)
	s_and_b32 s2, s2, s3
.LBB18_2:
	s_delay_alu instid0(SALU_CYCLE_1)
	s_and_not1_b32 vcc_lo, exec_lo, s2
	s_cbranch_vccnz .LBB18_33
; %bb.3:
	s_load_b32 s26, s[0:1], 0x60
	s_bfe_u32 s2, ttmp6, 0x40014
	s_lshr_b32 s3, ttmp7, 16
	s_add_co_i32 s2, s2, 1
	s_bfe_u32 s4, ttmp6, 0x40008
	s_mul_i32 s2, s3, s2
	s_getreg_b32 s15, hwreg(HW_REG_IB_STS2, 6, 4)
	s_add_co_i32 s4, s4, s2
	s_cmp_eq_u32 s15, 0
	s_mov_b32 s21, 0
	s_cselect_b32 s20, s3, s4
	s_wait_kmcnt 0x0
	s_cmp_ge_u32 s20, s26
	s_cbranch_scc1 .LBB18_33
; %bb.4:
	s_clause 0x2
	s_load_b96 s[16:18], s[0:1], 0x10
	s_load_b32 s2, s[0:1], 0x30
	s_load_b96 s[12:14], s[0:1], 0x48
	v_and_b32_e32 v8, 0x3ff, v0
	v_bfe_u32 v9, v0, 10, 10
	s_clause 0x2
	s_load_b128 s[4:7], s[0:1], 0x20
	s_load_b64 s[24:25], s[0:1], 0x38
	s_load_b64 s[22:23], s[0:1], 0x58
	s_wait_xcnt 0x0
	s_bfe_u32 s1, ttmp6, 0x4000c
	s_bfe_u32 s28, ttmp6, 0x40010
	s_and_b32 s27, ttmp7, 0xffff
	s_add_co_i32 s1, s1, 1
	s_add_co_i32 s28, s28, 1
	v_lshl_add_u32 v1, v9, 4, v8
	s_and_b32 s0, ttmp6, 15
	s_mul_i32 s1, ttmp9, s1
	s_mul_i32 s28, s27, s28
	s_bfe_u32 s30, ttmp6, 0x40004
	s_add_co_i32 s0, s0, s1
	s_add_co_i32 s30, s30, s28
	v_dual_lshrrev_b32 v4, 3, v1 :: v_dual_bitop2_b32 v5, 31, v1 bitop3:0x40
	s_wait_kmcnt 0x0
	s_ashr_i32 s19, s18, 31
	s_ashr_i32 s3, s2, 31
	;; [unrolled: 1-line block ×3, first 2 shown]
	s_cmp_eq_u32 s15, 0
	v_dual_lshrrev_b32 v0, 5, v1 :: v_dual_bitop2_b32 v22, 7, v0 bitop3:0x40
	s_cselect_b32 s0, ttmp9, s0
	s_cselect_b32 s1, s27, s30
	s_lshl_b32 s15, s0, 5
	s_lshl_b32 s0, s1, 5
	s_delay_alu instid0(SALU_CYCLE_1) | instskip(SKIP_2) | instid1(VALU_DEP_3)
	v_dual_add_nc_u32 v2, s0, v4 :: v_dual_bitop2_b32 v10, s15, v5 bitop3:0x54
	v_dual_mov_b32 v1, 0 :: v_dual_add_nc_u32 v12, s0, v9
	v_dual_lshlrev_b32 v20, 2, v22 :: v_dual_lshlrev_b32 v5, 2, v5
	v_ashrrev_i32_e32 v3, 31, v2
	s_delay_alu instid0(VALU_DEP_3) | instskip(NEXT) | instid1(VALU_DEP_4)
	v_mul_u64_e32 v[14:15], s[18:19], v[0:1]
	v_dual_add_nc_u32 v18, 16, v12 :: v_dual_ashrrev_i32 v13, 31, v12
	s_mov_b32 s28, s14
	s_delay_alu instid0(VALU_DEP_3) | instskip(SKIP_1) | instid1(VALU_DEP_3)
	v_mul_u64_e32 v[16:17], s[2:3], v[2:3]
	v_lshl_or_b32 v23, v0, 7, v5
	v_ashrrev_i32_e32 v19, 31, v18
	v_lshl_or_b32 v3, v4, 5, v20
	v_mul_u64_e32 v[4:5], s[28:29], v[12:13]
	v_cmp_gt_i32_e64 s1, s8, v2
	v_dual_add_nc_u32 v2, s15, v8 :: v_dual_lshlrev_b32 v25, 2, v8
	v_mul_u64_e32 v[6:7], s[28:29], v[18:19]
	v_dual_mov_b32 v21, v1 :: v_dual_add_nc_u32 v24, 0x400, v3
	s_delay_alu instid0(VALU_DEP_3) | instskip(SKIP_3) | instid1(VALU_DEP_4)
	v_dual_add_nc_u32 v8, 16, v2 :: v_dual_ashrrev_i32 v3, 31, v2
	v_ashrrev_i32_e32 v11, 31, v10
	v_cmp_gt_i32_e64 s0, s8, v10
	v_lshl_add_u32 v26, v9, 5, 0x400
	v_ashrrev_i32_e32 v9, 31, v8
	s_cmp_neq_f32 s10, 0
	v_lshlrev_b64_e32 v[10:11], 2, v[10:11]
	v_cmp_gt_i32_e32 vcc_lo, s8, v12
	v_cmp_le_i32_e64 s2, v2, v12
	s_cselect_b32 s14, -1, 0
	s_cmp_gt_i32 s9, 0
	v_cmp_le_i32_e64 s3, v8, v12
	s_cselect_b32 s31, -1, 0
	s_cmp_neq_f32 s11, 0
	v_lshl_add_u64 v[10:11], v[14:15], 2, v[10:11]
	s_cselect_b32 s27, -1, 0
	s_and_b32 s28, vcc_lo, s2
	s_and_b32 s29, vcc_lo, s3
	v_lshl_add_u64 v[12:13], v[16:17], 2, v[20:21]
	v_cmp_gt_i32_e32 vcc_lo, s8, v18
	v_cmp_le_i32_e64 s2, v2, v18
	v_cmp_le_i32_e64 s3, v8, v18
	v_add_nc_u64_e32 v[10:11], s[16:17], v[10:11]
	v_add_nc_u64_e32 v[12:13], s[6:7], v[12:13]
	s_and_b32 s16, s14, s31
	s_and_b32 s8, vcc_lo, s2
	s_and_b32 s30, vcc_lo, s3
	s_lshl_b64 s[2:3], s[4:5], 2
	s_lshl_b64 s[4:5], s[18:19], 5
	s_lshl_b64 s[6:7], s[24:25], 2
	s_branch .LBB18_6
.LBB18_5:                               ;   in Loop: Header=BB18_6 Depth=1
	s_wait_xcnt 0x0
	s_or_b32 exec_lo, exec_lo, s14
	s_add_co_i32 s20, s20, 0x10000
	s_delay_alu instid0(SALU_CYCLE_1)
	s_cmp_lt_u32 s20, s26
	s_cbranch_scc0 .LBB18_33
.LBB18_6:                               ; =>This Loop Header: Depth=1
                                        ;     Child Loop BB18_9 Depth 2
	v_dual_mov_b32 v21, 0 :: v_dual_mov_b32 v20, 0
	v_dual_mov_b32 v15, 0 :: v_dual_mov_b32 v14, 0
	s_and_not1_b32 vcc_lo, exec_lo, s16
	s_cbranch_vccnz .LBB18_13
; %bb.7:                                ;   in Loop: Header=BB18_6 Depth=1
	v_mad_nc_u64_u32 v[16:17], s2, s20, v[10:11]
	v_mad_nc_u64_u32 v[18:19], s6, s20, v[12:13]
	v_mov_b32_e32 v14, 0
	s_mov_b32 s14, 0
	s_delay_alu instid0(VALU_DEP_1)
	v_dual_mov_b32 v15, v14 :: v_dual_mov_b32 v20, v14
	v_mov_b32_e32 v21, v14
	v_mad_u32 v17, s3, s20, v17
	v_mad_u32 v19, s7, s20, v19
	s_branch .LBB18_9
.LBB18_8:                               ;   in Loop: Header=BB18_9 Depth=2
	s_wait_xcnt 0x0
	s_or_b32 exec_lo, exec_lo, s15
	s_wait_loadcnt 0x0
	ds_store_b32 v24, v27
	s_wait_dscnt 0x0
	s_barrier_signal -1
	s_barrier_wait -1
	ds_load_b128 v[28:31], v26
	ds_load_2addr_b32 v[44:45], v25 offset1:16
	ds_load_b128 v[32:35], v26 offset:512
	ds_load_2addr_b32 v[46:47], v25 offset0:32 offset1:48
	ds_load_2addr_b32 v[48:49], v25 offset0:64 offset1:80
	;; [unrolled: 1-line block ×3, first 2 shown]
	ds_load_b128 v[36:39], v26 offset:16
	ds_load_2addr_b32 v[52:53], v25 offset0:128 offset1:144
	ds_load_b128 v[40:43], v26 offset:528
	v_add_nc_u64_e32 v[16:17], s[4:5], v[16:17]
	v_add_nc_u64_e32 v[18:19], 32, v[18:19]
	s_add_co_i32 s14, s14, 8
	s_delay_alu instid0(SALU_CYCLE_1)
	s_cmp_lt_i32 s14, s9
	s_wait_dscnt 0x7
	v_pk_fma_f32 v[20:21], v[44:45], v[28:29], v[20:21] op_sel_hi:[1,0,1]
	s_wait_dscnt 0x6
	v_pk_fma_f32 v[14:15], v[44:45], v[32:33], v[14:15] op_sel_hi:[1,0,1]
	ds_load_2addr_b32 v[44:45], v25 offset0:160 offset1:176
	s_wait_dscnt 0x6
	v_pk_fma_f32 v[20:21], v[46:47], v[28:29], v[20:21] op_sel:[0,1,0]
	v_pk_fma_f32 v[14:15], v[46:47], v[32:33], v[14:15] op_sel:[0,1,0]
	ds_load_2addr_b32 v[28:29], v25 offset0:192 offset1:208
	v_dual_mov_b32 v32, v31 :: v_dual_mov_b32 v46, v35
	s_wait_dscnt 0x6
	v_pk_fma_f32 v[20:21], v[48:49], v[30:31], v[20:21] op_sel_hi:[1,0,1]
	v_pk_fma_f32 v[14:15], v[48:49], v[34:35], v[14:15] op_sel_hi:[1,0,1]
	ds_load_2addr_b32 v[30:31], v25 offset0:224 offset1:240
	s_wait_dscnt 0x3
	v_mov_b32_e32 v34, v43
	s_wait_dscnt 0x0
	v_pk_fma_f32 v[20:21], v[50:51], v[32:33], v[20:21] op_sel_hi:[1,0,1]
	v_pk_fma_f32 v[14:15], v[50:51], v[46:47], v[14:15] op_sel_hi:[1,0,1]
	v_mov_b32_e32 v32, v39
	s_barrier_signal -1
	s_barrier_wait -1
	v_pk_fma_f32 v[20:21], v[52:53], v[36:37], v[20:21] op_sel_hi:[1,0,1]
	v_pk_fma_f32 v[14:15], v[52:53], v[40:41], v[14:15] op_sel_hi:[1,0,1]
	s_delay_alu instid0(VALU_DEP_2) | instskip(NEXT) | instid1(VALU_DEP_2)
	v_pk_fma_f32 v[20:21], v[44:45], v[36:37], v[20:21] op_sel:[0,1,0]
	v_pk_fma_f32 v[14:15], v[44:45], v[40:41], v[14:15] op_sel:[0,1,0]
	s_delay_alu instid0(VALU_DEP_2) | instskip(NEXT) | instid1(VALU_DEP_2)
	v_pk_fma_f32 v[20:21], v[28:29], v[38:39], v[20:21] op_sel_hi:[1,0,1]
	v_pk_fma_f32 v[14:15], v[28:29], v[42:43], v[14:15] op_sel_hi:[1,0,1]
	s_delay_alu instid0(VALU_DEP_2) | instskip(NEXT) | instid1(VALU_DEP_2)
	v_pk_fma_f32 v[20:21], v[30:31], v[32:33], v[20:21] op_sel_hi:[1,0,1]
	v_pk_fma_f32 v[14:15], v[30:31], v[34:35], v[14:15] op_sel_hi:[1,0,1]
	s_cbranch_scc0 .LBB18_13
.LBB18_9:                               ;   Parent Loop BB18_6 Depth=1
                                        ; =>  This Inner Loop Header: Depth=2
	v_add_nc_u32_e32 v1, s14, v0
	s_delay_alu instid0(VALU_DEP_1) | instskip(SKIP_2) | instid1(SALU_CYCLE_1)
	v_cmp_gt_i32_e32 vcc_lo, s9, v1
	v_mov_b32_e32 v1, 0
	s_and_b32 s17, s0, vcc_lo
	s_and_saveexec_b32 s15, s17
	s_cbranch_execz .LBB18_11
; %bb.10:                               ;   in Loop: Header=BB18_9 Depth=2
	global_load_b32 v1, v[16:17], off
.LBB18_11:                              ;   in Loop: Header=BB18_9 Depth=2
	s_wait_xcnt 0x0
	s_or_b32 exec_lo, exec_lo, s15
	v_add_nc_u32_e32 v27, s14, v22
	s_wait_loadcnt 0x0
	ds_store_b32 v23, v1
	v_cmp_gt_i32_e32 vcc_lo, s9, v27
	v_mov_b32_e32 v27, 0
	s_and_b32 s17, vcc_lo, s1
	s_delay_alu instid0(SALU_CYCLE_1)
	s_and_saveexec_b32 s15, s17
	s_cbranch_execz .LBB18_8
; %bb.12:                               ;   in Loop: Header=BB18_9 Depth=2
	global_load_b32 v27, v[18:19], off
	s_branch .LBB18_8
.LBB18_13:                              ;   in Loop: Header=BB18_6 Depth=1
	s_mul_u64 s[14:15], s[22:23], s[20:21]
	s_delay_alu instid0(SALU_CYCLE_1) | instskip(NEXT) | instid1(SALU_CYCLE_1)
	s_lshl_b64 s[14:15], s[14:15], 2
	s_add_nc_u64 s[14:15], s[12:13], s[14:15]
	s_delay_alu instid0(SALU_CYCLE_1)
	v_lshl_add_u64 v[16:17], v[4:5], 2, s[14:15]
	s_and_saveexec_b32 s17, s28
	s_cbranch_execz .LBB18_17
; %bb.14:                               ;   in Loop: Header=BB18_6 Depth=1
	v_mul_f32_e32 v1, s10, v20
	s_delay_alu instid0(VALU_DEP_2)
	v_lshl_add_u64 v[18:19], v[2:3], 2, v[16:17]
	s_and_b32 vcc_lo, exec_lo, s27
	s_cbranch_vccz .LBB18_28
; %bb.15:                               ;   in Loop: Header=BB18_6 Depth=1
	global_load_b32 v20, v[18:19], off
	s_wait_loadcnt 0x0
	v_fma_f32 v20, s11, v20, v1
	global_store_b32 v[18:19], v20, off
	s_cbranch_execnz .LBB18_17
.LBB18_16:                              ;   in Loop: Header=BB18_6 Depth=1
	global_store_b32 v[18:19], v1, off
.LBB18_17:                              ;   in Loop: Header=BB18_6 Depth=1
	s_wait_xcnt 0x0
	s_or_b32 exec_lo, exec_lo, s17
	s_and_saveexec_b32 s17, s29
	s_cbranch_execz .LBB18_21
; %bb.18:                               ;   in Loop: Header=BB18_6 Depth=1
	v_mul_f32_e32 v1, s10, v21
	v_lshl_add_u64 v[16:17], v[8:9], 2, v[16:17]
	s_and_not1_b32 vcc_lo, exec_lo, s27
	s_cbranch_vccnz .LBB18_29
; %bb.19:                               ;   in Loop: Header=BB18_6 Depth=1
	global_load_b32 v18, v[16:17], off
	s_wait_loadcnt 0x0
	v_fma_f32 v18, s11, v18, v1
	global_store_b32 v[16:17], v18, off
	s_cbranch_execnz .LBB18_21
.LBB18_20:                              ;   in Loop: Header=BB18_6 Depth=1
	global_store_b32 v[16:17], v1, off
.LBB18_21:                              ;   in Loop: Header=BB18_6 Depth=1
	s_wait_xcnt 0x0
	s_or_b32 exec_lo, exec_lo, s17
	v_lshl_add_u64 v[16:17], v[6:7], 2, s[14:15]
	s_and_saveexec_b32 s14, s8
	s_cbranch_execz .LBB18_25
; %bb.22:                               ;   in Loop: Header=BB18_6 Depth=1
	v_mul_f32_e32 v1, s10, v14
	s_delay_alu instid0(VALU_DEP_2)
	v_lshl_add_u64 v[18:19], v[2:3], 2, v[16:17]
	s_and_not1_b32 vcc_lo, exec_lo, s27
	s_cbranch_vccnz .LBB18_30
; %bb.23:                               ;   in Loop: Header=BB18_6 Depth=1
	global_load_b32 v14, v[18:19], off
	s_wait_loadcnt 0x0
	v_fma_f32 v14, s11, v14, v1
	global_store_b32 v[18:19], v14, off
	s_cbranch_execnz .LBB18_25
.LBB18_24:                              ;   in Loop: Header=BB18_6 Depth=1
	global_store_b32 v[18:19], v1, off
.LBB18_25:                              ;   in Loop: Header=BB18_6 Depth=1
	s_wait_xcnt 0x0
	s_or_b32 exec_lo, exec_lo, s14
	s_and_saveexec_b32 s14, s30
	s_cbranch_execz .LBB18_5
; %bb.26:                               ;   in Loop: Header=BB18_6 Depth=1
	v_mul_f32_e32 v1, s10, v15
	v_lshl_add_u64 v[14:15], v[8:9], 2, v[16:17]
	s_and_not1_b32 vcc_lo, exec_lo, s27
	s_cbranch_vccnz .LBB18_31
; %bb.27:                               ;   in Loop: Header=BB18_6 Depth=1
	global_load_b32 v16, v[14:15], off
	s_wait_loadcnt 0x0
	v_fma_f32 v16, s11, v16, v1
	global_store_b32 v[14:15], v16, off
	s_cbranch_execnz .LBB18_5
	s_branch .LBB18_32
.LBB18_28:                              ;   in Loop: Header=BB18_6 Depth=1
	s_branch .LBB18_16
.LBB18_29:                              ;   in Loop: Header=BB18_6 Depth=1
	s_branch .LBB18_20
.LBB18_30:                              ;   in Loop: Header=BB18_6 Depth=1
	s_branch .LBB18_24
.LBB18_31:                              ;   in Loop: Header=BB18_6 Depth=1
.LBB18_32:                              ;   in Loop: Header=BB18_6 Depth=1
	global_store_b32 v[14:15], v1, off
	s_branch .LBB18_5
.LBB18_33:
	s_endpgm
	.section	.rodata,"a",@progbits
	.p2align	6, 0x0
	.amdhsa_kernel _ZL29rocblas_internal_gemmt_kernelIiLi16ELi32ELi8ELc78ELc78ELc85ELb0ELb0EffPKfPfEviT_T9_T10_S3_lS5_S3_lS4_T11_S3_li
		.amdhsa_group_segment_fixed_size 2048
		.amdhsa_private_segment_fixed_size 0
		.amdhsa_kernarg_size 100
		.amdhsa_user_sgpr_count 2
		.amdhsa_user_sgpr_dispatch_ptr 0
		.amdhsa_user_sgpr_queue_ptr 0
		.amdhsa_user_sgpr_kernarg_segment_ptr 1
		.amdhsa_user_sgpr_dispatch_id 0
		.amdhsa_user_sgpr_kernarg_preload_length 0
		.amdhsa_user_sgpr_kernarg_preload_offset 0
		.amdhsa_user_sgpr_private_segment_size 0
		.amdhsa_wavefront_size32 1
		.amdhsa_uses_dynamic_stack 0
		.amdhsa_enable_private_segment 0
		.amdhsa_system_sgpr_workgroup_id_x 1
		.amdhsa_system_sgpr_workgroup_id_y 1
		.amdhsa_system_sgpr_workgroup_id_z 1
		.amdhsa_system_sgpr_workgroup_info 0
		.amdhsa_system_vgpr_workitem_id 1
		.amdhsa_next_free_vgpr 54
		.amdhsa_next_free_sgpr 32
		.amdhsa_named_barrier_count 0
		.amdhsa_reserve_vcc 1
		.amdhsa_float_round_mode_32 0
		.amdhsa_float_round_mode_16_64 0
		.amdhsa_float_denorm_mode_32 3
		.amdhsa_float_denorm_mode_16_64 3
		.amdhsa_fp16_overflow 0
		.amdhsa_memory_ordered 1
		.amdhsa_forward_progress 1
		.amdhsa_inst_pref_size 13
		.amdhsa_round_robin_scheduling 0
		.amdhsa_exception_fp_ieee_invalid_op 0
		.amdhsa_exception_fp_denorm_src 0
		.amdhsa_exception_fp_ieee_div_zero 0
		.amdhsa_exception_fp_ieee_overflow 0
		.amdhsa_exception_fp_ieee_underflow 0
		.amdhsa_exception_fp_ieee_inexact 0
		.amdhsa_exception_int_div_zero 0
	.end_amdhsa_kernel
	.section	.text._ZL29rocblas_internal_gemmt_kernelIiLi16ELi32ELi8ELc78ELc78ELc85ELb0ELb0EffPKfPfEviT_T9_T10_S3_lS5_S3_lS4_T11_S3_li,"axG",@progbits,_ZL29rocblas_internal_gemmt_kernelIiLi16ELi32ELi8ELc78ELc78ELc85ELb0ELb0EffPKfPfEviT_T9_T10_S3_lS5_S3_lS4_T11_S3_li,comdat
.Lfunc_end18:
	.size	_ZL29rocblas_internal_gemmt_kernelIiLi16ELi32ELi8ELc78ELc78ELc85ELb0ELb0EffPKfPfEviT_T9_T10_S3_lS5_S3_lS4_T11_S3_li, .Lfunc_end18-_ZL29rocblas_internal_gemmt_kernelIiLi16ELi32ELi8ELc78ELc78ELc85ELb0ELb0EffPKfPfEviT_T9_T10_S3_lS5_S3_lS4_T11_S3_li
                                        ; -- End function
	.set _ZL29rocblas_internal_gemmt_kernelIiLi16ELi32ELi8ELc78ELc78ELc85ELb0ELb0EffPKfPfEviT_T9_T10_S3_lS5_S3_lS4_T11_S3_li.num_vgpr, 54
	.set _ZL29rocblas_internal_gemmt_kernelIiLi16ELi32ELi8ELc78ELc78ELc85ELb0ELb0EffPKfPfEviT_T9_T10_S3_lS5_S3_lS4_T11_S3_li.num_agpr, 0
	.set _ZL29rocblas_internal_gemmt_kernelIiLi16ELi32ELi8ELc78ELc78ELc85ELb0ELb0EffPKfPfEviT_T9_T10_S3_lS5_S3_lS4_T11_S3_li.numbered_sgpr, 32
	.set _ZL29rocblas_internal_gemmt_kernelIiLi16ELi32ELi8ELc78ELc78ELc85ELb0ELb0EffPKfPfEviT_T9_T10_S3_lS5_S3_lS4_T11_S3_li.num_named_barrier, 0
	.set _ZL29rocblas_internal_gemmt_kernelIiLi16ELi32ELi8ELc78ELc78ELc85ELb0ELb0EffPKfPfEviT_T9_T10_S3_lS5_S3_lS4_T11_S3_li.private_seg_size, 0
	.set _ZL29rocblas_internal_gemmt_kernelIiLi16ELi32ELi8ELc78ELc78ELc85ELb0ELb0EffPKfPfEviT_T9_T10_S3_lS5_S3_lS4_T11_S3_li.uses_vcc, 1
	.set _ZL29rocblas_internal_gemmt_kernelIiLi16ELi32ELi8ELc78ELc78ELc85ELb0ELb0EffPKfPfEviT_T9_T10_S3_lS5_S3_lS4_T11_S3_li.uses_flat_scratch, 0
	.set _ZL29rocblas_internal_gemmt_kernelIiLi16ELi32ELi8ELc78ELc78ELc85ELb0ELb0EffPKfPfEviT_T9_T10_S3_lS5_S3_lS4_T11_S3_li.has_dyn_sized_stack, 0
	.set _ZL29rocblas_internal_gemmt_kernelIiLi16ELi32ELi8ELc78ELc78ELc85ELb0ELb0EffPKfPfEviT_T9_T10_S3_lS5_S3_lS4_T11_S3_li.has_recursion, 0
	.set _ZL29rocblas_internal_gemmt_kernelIiLi16ELi32ELi8ELc78ELc78ELc85ELb0ELb0EffPKfPfEviT_T9_T10_S3_lS5_S3_lS4_T11_S3_li.has_indirect_call, 0
	.section	.AMDGPU.csdata,"",@progbits
; Kernel info:
; codeLenInByte = 1628
; TotalNumSgprs: 34
; NumVgprs: 54
; ScratchSize: 0
; MemoryBound: 0
; FloatMode: 240
; IeeeMode: 1
; LDSByteSize: 2048 bytes/workgroup (compile time only)
; SGPRBlocks: 0
; VGPRBlocks: 3
; NumSGPRsForWavesPerEU: 34
; NumVGPRsForWavesPerEU: 54
; NamedBarCnt: 0
; Occupancy: 16
; WaveLimiterHint : 0
; COMPUTE_PGM_RSRC2:SCRATCH_EN: 0
; COMPUTE_PGM_RSRC2:USER_SGPR: 2
; COMPUTE_PGM_RSRC2:TRAP_HANDLER: 0
; COMPUTE_PGM_RSRC2:TGID_X_EN: 1
; COMPUTE_PGM_RSRC2:TGID_Y_EN: 1
; COMPUTE_PGM_RSRC2:TGID_Z_EN: 1
; COMPUTE_PGM_RSRC2:TIDIG_COMP_CNT: 1
	.section	.text._ZL29rocblas_internal_gemmt_kernelIiLi16ELi32ELi8ELc78ELc84ELc85ELb0ELb0EffPKfPfEviT_T9_T10_S3_lS5_S3_lS4_T11_S3_li,"axG",@progbits,_ZL29rocblas_internal_gemmt_kernelIiLi16ELi32ELi8ELc78ELc84ELc85ELb0ELb0EffPKfPfEviT_T9_T10_S3_lS5_S3_lS4_T11_S3_li,comdat
	.globl	_ZL29rocblas_internal_gemmt_kernelIiLi16ELi32ELi8ELc78ELc84ELc85ELb0ELb0EffPKfPfEviT_T9_T10_S3_lS5_S3_lS4_T11_S3_li ; -- Begin function _ZL29rocblas_internal_gemmt_kernelIiLi16ELi32ELi8ELc78ELc84ELc85ELb0ELb0EffPKfPfEviT_T9_T10_S3_lS5_S3_lS4_T11_S3_li
	.p2align	8
	.type	_ZL29rocblas_internal_gemmt_kernelIiLi16ELi32ELi8ELc78ELc84ELc85ELb0ELb0EffPKfPfEviT_T9_T10_S3_lS5_S3_lS4_T11_S3_li,@function
_ZL29rocblas_internal_gemmt_kernelIiLi16ELi32ELi8ELc78ELc84ELc85ELb0ELb0EffPKfPfEviT_T9_T10_S3_lS5_S3_lS4_T11_S3_li: ; @_ZL29rocblas_internal_gemmt_kernelIiLi16ELi32ELi8ELc78ELc84ELc85ELb0ELb0EffPKfPfEviT_T9_T10_S3_lS5_S3_lS4_T11_S3_li
; %bb.0:
	s_clause 0x1
	s_load_b32 s11, s[0:1], 0x40
	s_load_b96 s[8:10], s[0:1], 0x0
	s_wait_kmcnt 0x0
	s_cmp_neq_f32 s11, 1.0
	s_cselect_b32 s2, -1, 0
	s_delay_alu instid0(SALU_CYCLE_1)
	s_and_b32 vcc_lo, exec_lo, s2
	s_cbranch_vccnz .LBB19_2
; %bb.1:
	s_cmp_lg_u32 s9, 0
	s_cselect_b32 s2, -1, 0
	s_cmp_neq_f32 s10, 0
	s_cselect_b32 s3, -1, 0
	s_delay_alu instid0(SALU_CYCLE_1)
	s_and_b32 s2, s2, s3
.LBB19_2:
	s_delay_alu instid0(SALU_CYCLE_1)
	s_and_not1_b32 vcc_lo, exec_lo, s2
	s_cbranch_vccnz .LBB19_33
; %bb.3:
	s_load_b32 s28, s[0:1], 0x60
	s_bfe_u32 s2, ttmp6, 0x40014
	s_lshr_b32 s3, ttmp7, 16
	s_add_co_i32 s2, s2, 1
	s_bfe_u32 s5, ttmp6, 0x40008
	s_mul_i32 s4, s3, s2
	s_getreg_b32 s2, hwreg(HW_REG_IB_STS2, 6, 4)
	s_add_co_i32 s5, s5, s4
	s_cmp_eq_u32 s2, 0
	s_mov_b32 s21, 0
	s_cselect_b32 s20, s3, s5
	s_wait_kmcnt 0x0
	s_cmp_ge_u32 s20, s28
	s_cbranch_scc1 .LBB19_33
; %bb.4:
	s_clause 0x2
	s_load_b96 s[16:18], s[0:1], 0x10
	s_load_b32 s24, s[0:1], 0x30
	s_load_b96 s[12:14], s[0:1], 0x48
	v_and_b32_e32 v5, 0x3ff, v0
	v_bfe_u32 v11, v0, 10, 10
	s_clause 0x2
	s_load_b128 s[4:7], s[0:1], 0x20
	s_load_b64 s[26:27], s[0:1], 0x38
	s_load_b64 s[22:23], s[0:1], 0x58
	s_wait_xcnt 0x0
	s_bfe_u32 s1, ttmp6, 0x4000c
	s_bfe_u32 s29, ttmp6, 0x40010
	s_and_b32 s3, ttmp7, 0xffff
	s_add_co_i32 s1, s1, 1
	s_add_co_i32 s29, s29, 1
	v_lshl_add_u32 v1, v11, 4, v5
	s_and_b32 s0, ttmp6, 15
	s_mul_i32 s1, ttmp9, s1
	s_mul_i32 s29, s3, s29
	s_bfe_u32 s30, ttmp6, 0x40004
	s_add_co_i32 s0, s0, s1
	s_add_co_i32 s30, s30, s29
	v_dual_lshrrev_b32 v6, 3, v1 :: v_dual_bitop2_b32 v4, 31, v1 bitop3:0x40
	s_wait_kmcnt 0x0
	s_ashr_i32 s19, s18, 31
	s_ashr_i32 s25, s24, 31
	s_ashr_i32 s15, s14, 31
	s_cmp_eq_u32 s2, 0
	v_dual_lshrrev_b32 v2, 5, v1 :: v_dual_bitop2_b32 v0, 7, v0 bitop3:0x40
	s_cselect_b32 s0, ttmp9, s0
	s_cselect_b32 s1, s3, s30
	s_lshl_b32 s2, s0, 5
	s_delay_alu instid0(SALU_CYCLE_1) | instskip(SKIP_1) | instid1(SALU_CYCLE_1)
	v_dual_mov_b32 v3, 0 :: v_dual_bitop2_b32 v12, s2, v4 bitop3:0x54
	s_lshl_b32 s0, s1, 5
	v_dual_lshlrev_b32 v7, 2, v0 :: v_dual_add_nc_u32 v16, s0, v11
	s_delay_alu instid0(VALU_DEP_2) | instskip(SKIP_2) | instid1(VALU_DEP_4)
	v_dual_mov_b32 v1, v3 :: v_dual_add_nc_u32 v14, s0, v6
	v_mul_u64_e32 v[18:19], s[18:19], v[2:3]
	v_cmp_gt_i32_e64 s0, s8, v12
	v_dual_add_nc_u32 v22, 16, v16 :: v_dual_ashrrev_i32 v17, 31, v16
	s_delay_alu instid0(VALU_DEP_4) | instskip(SKIP_2) | instid1(VALU_DEP_4)
	v_mul_u64_e32 v[20:21], s[24:25], v[0:1]
	v_lshlrev_b32_e32 v3, 2, v4
	v_lshl_or_b32 v4, v6, 5, v7
	v_ashrrev_i32_e32 v23, 31, v22
	v_mul_u64_e32 v[6:7], s[14:15], v[16:17]
	v_ashrrev_i32_e32 v15, 31, v14
	v_lshl_or_b32 v1, v2, 7, v3
	v_add_nc_u32_e32 v3, 0x400, v4
	v_mul_u64_e32 v[8:9], s[14:15], v[22:23]
	v_dual_add_nc_u32 v4, s2, v5 :: v_dual_lshlrev_b32 v24, 2, v5
	v_cmp_gt_i32_e64 s1, s8, v14
	v_lshl_add_u32 v25, v11, 5, 0x400
	v_lshlrev_b64_e32 v[14:15], 2, v[14:15]
	s_delay_alu instid0(VALU_DEP_4)
	v_add_nc_u32_e32 v10, 16, v4
	v_ashrrev_i32_e32 v13, 31, v12
	s_cmp_neq_f32 s10, 0
	v_cmp_gt_i32_e32 vcc_lo, s8, v16
	v_cmp_le_i32_e64 s2, v4, v16
	v_ashrrev_i32_e32 v11, 31, v10
	v_lshlrev_b64_e32 v[12:13], 2, v[12:13]
	s_cselect_b32 s34, -1, 0
	s_cmp_gt_i32 s9, 0
	v_cmp_le_i32_e64 s3, v10, v16
	s_cselect_b32 s35, -1, 0
	s_cmp_neq_f32 s11, 0
	v_ashrrev_i32_e32 v5, 31, v4
	v_lshl_add_u64 v[12:13], v[18:19], 2, v[12:13]
	s_cselect_b32 s29, -1, 0
	s_and_b32 s30, vcc_lo, s2
	s_and_b32 s31, vcc_lo, s3
	v_lshl_add_u64 v[14:15], v[20:21], 2, v[14:15]
	v_cmp_gt_i32_e32 vcc_lo, s8, v22
	v_cmp_le_i32_e64 s2, v4, v22
	v_cmp_le_i32_e64 s3, v10, v22
	v_add_nc_u64_e32 v[12:13], s[16:17], v[12:13]
	v_add_nc_u64_e32 v[14:15], s[6:7], v[14:15]
	s_and_b32 s34, s34, s35
	s_and_b32 s8, vcc_lo, s2
	s_and_b32 s33, vcc_lo, s3
	s_lshl_b64 s[2:3], s[4:5], 2
	s_lshl_b64 s[4:5], s[18:19], 5
	;; [unrolled: 1-line block ×4, first 2 shown]
	s_branch .LBB19_6
.LBB19_5:                               ;   in Loop: Header=BB19_6 Depth=1
	s_wait_xcnt 0x0
	s_or_b32 exec_lo, exec_lo, s16
	s_add_co_i32 s20, s20, 0x10000
	s_delay_alu instid0(SALU_CYCLE_1)
	s_cmp_lt_u32 s20, s28
	s_cbranch_scc0 .LBB19_33
.LBB19_6:                               ; =>This Loop Header: Depth=1
                                        ;     Child Loop BB19_9 Depth 2
	v_dual_mov_b32 v23, 0 :: v_dual_mov_b32 v22, 0
	v_dual_mov_b32 v17, 0 :: v_dual_mov_b32 v16, 0
	s_and_not1_b32 vcc_lo, exec_lo, s34
	s_cbranch_vccnz .LBB19_13
; %bb.7:                                ;   in Loop: Header=BB19_6 Depth=1
	v_mad_nc_u64_u32 v[18:19], s2, s20, v[12:13]
	v_mad_nc_u64_u32 v[20:21], s6, s20, v[14:15]
	v_mov_b32_e32 v16, 0
	s_mov_b32 s16, 0
	s_delay_alu instid0(VALU_DEP_1)
	v_dual_mov_b32 v17, v16 :: v_dual_mov_b32 v22, v16
	v_mov_b32_e32 v23, v16
	v_mad_u32 v19, s3, s20, v19
	v_mad_u32 v21, s7, s20, v21
	s_branch .LBB19_9
.LBB19_8:                               ;   in Loop: Header=BB19_9 Depth=2
	s_wait_xcnt 0x0
	s_or_b32 exec_lo, exec_lo, s17
	s_wait_loadcnt 0x0
	ds_store_b32 v3, v27
	s_wait_dscnt 0x0
	s_barrier_signal -1
	s_barrier_wait -1
	ds_load_b128 v[26:29], v25
	ds_load_2addr_b32 v[42:43], v24 offset1:16
	ds_load_b128 v[30:33], v25 offset:512
	ds_load_2addr_b32 v[44:45], v24 offset0:32 offset1:48
	ds_load_2addr_b32 v[46:47], v24 offset0:64 offset1:80
	;; [unrolled: 1-line block ×3, first 2 shown]
	ds_load_b128 v[34:37], v25 offset:16
	ds_load_2addr_b32 v[50:51], v24 offset0:128 offset1:144
	ds_load_b128 v[38:41], v25 offset:528
	v_add_nc_u64_e32 v[18:19], s[4:5], v[18:19]
	v_add_nc_u64_e32 v[20:21], s[14:15], v[20:21]
	s_add_co_i32 s16, s16, 8
	s_delay_alu instid0(SALU_CYCLE_1)
	s_cmp_lt_i32 s16, s9
	s_wait_dscnt 0x7
	v_pk_fma_f32 v[22:23], v[42:43], v[26:27], v[22:23] op_sel_hi:[1,0,1]
	s_wait_dscnt 0x6
	v_pk_fma_f32 v[16:17], v[42:43], v[30:31], v[16:17] op_sel_hi:[1,0,1]
	ds_load_2addr_b32 v[42:43], v24 offset0:160 offset1:176
	s_wait_dscnt 0x6
	v_pk_fma_f32 v[22:23], v[44:45], v[26:27], v[22:23] op_sel:[0,1,0]
	v_pk_fma_f32 v[16:17], v[44:45], v[30:31], v[16:17] op_sel:[0,1,0]
	ds_load_2addr_b32 v[26:27], v24 offset0:192 offset1:208
	v_dual_mov_b32 v30, v29 :: v_dual_mov_b32 v44, v33
	s_wait_dscnt 0x6
	v_pk_fma_f32 v[22:23], v[46:47], v[28:29], v[22:23] op_sel_hi:[1,0,1]
	v_pk_fma_f32 v[16:17], v[46:47], v[32:33], v[16:17] op_sel_hi:[1,0,1]
	ds_load_2addr_b32 v[28:29], v24 offset0:224 offset1:240
	s_wait_dscnt 0x3
	v_mov_b32_e32 v32, v41
	s_wait_dscnt 0x0
	v_pk_fma_f32 v[22:23], v[48:49], v[30:31], v[22:23] op_sel_hi:[1,0,1]
	v_pk_fma_f32 v[16:17], v[48:49], v[44:45], v[16:17] op_sel_hi:[1,0,1]
	v_mov_b32_e32 v30, v37
	s_barrier_signal -1
	s_barrier_wait -1
	v_pk_fma_f32 v[22:23], v[50:51], v[34:35], v[22:23] op_sel_hi:[1,0,1]
	v_pk_fma_f32 v[16:17], v[50:51], v[38:39], v[16:17] op_sel_hi:[1,0,1]
	s_delay_alu instid0(VALU_DEP_2) | instskip(NEXT) | instid1(VALU_DEP_2)
	v_pk_fma_f32 v[22:23], v[42:43], v[34:35], v[22:23] op_sel:[0,1,0]
	v_pk_fma_f32 v[16:17], v[42:43], v[38:39], v[16:17] op_sel:[0,1,0]
	s_delay_alu instid0(VALU_DEP_2) | instskip(NEXT) | instid1(VALU_DEP_2)
	v_pk_fma_f32 v[22:23], v[26:27], v[36:37], v[22:23] op_sel_hi:[1,0,1]
	v_pk_fma_f32 v[16:17], v[26:27], v[40:41], v[16:17] op_sel_hi:[1,0,1]
	s_delay_alu instid0(VALU_DEP_2) | instskip(NEXT) | instid1(VALU_DEP_2)
	v_pk_fma_f32 v[22:23], v[28:29], v[30:31], v[22:23] op_sel_hi:[1,0,1]
	v_pk_fma_f32 v[16:17], v[28:29], v[32:33], v[16:17] op_sel_hi:[1,0,1]
	s_cbranch_scc0 .LBB19_13
.LBB19_9:                               ;   Parent Loop BB19_6 Depth=1
                                        ; =>  This Inner Loop Header: Depth=2
	v_add_nc_u32_e32 v26, s16, v2
	s_delay_alu instid0(VALU_DEP_1) | instskip(SKIP_2) | instid1(SALU_CYCLE_1)
	v_cmp_gt_i32_e32 vcc_lo, s9, v26
	v_mov_b32_e32 v26, 0
	s_and_b32 s18, s0, vcc_lo
	s_and_saveexec_b32 s17, s18
	s_cbranch_execz .LBB19_11
; %bb.10:                               ;   in Loop: Header=BB19_9 Depth=2
	global_load_b32 v26, v[18:19], off
.LBB19_11:                              ;   in Loop: Header=BB19_9 Depth=2
	s_wait_xcnt 0x0
	s_or_b32 exec_lo, exec_lo, s17
	v_add_nc_u32_e32 v27, s16, v0
	s_wait_loadcnt 0x0
	ds_store_b32 v1, v26
	v_cmp_gt_i32_e32 vcc_lo, s9, v27
	v_mov_b32_e32 v27, 0
	s_and_b32 s18, vcc_lo, s1
	s_delay_alu instid0(SALU_CYCLE_1)
	s_and_saveexec_b32 s17, s18
	s_cbranch_execz .LBB19_8
; %bb.12:                               ;   in Loop: Header=BB19_9 Depth=2
	global_load_b32 v27, v[20:21], off
	s_branch .LBB19_8
.LBB19_13:                              ;   in Loop: Header=BB19_6 Depth=1
	s_mul_u64 s[16:17], s[22:23], s[20:21]
	s_delay_alu instid0(SALU_CYCLE_1) | instskip(NEXT) | instid1(SALU_CYCLE_1)
	s_lshl_b64 s[16:17], s[16:17], 2
	s_add_nc_u64 s[16:17], s[12:13], s[16:17]
	s_delay_alu instid0(SALU_CYCLE_1)
	v_lshl_add_u64 v[18:19], v[6:7], 2, s[16:17]
	s_and_saveexec_b32 s18, s30
	s_cbranch_execz .LBB19_17
; %bb.14:                               ;   in Loop: Header=BB19_6 Depth=1
	v_mul_f32_e32 v22, s10, v22
	s_delay_alu instid0(VALU_DEP_2)
	v_lshl_add_u64 v[20:21], v[4:5], 2, v[18:19]
	s_and_b32 vcc_lo, exec_lo, s29
	s_cbranch_vccz .LBB19_28
; %bb.15:                               ;   in Loop: Header=BB19_6 Depth=1
	global_load_b32 v26, v[20:21], off
	s_wait_loadcnt 0x0
	v_fma_f32 v26, s11, v26, v22
	global_store_b32 v[20:21], v26, off
	s_cbranch_execnz .LBB19_17
.LBB19_16:                              ;   in Loop: Header=BB19_6 Depth=1
	global_store_b32 v[20:21], v22, off
.LBB19_17:                              ;   in Loop: Header=BB19_6 Depth=1
	s_wait_xcnt 0x0
	s_or_b32 exec_lo, exec_lo, s18
	s_and_saveexec_b32 s18, s31
	s_cbranch_execz .LBB19_21
; %bb.18:                               ;   in Loop: Header=BB19_6 Depth=1
	v_mul_f32_e32 v20, s10, v23
	v_lshl_add_u64 v[18:19], v[10:11], 2, v[18:19]
	s_and_not1_b32 vcc_lo, exec_lo, s29
	s_cbranch_vccnz .LBB19_29
; %bb.19:                               ;   in Loop: Header=BB19_6 Depth=1
	global_load_b32 v21, v[18:19], off
	s_wait_loadcnt 0x0
	v_fma_f32 v21, s11, v21, v20
	global_store_b32 v[18:19], v21, off
	s_cbranch_execnz .LBB19_21
.LBB19_20:                              ;   in Loop: Header=BB19_6 Depth=1
	global_store_b32 v[18:19], v20, off
.LBB19_21:                              ;   in Loop: Header=BB19_6 Depth=1
	s_wait_xcnt 0x0
	s_or_b32 exec_lo, exec_lo, s18
	v_lshl_add_u64 v[18:19], v[8:9], 2, s[16:17]
	s_and_saveexec_b32 s16, s8
	s_cbranch_execz .LBB19_25
; %bb.22:                               ;   in Loop: Header=BB19_6 Depth=1
	v_mul_f32_e32 v16, s10, v16
	s_delay_alu instid0(VALU_DEP_2)
	v_lshl_add_u64 v[20:21], v[4:5], 2, v[18:19]
	s_and_not1_b32 vcc_lo, exec_lo, s29
	s_cbranch_vccnz .LBB19_30
; %bb.23:                               ;   in Loop: Header=BB19_6 Depth=1
	global_load_b32 v22, v[20:21], off
	s_wait_loadcnt 0x0
	v_fma_f32 v22, s11, v22, v16
	global_store_b32 v[20:21], v22, off
	s_cbranch_execnz .LBB19_25
.LBB19_24:                              ;   in Loop: Header=BB19_6 Depth=1
	global_store_b32 v[20:21], v16, off
.LBB19_25:                              ;   in Loop: Header=BB19_6 Depth=1
	s_wait_xcnt 0x0
	s_or_b32 exec_lo, exec_lo, s16
	s_and_saveexec_b32 s16, s33
	s_cbranch_execz .LBB19_5
; %bb.26:                               ;   in Loop: Header=BB19_6 Depth=1
	v_mul_f32_e32 v20, s10, v17
	v_lshl_add_u64 v[16:17], v[10:11], 2, v[18:19]
	s_and_not1_b32 vcc_lo, exec_lo, s29
	s_cbranch_vccnz .LBB19_31
; %bb.27:                               ;   in Loop: Header=BB19_6 Depth=1
	global_load_b32 v18, v[16:17], off
	s_wait_loadcnt 0x0
	v_fma_f32 v18, s11, v18, v20
	global_store_b32 v[16:17], v18, off
	s_cbranch_execnz .LBB19_5
	s_branch .LBB19_32
.LBB19_28:                              ;   in Loop: Header=BB19_6 Depth=1
	s_branch .LBB19_16
.LBB19_29:                              ;   in Loop: Header=BB19_6 Depth=1
	s_branch .LBB19_20
.LBB19_30:                              ;   in Loop: Header=BB19_6 Depth=1
	s_branch .LBB19_24
.LBB19_31:                              ;   in Loop: Header=BB19_6 Depth=1
.LBB19_32:                              ;   in Loop: Header=BB19_6 Depth=1
	global_store_b32 v[16:17], v20, off
	s_branch .LBB19_5
.LBB19_33:
	s_endpgm
	.section	.rodata,"a",@progbits
	.p2align	6, 0x0
	.amdhsa_kernel _ZL29rocblas_internal_gemmt_kernelIiLi16ELi32ELi8ELc78ELc84ELc85ELb0ELb0EffPKfPfEviT_T9_T10_S3_lS5_S3_lS4_T11_S3_li
		.amdhsa_group_segment_fixed_size 2048
		.amdhsa_private_segment_fixed_size 0
		.amdhsa_kernarg_size 100
		.amdhsa_user_sgpr_count 2
		.amdhsa_user_sgpr_dispatch_ptr 0
		.amdhsa_user_sgpr_queue_ptr 0
		.amdhsa_user_sgpr_kernarg_segment_ptr 1
		.amdhsa_user_sgpr_dispatch_id 0
		.amdhsa_user_sgpr_kernarg_preload_length 0
		.amdhsa_user_sgpr_kernarg_preload_offset 0
		.amdhsa_user_sgpr_private_segment_size 0
		.amdhsa_wavefront_size32 1
		.amdhsa_uses_dynamic_stack 0
		.amdhsa_enable_private_segment 0
		.amdhsa_system_sgpr_workgroup_id_x 1
		.amdhsa_system_sgpr_workgroup_id_y 1
		.amdhsa_system_sgpr_workgroup_id_z 1
		.amdhsa_system_sgpr_workgroup_info 0
		.amdhsa_system_vgpr_workitem_id 1
		.amdhsa_next_free_vgpr 52
		.amdhsa_next_free_sgpr 36
		.amdhsa_named_barrier_count 0
		.amdhsa_reserve_vcc 1
		.amdhsa_float_round_mode_32 0
		.amdhsa_float_round_mode_16_64 0
		.amdhsa_float_denorm_mode_32 3
		.amdhsa_float_denorm_mode_16_64 3
		.amdhsa_fp16_overflow 0
		.amdhsa_memory_ordered 1
		.amdhsa_forward_progress 1
		.amdhsa_inst_pref_size 13
		.amdhsa_round_robin_scheduling 0
		.amdhsa_exception_fp_ieee_invalid_op 0
		.amdhsa_exception_fp_denorm_src 0
		.amdhsa_exception_fp_ieee_div_zero 0
		.amdhsa_exception_fp_ieee_overflow 0
		.amdhsa_exception_fp_ieee_underflow 0
		.amdhsa_exception_fp_ieee_inexact 0
		.amdhsa_exception_int_div_zero 0
	.end_amdhsa_kernel
	.section	.text._ZL29rocblas_internal_gemmt_kernelIiLi16ELi32ELi8ELc78ELc84ELc85ELb0ELb0EffPKfPfEviT_T9_T10_S3_lS5_S3_lS4_T11_S3_li,"axG",@progbits,_ZL29rocblas_internal_gemmt_kernelIiLi16ELi32ELi8ELc78ELc84ELc85ELb0ELb0EffPKfPfEviT_T9_T10_S3_lS5_S3_lS4_T11_S3_li,comdat
.Lfunc_end19:
	.size	_ZL29rocblas_internal_gemmt_kernelIiLi16ELi32ELi8ELc78ELc84ELc85ELb0ELb0EffPKfPfEviT_T9_T10_S3_lS5_S3_lS4_T11_S3_li, .Lfunc_end19-_ZL29rocblas_internal_gemmt_kernelIiLi16ELi32ELi8ELc78ELc84ELc85ELb0ELb0EffPKfPfEviT_T9_T10_S3_lS5_S3_lS4_T11_S3_li
                                        ; -- End function
	.set _ZL29rocblas_internal_gemmt_kernelIiLi16ELi32ELi8ELc78ELc84ELc85ELb0ELb0EffPKfPfEviT_T9_T10_S3_lS5_S3_lS4_T11_S3_li.num_vgpr, 52
	.set _ZL29rocblas_internal_gemmt_kernelIiLi16ELi32ELi8ELc78ELc84ELc85ELb0ELb0EffPKfPfEviT_T9_T10_S3_lS5_S3_lS4_T11_S3_li.num_agpr, 0
	.set _ZL29rocblas_internal_gemmt_kernelIiLi16ELi32ELi8ELc78ELc84ELc85ELb0ELb0EffPKfPfEviT_T9_T10_S3_lS5_S3_lS4_T11_S3_li.numbered_sgpr, 36
	.set _ZL29rocblas_internal_gemmt_kernelIiLi16ELi32ELi8ELc78ELc84ELc85ELb0ELb0EffPKfPfEviT_T9_T10_S3_lS5_S3_lS4_T11_S3_li.num_named_barrier, 0
	.set _ZL29rocblas_internal_gemmt_kernelIiLi16ELi32ELi8ELc78ELc84ELc85ELb0ELb0EffPKfPfEviT_T9_T10_S3_lS5_S3_lS4_T11_S3_li.private_seg_size, 0
	.set _ZL29rocblas_internal_gemmt_kernelIiLi16ELi32ELi8ELc78ELc84ELc85ELb0ELb0EffPKfPfEviT_T9_T10_S3_lS5_S3_lS4_T11_S3_li.uses_vcc, 1
	.set _ZL29rocblas_internal_gemmt_kernelIiLi16ELi32ELi8ELc78ELc84ELc85ELb0ELb0EffPKfPfEviT_T9_T10_S3_lS5_S3_lS4_T11_S3_li.uses_flat_scratch, 0
	.set _ZL29rocblas_internal_gemmt_kernelIiLi16ELi32ELi8ELc78ELc84ELc85ELb0ELb0EffPKfPfEviT_T9_T10_S3_lS5_S3_lS4_T11_S3_li.has_dyn_sized_stack, 0
	.set _ZL29rocblas_internal_gemmt_kernelIiLi16ELi32ELi8ELc78ELc84ELc85ELb0ELb0EffPKfPfEviT_T9_T10_S3_lS5_S3_lS4_T11_S3_li.has_recursion, 0
	.set _ZL29rocblas_internal_gemmt_kernelIiLi16ELi32ELi8ELc78ELc84ELc85ELb0ELb0EffPKfPfEviT_T9_T10_S3_lS5_S3_lS4_T11_S3_li.has_indirect_call, 0
	.section	.AMDGPU.csdata,"",@progbits
; Kernel info:
; codeLenInByte = 1628
; TotalNumSgprs: 38
; NumVgprs: 52
; ScratchSize: 0
; MemoryBound: 0
; FloatMode: 240
; IeeeMode: 1
; LDSByteSize: 2048 bytes/workgroup (compile time only)
; SGPRBlocks: 0
; VGPRBlocks: 3
; NumSGPRsForWavesPerEU: 38
; NumVGPRsForWavesPerEU: 52
; NamedBarCnt: 0
; Occupancy: 16
; WaveLimiterHint : 0
; COMPUTE_PGM_RSRC2:SCRATCH_EN: 0
; COMPUTE_PGM_RSRC2:USER_SGPR: 2
; COMPUTE_PGM_RSRC2:TRAP_HANDLER: 0
; COMPUTE_PGM_RSRC2:TGID_X_EN: 1
; COMPUTE_PGM_RSRC2:TGID_Y_EN: 1
; COMPUTE_PGM_RSRC2:TGID_Z_EN: 1
; COMPUTE_PGM_RSRC2:TIDIG_COMP_CNT: 1
	.section	.text._ZL29rocblas_internal_gemmt_kernelIiLi16ELi32ELi8ELc78ELc67ELc85ELb0ELb0EffPKfPfEviT_T9_T10_S3_lS5_S3_lS4_T11_S3_li,"axG",@progbits,_ZL29rocblas_internal_gemmt_kernelIiLi16ELi32ELi8ELc78ELc67ELc85ELb0ELb0EffPKfPfEviT_T9_T10_S3_lS5_S3_lS4_T11_S3_li,comdat
	.globl	_ZL29rocblas_internal_gemmt_kernelIiLi16ELi32ELi8ELc78ELc67ELc85ELb0ELb0EffPKfPfEviT_T9_T10_S3_lS5_S3_lS4_T11_S3_li ; -- Begin function _ZL29rocblas_internal_gemmt_kernelIiLi16ELi32ELi8ELc78ELc67ELc85ELb0ELb0EffPKfPfEviT_T9_T10_S3_lS5_S3_lS4_T11_S3_li
	.p2align	8
	.type	_ZL29rocblas_internal_gemmt_kernelIiLi16ELi32ELi8ELc78ELc67ELc85ELb0ELb0EffPKfPfEviT_T9_T10_S3_lS5_S3_lS4_T11_S3_li,@function
_ZL29rocblas_internal_gemmt_kernelIiLi16ELi32ELi8ELc78ELc67ELc85ELb0ELb0EffPKfPfEviT_T9_T10_S3_lS5_S3_lS4_T11_S3_li: ; @_ZL29rocblas_internal_gemmt_kernelIiLi16ELi32ELi8ELc78ELc67ELc85ELb0ELb0EffPKfPfEviT_T9_T10_S3_lS5_S3_lS4_T11_S3_li
; %bb.0:
	s_clause 0x1
	s_load_b32 s11, s[0:1], 0x40
	s_load_b96 s[8:10], s[0:1], 0x0
	s_wait_kmcnt 0x0
	s_cmp_neq_f32 s11, 1.0
	s_cselect_b32 s2, -1, 0
	s_delay_alu instid0(SALU_CYCLE_1)
	s_and_b32 vcc_lo, exec_lo, s2
	s_cbranch_vccnz .LBB20_2
; %bb.1:
	s_cmp_lg_u32 s9, 0
	s_cselect_b32 s2, -1, 0
	s_cmp_neq_f32 s10, 0
	s_cselect_b32 s3, -1, 0
	s_delay_alu instid0(SALU_CYCLE_1)
	s_and_b32 s2, s2, s3
.LBB20_2:
	s_delay_alu instid0(SALU_CYCLE_1)
	s_and_not1_b32 vcc_lo, exec_lo, s2
	s_cbranch_vccnz .LBB20_33
; %bb.3:
	s_load_b32 s28, s[0:1], 0x60
	s_bfe_u32 s2, ttmp6, 0x40014
	s_lshr_b32 s3, ttmp7, 16
	s_add_co_i32 s2, s2, 1
	s_bfe_u32 s5, ttmp6, 0x40008
	s_mul_i32 s4, s3, s2
	s_getreg_b32 s2, hwreg(HW_REG_IB_STS2, 6, 4)
	s_add_co_i32 s5, s5, s4
	s_cmp_eq_u32 s2, 0
	s_mov_b32 s21, 0
	s_cselect_b32 s20, s3, s5
	s_wait_kmcnt 0x0
	s_cmp_ge_u32 s20, s28
	s_cbranch_scc1 .LBB20_33
; %bb.4:
	s_clause 0x2
	s_load_b96 s[16:18], s[0:1], 0x10
	s_load_b32 s24, s[0:1], 0x30
	s_load_b96 s[12:14], s[0:1], 0x48
	v_and_b32_e32 v5, 0x3ff, v0
	v_bfe_u32 v11, v0, 10, 10
	s_clause 0x2
	s_load_b128 s[4:7], s[0:1], 0x20
	s_load_b64 s[26:27], s[0:1], 0x38
	s_load_b64 s[22:23], s[0:1], 0x58
	s_wait_xcnt 0x0
	s_bfe_u32 s1, ttmp6, 0x4000c
	s_bfe_u32 s29, ttmp6, 0x40010
	s_and_b32 s3, ttmp7, 0xffff
	s_add_co_i32 s1, s1, 1
	s_add_co_i32 s29, s29, 1
	v_lshl_add_u32 v1, v11, 4, v5
	s_and_b32 s0, ttmp6, 15
	s_mul_i32 s1, ttmp9, s1
	s_mul_i32 s29, s3, s29
	s_bfe_u32 s30, ttmp6, 0x40004
	s_add_co_i32 s0, s0, s1
	s_add_co_i32 s30, s30, s29
	v_dual_lshrrev_b32 v6, 3, v1 :: v_dual_bitop2_b32 v4, 31, v1 bitop3:0x40
	s_wait_kmcnt 0x0
	s_ashr_i32 s19, s18, 31
	s_ashr_i32 s25, s24, 31
	s_ashr_i32 s15, s14, 31
	s_cmp_eq_u32 s2, 0
	v_dual_lshrrev_b32 v2, 5, v1 :: v_dual_bitop2_b32 v0, 7, v0 bitop3:0x40
	s_cselect_b32 s0, ttmp9, s0
	s_cselect_b32 s1, s3, s30
	s_lshl_b32 s2, s0, 5
	s_delay_alu instid0(SALU_CYCLE_1) | instskip(SKIP_1) | instid1(SALU_CYCLE_1)
	v_dual_mov_b32 v3, 0 :: v_dual_bitop2_b32 v12, s2, v4 bitop3:0x54
	s_lshl_b32 s0, s1, 5
	v_dual_lshlrev_b32 v7, 2, v0 :: v_dual_add_nc_u32 v16, s0, v11
	s_delay_alu instid0(VALU_DEP_2) | instskip(SKIP_2) | instid1(VALU_DEP_4)
	v_dual_mov_b32 v1, v3 :: v_dual_add_nc_u32 v14, s0, v6
	v_mul_u64_e32 v[18:19], s[18:19], v[2:3]
	v_cmp_gt_i32_e64 s0, s8, v12
	v_dual_add_nc_u32 v22, 16, v16 :: v_dual_ashrrev_i32 v17, 31, v16
	s_delay_alu instid0(VALU_DEP_4) | instskip(SKIP_2) | instid1(VALU_DEP_4)
	v_mul_u64_e32 v[20:21], s[24:25], v[0:1]
	v_lshlrev_b32_e32 v3, 2, v4
	v_lshl_or_b32 v4, v6, 5, v7
	v_ashrrev_i32_e32 v23, 31, v22
	v_mul_u64_e32 v[6:7], s[14:15], v[16:17]
	v_ashrrev_i32_e32 v15, 31, v14
	v_lshl_or_b32 v1, v2, 7, v3
	v_add_nc_u32_e32 v3, 0x400, v4
	v_mul_u64_e32 v[8:9], s[14:15], v[22:23]
	v_dual_add_nc_u32 v4, s2, v5 :: v_dual_lshlrev_b32 v24, 2, v5
	v_cmp_gt_i32_e64 s1, s8, v14
	v_lshl_add_u32 v25, v11, 5, 0x400
	v_lshlrev_b64_e32 v[14:15], 2, v[14:15]
	s_delay_alu instid0(VALU_DEP_4)
	v_add_nc_u32_e32 v10, 16, v4
	v_ashrrev_i32_e32 v13, 31, v12
	s_cmp_neq_f32 s10, 0
	v_cmp_gt_i32_e32 vcc_lo, s8, v16
	v_cmp_le_i32_e64 s2, v4, v16
	v_ashrrev_i32_e32 v11, 31, v10
	v_lshlrev_b64_e32 v[12:13], 2, v[12:13]
	s_cselect_b32 s34, -1, 0
	s_cmp_gt_i32 s9, 0
	v_cmp_le_i32_e64 s3, v10, v16
	s_cselect_b32 s35, -1, 0
	s_cmp_neq_f32 s11, 0
	v_ashrrev_i32_e32 v5, 31, v4
	v_lshl_add_u64 v[12:13], v[18:19], 2, v[12:13]
	s_cselect_b32 s29, -1, 0
	s_and_b32 s30, vcc_lo, s2
	s_and_b32 s31, vcc_lo, s3
	v_lshl_add_u64 v[14:15], v[20:21], 2, v[14:15]
	v_cmp_gt_i32_e32 vcc_lo, s8, v22
	v_cmp_le_i32_e64 s2, v4, v22
	v_cmp_le_i32_e64 s3, v10, v22
	v_add_nc_u64_e32 v[12:13], s[16:17], v[12:13]
	v_add_nc_u64_e32 v[14:15], s[6:7], v[14:15]
	s_and_b32 s34, s34, s35
	s_and_b32 s8, vcc_lo, s2
	s_and_b32 s33, vcc_lo, s3
	s_lshl_b64 s[2:3], s[4:5], 2
	s_lshl_b64 s[4:5], s[18:19], 5
	;; [unrolled: 1-line block ×4, first 2 shown]
	s_branch .LBB20_6
.LBB20_5:                               ;   in Loop: Header=BB20_6 Depth=1
	s_wait_xcnt 0x0
	s_or_b32 exec_lo, exec_lo, s16
	s_add_co_i32 s20, s20, 0x10000
	s_delay_alu instid0(SALU_CYCLE_1)
	s_cmp_lt_u32 s20, s28
	s_cbranch_scc0 .LBB20_33
.LBB20_6:                               ; =>This Loop Header: Depth=1
                                        ;     Child Loop BB20_9 Depth 2
	v_dual_mov_b32 v23, 0 :: v_dual_mov_b32 v22, 0
	v_dual_mov_b32 v17, 0 :: v_dual_mov_b32 v16, 0
	s_and_not1_b32 vcc_lo, exec_lo, s34
	s_cbranch_vccnz .LBB20_13
; %bb.7:                                ;   in Loop: Header=BB20_6 Depth=1
	v_mad_nc_u64_u32 v[18:19], s2, s20, v[12:13]
	v_mad_nc_u64_u32 v[20:21], s6, s20, v[14:15]
	v_mov_b32_e32 v16, 0
	s_mov_b32 s16, 0
	s_delay_alu instid0(VALU_DEP_1)
	v_dual_mov_b32 v17, v16 :: v_dual_mov_b32 v22, v16
	v_mov_b32_e32 v23, v16
	v_mad_u32 v19, s3, s20, v19
	v_mad_u32 v21, s7, s20, v21
	s_branch .LBB20_9
.LBB20_8:                               ;   in Loop: Header=BB20_9 Depth=2
	s_wait_xcnt 0x0
	s_or_b32 exec_lo, exec_lo, s17
	s_wait_loadcnt 0x0
	ds_store_b32 v3, v27
	s_wait_dscnt 0x0
	s_barrier_signal -1
	s_barrier_wait -1
	ds_load_b128 v[26:29], v25
	ds_load_2addr_b32 v[42:43], v24 offset1:16
	ds_load_b128 v[30:33], v25 offset:512
	ds_load_2addr_b32 v[44:45], v24 offset0:32 offset1:48
	ds_load_2addr_b32 v[46:47], v24 offset0:64 offset1:80
	;; [unrolled: 1-line block ×3, first 2 shown]
	ds_load_b128 v[34:37], v25 offset:16
	ds_load_2addr_b32 v[50:51], v24 offset0:128 offset1:144
	ds_load_b128 v[38:41], v25 offset:528
	v_add_nc_u64_e32 v[18:19], s[4:5], v[18:19]
	v_add_nc_u64_e32 v[20:21], s[14:15], v[20:21]
	s_add_co_i32 s16, s16, 8
	s_delay_alu instid0(SALU_CYCLE_1)
	s_cmp_lt_i32 s16, s9
	s_wait_dscnt 0x7
	v_pk_fma_f32 v[22:23], v[42:43], v[26:27], v[22:23] op_sel_hi:[1,0,1]
	s_wait_dscnt 0x6
	v_pk_fma_f32 v[16:17], v[42:43], v[30:31], v[16:17] op_sel_hi:[1,0,1]
	ds_load_2addr_b32 v[42:43], v24 offset0:160 offset1:176
	s_wait_dscnt 0x6
	v_pk_fma_f32 v[22:23], v[44:45], v[26:27], v[22:23] op_sel:[0,1,0]
	v_pk_fma_f32 v[16:17], v[44:45], v[30:31], v[16:17] op_sel:[0,1,0]
	ds_load_2addr_b32 v[26:27], v24 offset0:192 offset1:208
	v_dual_mov_b32 v30, v29 :: v_dual_mov_b32 v44, v33
	s_wait_dscnt 0x6
	v_pk_fma_f32 v[22:23], v[46:47], v[28:29], v[22:23] op_sel_hi:[1,0,1]
	v_pk_fma_f32 v[16:17], v[46:47], v[32:33], v[16:17] op_sel_hi:[1,0,1]
	ds_load_2addr_b32 v[28:29], v24 offset0:224 offset1:240
	s_wait_dscnt 0x3
	v_mov_b32_e32 v32, v41
	s_wait_dscnt 0x0
	v_pk_fma_f32 v[22:23], v[48:49], v[30:31], v[22:23] op_sel_hi:[1,0,1]
	v_pk_fma_f32 v[16:17], v[48:49], v[44:45], v[16:17] op_sel_hi:[1,0,1]
	v_mov_b32_e32 v30, v37
	s_barrier_signal -1
	s_barrier_wait -1
	v_pk_fma_f32 v[22:23], v[50:51], v[34:35], v[22:23] op_sel_hi:[1,0,1]
	v_pk_fma_f32 v[16:17], v[50:51], v[38:39], v[16:17] op_sel_hi:[1,0,1]
	s_delay_alu instid0(VALU_DEP_2) | instskip(NEXT) | instid1(VALU_DEP_2)
	v_pk_fma_f32 v[22:23], v[42:43], v[34:35], v[22:23] op_sel:[0,1,0]
	v_pk_fma_f32 v[16:17], v[42:43], v[38:39], v[16:17] op_sel:[0,1,0]
	s_delay_alu instid0(VALU_DEP_2) | instskip(NEXT) | instid1(VALU_DEP_2)
	v_pk_fma_f32 v[22:23], v[26:27], v[36:37], v[22:23] op_sel_hi:[1,0,1]
	v_pk_fma_f32 v[16:17], v[26:27], v[40:41], v[16:17] op_sel_hi:[1,0,1]
	s_delay_alu instid0(VALU_DEP_2) | instskip(NEXT) | instid1(VALU_DEP_2)
	v_pk_fma_f32 v[22:23], v[28:29], v[30:31], v[22:23] op_sel_hi:[1,0,1]
	v_pk_fma_f32 v[16:17], v[28:29], v[32:33], v[16:17] op_sel_hi:[1,0,1]
	s_cbranch_scc0 .LBB20_13
.LBB20_9:                               ;   Parent Loop BB20_6 Depth=1
                                        ; =>  This Inner Loop Header: Depth=2
	v_add_nc_u32_e32 v26, s16, v2
	s_delay_alu instid0(VALU_DEP_1) | instskip(SKIP_2) | instid1(SALU_CYCLE_1)
	v_cmp_gt_i32_e32 vcc_lo, s9, v26
	v_mov_b32_e32 v26, 0
	s_and_b32 s18, s0, vcc_lo
	s_and_saveexec_b32 s17, s18
	s_cbranch_execz .LBB20_11
; %bb.10:                               ;   in Loop: Header=BB20_9 Depth=2
	global_load_b32 v26, v[18:19], off
.LBB20_11:                              ;   in Loop: Header=BB20_9 Depth=2
	s_wait_xcnt 0x0
	s_or_b32 exec_lo, exec_lo, s17
	v_add_nc_u32_e32 v27, s16, v0
	s_wait_loadcnt 0x0
	ds_store_b32 v1, v26
	v_cmp_gt_i32_e32 vcc_lo, s9, v27
	v_mov_b32_e32 v27, 0
	s_and_b32 s18, vcc_lo, s1
	s_delay_alu instid0(SALU_CYCLE_1)
	s_and_saveexec_b32 s17, s18
	s_cbranch_execz .LBB20_8
; %bb.12:                               ;   in Loop: Header=BB20_9 Depth=2
	global_load_b32 v27, v[20:21], off
	s_branch .LBB20_8
.LBB20_13:                              ;   in Loop: Header=BB20_6 Depth=1
	s_mul_u64 s[16:17], s[22:23], s[20:21]
	s_delay_alu instid0(SALU_CYCLE_1) | instskip(NEXT) | instid1(SALU_CYCLE_1)
	s_lshl_b64 s[16:17], s[16:17], 2
	s_add_nc_u64 s[16:17], s[12:13], s[16:17]
	s_delay_alu instid0(SALU_CYCLE_1)
	v_lshl_add_u64 v[18:19], v[6:7], 2, s[16:17]
	s_and_saveexec_b32 s18, s30
	s_cbranch_execz .LBB20_17
; %bb.14:                               ;   in Loop: Header=BB20_6 Depth=1
	v_mul_f32_e32 v22, s10, v22
	s_delay_alu instid0(VALU_DEP_2)
	v_lshl_add_u64 v[20:21], v[4:5], 2, v[18:19]
	s_and_b32 vcc_lo, exec_lo, s29
	s_cbranch_vccz .LBB20_28
; %bb.15:                               ;   in Loop: Header=BB20_6 Depth=1
	global_load_b32 v26, v[20:21], off
	s_wait_loadcnt 0x0
	v_fma_f32 v26, s11, v26, v22
	global_store_b32 v[20:21], v26, off
	s_cbranch_execnz .LBB20_17
.LBB20_16:                              ;   in Loop: Header=BB20_6 Depth=1
	global_store_b32 v[20:21], v22, off
.LBB20_17:                              ;   in Loop: Header=BB20_6 Depth=1
	s_wait_xcnt 0x0
	s_or_b32 exec_lo, exec_lo, s18
	s_and_saveexec_b32 s18, s31
	s_cbranch_execz .LBB20_21
; %bb.18:                               ;   in Loop: Header=BB20_6 Depth=1
	v_mul_f32_e32 v20, s10, v23
	v_lshl_add_u64 v[18:19], v[10:11], 2, v[18:19]
	s_and_not1_b32 vcc_lo, exec_lo, s29
	s_cbranch_vccnz .LBB20_29
; %bb.19:                               ;   in Loop: Header=BB20_6 Depth=1
	global_load_b32 v21, v[18:19], off
	s_wait_loadcnt 0x0
	v_fma_f32 v21, s11, v21, v20
	global_store_b32 v[18:19], v21, off
	s_cbranch_execnz .LBB20_21
.LBB20_20:                              ;   in Loop: Header=BB20_6 Depth=1
	global_store_b32 v[18:19], v20, off
.LBB20_21:                              ;   in Loop: Header=BB20_6 Depth=1
	s_wait_xcnt 0x0
	s_or_b32 exec_lo, exec_lo, s18
	v_lshl_add_u64 v[18:19], v[8:9], 2, s[16:17]
	s_and_saveexec_b32 s16, s8
	s_cbranch_execz .LBB20_25
; %bb.22:                               ;   in Loop: Header=BB20_6 Depth=1
	v_mul_f32_e32 v16, s10, v16
	s_delay_alu instid0(VALU_DEP_2)
	v_lshl_add_u64 v[20:21], v[4:5], 2, v[18:19]
	s_and_not1_b32 vcc_lo, exec_lo, s29
	s_cbranch_vccnz .LBB20_30
; %bb.23:                               ;   in Loop: Header=BB20_6 Depth=1
	global_load_b32 v22, v[20:21], off
	s_wait_loadcnt 0x0
	v_fma_f32 v22, s11, v22, v16
	global_store_b32 v[20:21], v22, off
	s_cbranch_execnz .LBB20_25
.LBB20_24:                              ;   in Loop: Header=BB20_6 Depth=1
	global_store_b32 v[20:21], v16, off
.LBB20_25:                              ;   in Loop: Header=BB20_6 Depth=1
	s_wait_xcnt 0x0
	s_or_b32 exec_lo, exec_lo, s16
	s_and_saveexec_b32 s16, s33
	s_cbranch_execz .LBB20_5
; %bb.26:                               ;   in Loop: Header=BB20_6 Depth=1
	v_mul_f32_e32 v20, s10, v17
	v_lshl_add_u64 v[16:17], v[10:11], 2, v[18:19]
	s_and_not1_b32 vcc_lo, exec_lo, s29
	s_cbranch_vccnz .LBB20_31
; %bb.27:                               ;   in Loop: Header=BB20_6 Depth=1
	global_load_b32 v18, v[16:17], off
	s_wait_loadcnt 0x0
	v_fma_f32 v18, s11, v18, v20
	global_store_b32 v[16:17], v18, off
	s_cbranch_execnz .LBB20_5
	s_branch .LBB20_32
.LBB20_28:                              ;   in Loop: Header=BB20_6 Depth=1
	s_branch .LBB20_16
.LBB20_29:                              ;   in Loop: Header=BB20_6 Depth=1
	s_branch .LBB20_20
.LBB20_30:                              ;   in Loop: Header=BB20_6 Depth=1
	s_branch .LBB20_24
.LBB20_31:                              ;   in Loop: Header=BB20_6 Depth=1
.LBB20_32:                              ;   in Loop: Header=BB20_6 Depth=1
	global_store_b32 v[16:17], v20, off
	s_branch .LBB20_5
.LBB20_33:
	s_endpgm
	.section	.rodata,"a",@progbits
	.p2align	6, 0x0
	.amdhsa_kernel _ZL29rocblas_internal_gemmt_kernelIiLi16ELi32ELi8ELc78ELc67ELc85ELb0ELb0EffPKfPfEviT_T9_T10_S3_lS5_S3_lS4_T11_S3_li
		.amdhsa_group_segment_fixed_size 2048
		.amdhsa_private_segment_fixed_size 0
		.amdhsa_kernarg_size 100
		.amdhsa_user_sgpr_count 2
		.amdhsa_user_sgpr_dispatch_ptr 0
		.amdhsa_user_sgpr_queue_ptr 0
		.amdhsa_user_sgpr_kernarg_segment_ptr 1
		.amdhsa_user_sgpr_dispatch_id 0
		.amdhsa_user_sgpr_kernarg_preload_length 0
		.amdhsa_user_sgpr_kernarg_preload_offset 0
		.amdhsa_user_sgpr_private_segment_size 0
		.amdhsa_wavefront_size32 1
		.amdhsa_uses_dynamic_stack 0
		.amdhsa_enable_private_segment 0
		.amdhsa_system_sgpr_workgroup_id_x 1
		.amdhsa_system_sgpr_workgroup_id_y 1
		.amdhsa_system_sgpr_workgroup_id_z 1
		.amdhsa_system_sgpr_workgroup_info 0
		.amdhsa_system_vgpr_workitem_id 1
		.amdhsa_next_free_vgpr 52
		.amdhsa_next_free_sgpr 36
		.amdhsa_named_barrier_count 0
		.amdhsa_reserve_vcc 1
		.amdhsa_float_round_mode_32 0
		.amdhsa_float_round_mode_16_64 0
		.amdhsa_float_denorm_mode_32 3
		.amdhsa_float_denorm_mode_16_64 3
		.amdhsa_fp16_overflow 0
		.amdhsa_memory_ordered 1
		.amdhsa_forward_progress 1
		.amdhsa_inst_pref_size 13
		.amdhsa_round_robin_scheduling 0
		.amdhsa_exception_fp_ieee_invalid_op 0
		.amdhsa_exception_fp_denorm_src 0
		.amdhsa_exception_fp_ieee_div_zero 0
		.amdhsa_exception_fp_ieee_overflow 0
		.amdhsa_exception_fp_ieee_underflow 0
		.amdhsa_exception_fp_ieee_inexact 0
		.amdhsa_exception_int_div_zero 0
	.end_amdhsa_kernel
	.section	.text._ZL29rocblas_internal_gemmt_kernelIiLi16ELi32ELi8ELc78ELc67ELc85ELb0ELb0EffPKfPfEviT_T9_T10_S3_lS5_S3_lS4_T11_S3_li,"axG",@progbits,_ZL29rocblas_internal_gemmt_kernelIiLi16ELi32ELi8ELc78ELc67ELc85ELb0ELb0EffPKfPfEviT_T9_T10_S3_lS5_S3_lS4_T11_S3_li,comdat
.Lfunc_end20:
	.size	_ZL29rocblas_internal_gemmt_kernelIiLi16ELi32ELi8ELc78ELc67ELc85ELb0ELb0EffPKfPfEviT_T9_T10_S3_lS5_S3_lS4_T11_S3_li, .Lfunc_end20-_ZL29rocblas_internal_gemmt_kernelIiLi16ELi32ELi8ELc78ELc67ELc85ELb0ELb0EffPKfPfEviT_T9_T10_S3_lS5_S3_lS4_T11_S3_li
                                        ; -- End function
	.set _ZL29rocblas_internal_gemmt_kernelIiLi16ELi32ELi8ELc78ELc67ELc85ELb0ELb0EffPKfPfEviT_T9_T10_S3_lS5_S3_lS4_T11_S3_li.num_vgpr, 52
	.set _ZL29rocblas_internal_gemmt_kernelIiLi16ELi32ELi8ELc78ELc67ELc85ELb0ELb0EffPKfPfEviT_T9_T10_S3_lS5_S3_lS4_T11_S3_li.num_agpr, 0
	.set _ZL29rocblas_internal_gemmt_kernelIiLi16ELi32ELi8ELc78ELc67ELc85ELb0ELb0EffPKfPfEviT_T9_T10_S3_lS5_S3_lS4_T11_S3_li.numbered_sgpr, 36
	.set _ZL29rocblas_internal_gemmt_kernelIiLi16ELi32ELi8ELc78ELc67ELc85ELb0ELb0EffPKfPfEviT_T9_T10_S3_lS5_S3_lS4_T11_S3_li.num_named_barrier, 0
	.set _ZL29rocblas_internal_gemmt_kernelIiLi16ELi32ELi8ELc78ELc67ELc85ELb0ELb0EffPKfPfEviT_T9_T10_S3_lS5_S3_lS4_T11_S3_li.private_seg_size, 0
	.set _ZL29rocblas_internal_gemmt_kernelIiLi16ELi32ELi8ELc78ELc67ELc85ELb0ELb0EffPKfPfEviT_T9_T10_S3_lS5_S3_lS4_T11_S3_li.uses_vcc, 1
	.set _ZL29rocblas_internal_gemmt_kernelIiLi16ELi32ELi8ELc78ELc67ELc85ELb0ELb0EffPKfPfEviT_T9_T10_S3_lS5_S3_lS4_T11_S3_li.uses_flat_scratch, 0
	.set _ZL29rocblas_internal_gemmt_kernelIiLi16ELi32ELi8ELc78ELc67ELc85ELb0ELb0EffPKfPfEviT_T9_T10_S3_lS5_S3_lS4_T11_S3_li.has_dyn_sized_stack, 0
	.set _ZL29rocblas_internal_gemmt_kernelIiLi16ELi32ELi8ELc78ELc67ELc85ELb0ELb0EffPKfPfEviT_T9_T10_S3_lS5_S3_lS4_T11_S3_li.has_recursion, 0
	.set _ZL29rocblas_internal_gemmt_kernelIiLi16ELi32ELi8ELc78ELc67ELc85ELb0ELb0EffPKfPfEviT_T9_T10_S3_lS5_S3_lS4_T11_S3_li.has_indirect_call, 0
	.section	.AMDGPU.csdata,"",@progbits
; Kernel info:
; codeLenInByte = 1628
; TotalNumSgprs: 38
; NumVgprs: 52
; ScratchSize: 0
; MemoryBound: 0
; FloatMode: 240
; IeeeMode: 1
; LDSByteSize: 2048 bytes/workgroup (compile time only)
; SGPRBlocks: 0
; VGPRBlocks: 3
; NumSGPRsForWavesPerEU: 38
; NumVGPRsForWavesPerEU: 52
; NamedBarCnt: 0
; Occupancy: 16
; WaveLimiterHint : 0
; COMPUTE_PGM_RSRC2:SCRATCH_EN: 0
; COMPUTE_PGM_RSRC2:USER_SGPR: 2
; COMPUTE_PGM_RSRC2:TRAP_HANDLER: 0
; COMPUTE_PGM_RSRC2:TGID_X_EN: 1
; COMPUTE_PGM_RSRC2:TGID_Y_EN: 1
; COMPUTE_PGM_RSRC2:TGID_Z_EN: 1
; COMPUTE_PGM_RSRC2:TIDIG_COMP_CNT: 1
	.section	.text._ZL29rocblas_internal_gemmt_kernelIiLi16ELi32ELi8ELc84ELc78ELc85ELb0ELb0EffPKfPfEviT_T9_T10_S3_lS5_S3_lS4_T11_S3_li,"axG",@progbits,_ZL29rocblas_internal_gemmt_kernelIiLi16ELi32ELi8ELc84ELc78ELc85ELb0ELb0EffPKfPfEviT_T9_T10_S3_lS5_S3_lS4_T11_S3_li,comdat
	.globl	_ZL29rocblas_internal_gemmt_kernelIiLi16ELi32ELi8ELc84ELc78ELc85ELb0ELb0EffPKfPfEviT_T9_T10_S3_lS5_S3_lS4_T11_S3_li ; -- Begin function _ZL29rocblas_internal_gemmt_kernelIiLi16ELi32ELi8ELc84ELc78ELc85ELb0ELb0EffPKfPfEviT_T9_T10_S3_lS5_S3_lS4_T11_S3_li
	.p2align	8
	.type	_ZL29rocblas_internal_gemmt_kernelIiLi16ELi32ELi8ELc84ELc78ELc85ELb0ELb0EffPKfPfEviT_T9_T10_S3_lS5_S3_lS4_T11_S3_li,@function
_ZL29rocblas_internal_gemmt_kernelIiLi16ELi32ELi8ELc84ELc78ELc85ELb0ELb0EffPKfPfEviT_T9_T10_S3_lS5_S3_lS4_T11_S3_li: ; @_ZL29rocblas_internal_gemmt_kernelIiLi16ELi32ELi8ELc84ELc78ELc85ELb0ELb0EffPKfPfEviT_T9_T10_S3_lS5_S3_lS4_T11_S3_li
; %bb.0:
	s_clause 0x1
	s_load_b32 s7, s[0:1], 0x40
	s_load_b96 s[4:6], s[0:1], 0x0
	s_wait_kmcnt 0x0
	s_cmp_neq_f32 s7, 1.0
	s_cselect_b32 s2, -1, 0
	s_delay_alu instid0(SALU_CYCLE_1)
	s_and_b32 vcc_lo, exec_lo, s2
	s_cbranch_vccnz .LBB21_2
; %bb.1:
	s_cmp_lg_u32 s5, 0
	s_cselect_b32 s2, -1, 0
	s_cmp_neq_f32 s6, 0
	s_cselect_b32 s3, -1, 0
	s_delay_alu instid0(SALU_CYCLE_1)
	s_and_b32 s2, s2, s3
.LBB21_2:
	s_delay_alu instid0(SALU_CYCLE_1)
	s_and_not1_b32 vcc_lo, exec_lo, s2
	s_cbranch_vccnz .LBB21_33
; %bb.3:
	s_load_b32 s15, s[0:1], 0x60
	s_bfe_u32 s2, ttmp6, 0x40014
	s_lshr_b32 s3, ttmp7, 16
	s_add_co_i32 s2, s2, 1
	s_bfe_u32 s8, ttmp6, 0x40008
	s_mul_i32 s2, s3, s2
	s_getreg_b32 s19, hwreg(HW_REG_IB_STS2, 6, 4)
	s_add_co_i32 s8, s8, s2
	s_cmp_eq_u32 s19, 0
	s_mov_b32 s21, 0
	s_cselect_b32 s20, s3, s8
	s_wait_kmcnt 0x0
	s_cmp_ge_u32 s20, s15
	s_cbranch_scc1 .LBB21_33
; %bb.4:
	s_clause 0x2
	s_load_b96 s[16:18], s[0:1], 0x10
	s_load_b32 s2, s[0:1], 0x30
	s_load_b96 s[12:14], s[0:1], 0x48
	v_and_b32_e32 v5, 0x3ff, v0
	v_bfe_u32 v6, v0, 10, 10
	s_clause 0x2
	s_load_b128 s[8:11], s[0:1], 0x20
	s_load_b64 s[24:25], s[0:1], 0x38
	s_load_b64 s[22:23], s[0:1], 0x58
	s_wait_xcnt 0x0
	s_bfe_u32 s1, ttmp6, 0x4000c
	s_bfe_u32 s3, ttmp6, 0x40010
	s_and_b32 s26, ttmp7, 0xffff
	s_add_co_i32 s28, s1, 1
	s_add_co_i32 s29, s3, 1
	v_and_b32_e32 v20, 7, v0
	v_lshl_add_u32 v0, v6, 4, v5
	s_and_b32 s0, ttmp6, 15
	s_mul_i32 s28, ttmp9, s28
	s_mul_i32 s29, s26, s29
	s_bfe_u32 s30, ttmp6, 0x40004
	s_add_co_i32 s0, s0, s28
	s_add_co_i32 s30, s30, s29
	v_dual_lshrrev_b32 v4, 3, v0 :: v_dual_bitop2_b32 v7, 31, v0 bitop3:0x40
	s_wait_kmcnt 0x0
	s_ashr_i32 s1, s18, 31
	s_ashr_i32 s3, s2, 31
	;; [unrolled: 1-line block ×3, first 2 shown]
	s_cmp_eq_u32 s19, 0
	v_lshrrev_b32_e32 v21, 5, v0
	s_cselect_b32 s0, ttmp9, s0
	s_cselect_b32 s19, s26, s30
	s_lshl_b32 s28, s0, 5
	s_lshl_b32 s19, s19, 5
	s_delay_alu instid0(SALU_CYCLE_1) | instskip(SKIP_3) | instid1(VALU_DEP_2)
	v_dual_add_nc_u32 v2, s19, v4 :: v_dual_bitop2_b32 v0, s28, v7 bitop3:0x54
	v_add_nc_u32_e32 v8, s19, v6
	s_mov_b32 s0, s18
	s_mov_b32 s26, s14
	v_dual_ashrrev_i32 v1, 31, v0 :: v_dual_ashrrev_i32 v3, 31, v2
	s_cmp_neq_f32 s6, 0
	v_lshl_add_u32 v25, v6, 5, 0x400
	v_lshlrev_b32_e32 v24, 2, v5
	s_delay_alu instid0(VALU_DEP_3)
	v_mul_u64_e32 v[10:11], s[0:1], v[0:1]
	v_mul_u64_e32 v[12:13], s[2:3], v[2:3]
	v_dual_lshlrev_b32 v1, 2, v7 :: v_dual_add_nc_u32 v14, 16, v8
	v_ashrrev_i32_e32 v9, 31, v8
	v_lshlrev_b32_e32 v16, 2, v20
	v_cmp_gt_i32_e64 s0, s4, v0
	s_delay_alu instid0(VALU_DEP_4)
	v_lshl_or_b32 v22, v21, 7, v1
	v_ashrrev_i32_e32 v15, 31, v14
	v_cmp_gt_i32_e64 s1, s4, v2
	v_mul_u64_e32 v[0:1], s[26:27], v[8:9]
	v_lshl_or_b32 v7, v4, 5, v16
	v_add_nc_u32_e32 v4, s28, v5
	v_mul_u64_e32 v[2:3], s[26:27], v[14:15]
	s_cselect_b32 s29, -1, 0
	s_cmp_gt_i32 s5, 0
	v_cmp_gt_i32_e32 vcc_lo, s4, v8
	v_cmp_le_i32_e64 s2, v4, v8
	v_dual_mov_b32 v9, 0 :: v_dual_add_nc_u32 v6, 16, v4
	s_cselect_b32 s30, -1, 0
	s_cmp_neq_f32 s7, 0
	v_ashrrev_i32_e32 v5, 31, v4
	v_add_nc_u32_e32 v23, 0x400, v7
	v_dual_mov_b32 v17, v9 :: v_dual_ashrrev_i32 v7, 31, v6
	s_cselect_b32 s14, -1, 0
	s_and_b32 s18, vcc_lo, s2
	v_cmp_le_i32_e64 s2, v6, v8
	v_lshlrev_b32_e32 v8, 2, v21
	v_cmp_gt_i32_e64 s3, s4, v14
	v_cmp_le_i32_e64 s4, v4, v14
	s_and_b32 s19, vcc_lo, s2
	v_lshl_add_u64 v[8:9], v[10:11], 2, v[8:9]
	v_lshl_add_u64 v[10:11], v[12:13], 2, v[16:17]
	v_cmp_le_i32_e32 vcc_lo, v6, v14
	s_and_b32 s4, s3, s4
	s_delay_alu instid0(VALU_DEP_3) | instskip(NEXT) | instid1(VALU_DEP_3)
	v_add_nc_u64_e32 v[8:9], s[16:17], v[8:9]
	v_add_nc_u64_e32 v[10:11], s[10:11], v[10:11]
	s_and_b32 s16, s29, s30
	s_and_b32 s17, s3, vcc_lo
	s_lshl_b64 s[2:3], s[8:9], 2
	s_lshl_b64 s[8:9], s[24:25], 2
	s_branch .LBB21_6
.LBB21_5:                               ;   in Loop: Header=BB21_6 Depth=1
	s_wait_xcnt 0x0
	s_or_b32 exec_lo, exec_lo, s10
	s_add_co_i32 s20, s20, 0x10000
	s_delay_alu instid0(SALU_CYCLE_1)
	s_cmp_lt_u32 s20, s15
	s_cbranch_scc0 .LBB21_33
.LBB21_6:                               ; =>This Loop Header: Depth=1
                                        ;     Child Loop BB21_9 Depth 2
	v_dual_mov_b32 v19, 0 :: v_dual_mov_b32 v18, 0
	v_dual_mov_b32 v13, 0 :: v_dual_mov_b32 v12, 0
	s_and_not1_b32 vcc_lo, exec_lo, s16
	s_cbranch_vccnz .LBB21_13
; %bb.7:                                ;   in Loop: Header=BB21_6 Depth=1
	v_mad_nc_u64_u32 v[14:15], s2, s20, v[8:9]
	v_mad_nc_u64_u32 v[16:17], s8, s20, v[10:11]
	v_mov_b32_e32 v12, 0
	s_mov_b32 s10, 0
	s_delay_alu instid0(VALU_DEP_1)
	v_dual_mov_b32 v13, v12 :: v_dual_mov_b32 v18, v12
	v_mov_b32_e32 v19, v12
	v_mad_u32 v15, s3, s20, v15
	v_mad_u32 v17, s9, s20, v17
	s_branch .LBB21_9
.LBB21_8:                               ;   in Loop: Header=BB21_9 Depth=2
	s_wait_xcnt 0x0
	s_or_b32 exec_lo, exec_lo, s11
	s_wait_loadcnt 0x0
	ds_store_b32 v23, v27
	s_wait_dscnt 0x0
	s_barrier_signal -1
	s_barrier_wait -1
	ds_load_b128 v[26:29], v25
	ds_load_2addr_b32 v[42:43], v24 offset1:16
	ds_load_b128 v[30:33], v25 offset:512
	ds_load_2addr_b32 v[44:45], v24 offset0:32 offset1:48
	ds_load_2addr_b32 v[46:47], v24 offset0:64 offset1:80
	;; [unrolled: 1-line block ×3, first 2 shown]
	ds_load_b128 v[34:37], v25 offset:16
	ds_load_2addr_b32 v[50:51], v24 offset0:128 offset1:144
	ds_load_b128 v[38:41], v25 offset:528
	v_add_nc_u64_e32 v[14:15], 32, v[14:15]
	v_add_nc_u64_e32 v[16:17], 32, v[16:17]
	s_add_co_i32 s10, s10, 8
	s_delay_alu instid0(SALU_CYCLE_1)
	s_cmp_lt_i32 s10, s5
	s_wait_dscnt 0x7
	v_pk_fma_f32 v[18:19], v[42:43], v[26:27], v[18:19] op_sel_hi:[1,0,1]
	s_wait_dscnt 0x6
	v_pk_fma_f32 v[12:13], v[42:43], v[30:31], v[12:13] op_sel_hi:[1,0,1]
	ds_load_2addr_b32 v[42:43], v24 offset0:160 offset1:176
	s_wait_dscnt 0x6
	v_pk_fma_f32 v[18:19], v[44:45], v[26:27], v[18:19] op_sel:[0,1,0]
	v_pk_fma_f32 v[12:13], v[44:45], v[30:31], v[12:13] op_sel:[0,1,0]
	ds_load_2addr_b32 v[26:27], v24 offset0:192 offset1:208
	v_dual_mov_b32 v30, v29 :: v_dual_mov_b32 v44, v33
	s_wait_dscnt 0x6
	v_pk_fma_f32 v[18:19], v[46:47], v[28:29], v[18:19] op_sel_hi:[1,0,1]
	v_pk_fma_f32 v[12:13], v[46:47], v[32:33], v[12:13] op_sel_hi:[1,0,1]
	ds_load_2addr_b32 v[28:29], v24 offset0:224 offset1:240
	s_wait_dscnt 0x3
	v_mov_b32_e32 v32, v41
	s_wait_dscnt 0x0
	v_pk_fma_f32 v[18:19], v[48:49], v[30:31], v[18:19] op_sel_hi:[1,0,1]
	v_pk_fma_f32 v[12:13], v[48:49], v[44:45], v[12:13] op_sel_hi:[1,0,1]
	v_mov_b32_e32 v30, v37
	s_barrier_signal -1
	s_barrier_wait -1
	v_pk_fma_f32 v[18:19], v[50:51], v[34:35], v[18:19] op_sel_hi:[1,0,1]
	v_pk_fma_f32 v[12:13], v[50:51], v[38:39], v[12:13] op_sel_hi:[1,0,1]
	s_delay_alu instid0(VALU_DEP_2) | instskip(NEXT) | instid1(VALU_DEP_2)
	v_pk_fma_f32 v[18:19], v[42:43], v[34:35], v[18:19] op_sel:[0,1,0]
	v_pk_fma_f32 v[12:13], v[42:43], v[38:39], v[12:13] op_sel:[0,1,0]
	s_delay_alu instid0(VALU_DEP_2) | instskip(NEXT) | instid1(VALU_DEP_2)
	v_pk_fma_f32 v[18:19], v[26:27], v[36:37], v[18:19] op_sel_hi:[1,0,1]
	v_pk_fma_f32 v[12:13], v[26:27], v[40:41], v[12:13] op_sel_hi:[1,0,1]
	s_delay_alu instid0(VALU_DEP_2) | instskip(NEXT) | instid1(VALU_DEP_2)
	v_pk_fma_f32 v[18:19], v[28:29], v[30:31], v[18:19] op_sel_hi:[1,0,1]
	v_pk_fma_f32 v[12:13], v[28:29], v[32:33], v[12:13] op_sel_hi:[1,0,1]
	s_cbranch_scc0 .LBB21_13
.LBB21_9:                               ;   Parent Loop BB21_6 Depth=1
                                        ; =>  This Inner Loop Header: Depth=2
	v_add_nc_u32_e32 v26, s10, v21
	s_delay_alu instid0(VALU_DEP_1) | instskip(SKIP_2) | instid1(SALU_CYCLE_1)
	v_cmp_gt_i32_e32 vcc_lo, s5, v26
	v_mov_b32_e32 v26, 0
	s_and_b32 s24, s0, vcc_lo
	s_and_saveexec_b32 s11, s24
	s_cbranch_execz .LBB21_11
; %bb.10:                               ;   in Loop: Header=BB21_9 Depth=2
	global_load_b32 v26, v[14:15], off
.LBB21_11:                              ;   in Loop: Header=BB21_9 Depth=2
	s_wait_xcnt 0x0
	s_or_b32 exec_lo, exec_lo, s11
	v_add_nc_u32_e32 v27, s10, v20
	s_wait_loadcnt 0x0
	ds_store_b32 v22, v26
	v_cmp_gt_i32_e32 vcc_lo, s5, v27
	v_mov_b32_e32 v27, 0
	s_and_b32 s24, vcc_lo, s1
	s_delay_alu instid0(SALU_CYCLE_1)
	s_and_saveexec_b32 s11, s24
	s_cbranch_execz .LBB21_8
; %bb.12:                               ;   in Loop: Header=BB21_9 Depth=2
	global_load_b32 v27, v[16:17], off
	s_branch .LBB21_8
.LBB21_13:                              ;   in Loop: Header=BB21_6 Depth=1
	s_mul_u64 s[10:11], s[22:23], s[20:21]
	s_delay_alu instid0(SALU_CYCLE_1) | instskip(NEXT) | instid1(SALU_CYCLE_1)
	s_lshl_b64 s[10:11], s[10:11], 2
	s_add_nc_u64 s[10:11], s[12:13], s[10:11]
	s_delay_alu instid0(SALU_CYCLE_1)
	v_lshl_add_u64 v[14:15], v[0:1], 2, s[10:11]
	s_and_saveexec_b32 s24, s18
	s_cbranch_execz .LBB21_17
; %bb.14:                               ;   in Loop: Header=BB21_6 Depth=1
	v_mul_f32_e32 v18, s6, v18
	s_delay_alu instid0(VALU_DEP_2)
	v_lshl_add_u64 v[16:17], v[4:5], 2, v[14:15]
	s_and_b32 vcc_lo, exec_lo, s14
	s_cbranch_vccz .LBB21_28
; %bb.15:                               ;   in Loop: Header=BB21_6 Depth=1
	global_load_b32 v26, v[16:17], off
	s_wait_loadcnt 0x0
	v_fma_f32 v26, s7, v26, v18
	global_store_b32 v[16:17], v26, off
	s_cbranch_execnz .LBB21_17
.LBB21_16:                              ;   in Loop: Header=BB21_6 Depth=1
	global_store_b32 v[16:17], v18, off
.LBB21_17:                              ;   in Loop: Header=BB21_6 Depth=1
	s_wait_xcnt 0x0
	s_or_b32 exec_lo, exec_lo, s24
	s_and_saveexec_b32 s24, s19
	s_cbranch_execz .LBB21_21
; %bb.18:                               ;   in Loop: Header=BB21_6 Depth=1
	v_mul_f32_e32 v16, s6, v19
	v_lshl_add_u64 v[14:15], v[6:7], 2, v[14:15]
	s_and_not1_b32 vcc_lo, exec_lo, s14
	s_cbranch_vccnz .LBB21_29
; %bb.19:                               ;   in Loop: Header=BB21_6 Depth=1
	global_load_b32 v17, v[14:15], off
	s_wait_loadcnt 0x0
	v_fma_f32 v17, s7, v17, v16
	global_store_b32 v[14:15], v17, off
	s_cbranch_execnz .LBB21_21
.LBB21_20:                              ;   in Loop: Header=BB21_6 Depth=1
	global_store_b32 v[14:15], v16, off
.LBB21_21:                              ;   in Loop: Header=BB21_6 Depth=1
	s_wait_xcnt 0x0
	s_or_b32 exec_lo, exec_lo, s24
	v_lshl_add_u64 v[14:15], v[2:3], 2, s[10:11]
	s_and_saveexec_b32 s10, s4
	s_cbranch_execz .LBB21_25
; %bb.22:                               ;   in Loop: Header=BB21_6 Depth=1
	v_mul_f32_e32 v12, s6, v12
	s_delay_alu instid0(VALU_DEP_2)
	v_lshl_add_u64 v[16:17], v[4:5], 2, v[14:15]
	s_and_not1_b32 vcc_lo, exec_lo, s14
	s_cbranch_vccnz .LBB21_30
; %bb.23:                               ;   in Loop: Header=BB21_6 Depth=1
	global_load_b32 v18, v[16:17], off
	s_wait_loadcnt 0x0
	v_fma_f32 v18, s7, v18, v12
	global_store_b32 v[16:17], v18, off
	s_cbranch_execnz .LBB21_25
.LBB21_24:                              ;   in Loop: Header=BB21_6 Depth=1
	global_store_b32 v[16:17], v12, off
.LBB21_25:                              ;   in Loop: Header=BB21_6 Depth=1
	s_wait_xcnt 0x0
	s_or_b32 exec_lo, exec_lo, s10
	s_and_saveexec_b32 s10, s17
	s_cbranch_execz .LBB21_5
; %bb.26:                               ;   in Loop: Header=BB21_6 Depth=1
	v_mul_f32_e32 v16, s6, v13
	v_lshl_add_u64 v[12:13], v[6:7], 2, v[14:15]
	s_and_not1_b32 vcc_lo, exec_lo, s14
	s_cbranch_vccnz .LBB21_31
; %bb.27:                               ;   in Loop: Header=BB21_6 Depth=1
	global_load_b32 v14, v[12:13], off
	s_wait_loadcnt 0x0
	v_fma_f32 v14, s7, v14, v16
	global_store_b32 v[12:13], v14, off
	s_cbranch_execnz .LBB21_5
	s_branch .LBB21_32
.LBB21_28:                              ;   in Loop: Header=BB21_6 Depth=1
	s_branch .LBB21_16
.LBB21_29:                              ;   in Loop: Header=BB21_6 Depth=1
	s_branch .LBB21_20
.LBB21_30:                              ;   in Loop: Header=BB21_6 Depth=1
	s_branch .LBB21_24
.LBB21_31:                              ;   in Loop: Header=BB21_6 Depth=1
.LBB21_32:                              ;   in Loop: Header=BB21_6 Depth=1
	global_store_b32 v[12:13], v16, off
	s_branch .LBB21_5
.LBB21_33:
	s_endpgm
	.section	.rodata,"a",@progbits
	.p2align	6, 0x0
	.amdhsa_kernel _ZL29rocblas_internal_gemmt_kernelIiLi16ELi32ELi8ELc84ELc78ELc85ELb0ELb0EffPKfPfEviT_T9_T10_S3_lS5_S3_lS4_T11_S3_li
		.amdhsa_group_segment_fixed_size 2048
		.amdhsa_private_segment_fixed_size 0
		.amdhsa_kernarg_size 100
		.amdhsa_user_sgpr_count 2
		.amdhsa_user_sgpr_dispatch_ptr 0
		.amdhsa_user_sgpr_queue_ptr 0
		.amdhsa_user_sgpr_kernarg_segment_ptr 1
		.amdhsa_user_sgpr_dispatch_id 0
		.amdhsa_user_sgpr_kernarg_preload_length 0
		.amdhsa_user_sgpr_kernarg_preload_offset 0
		.amdhsa_user_sgpr_private_segment_size 0
		.amdhsa_wavefront_size32 1
		.amdhsa_uses_dynamic_stack 0
		.amdhsa_enable_private_segment 0
		.amdhsa_system_sgpr_workgroup_id_x 1
		.amdhsa_system_sgpr_workgroup_id_y 1
		.amdhsa_system_sgpr_workgroup_id_z 1
		.amdhsa_system_sgpr_workgroup_info 0
		.amdhsa_system_vgpr_workitem_id 1
		.amdhsa_next_free_vgpr 52
		.amdhsa_next_free_sgpr 31
		.amdhsa_named_barrier_count 0
		.amdhsa_reserve_vcc 1
		.amdhsa_float_round_mode_32 0
		.amdhsa_float_round_mode_16_64 0
		.amdhsa_float_denorm_mode_32 3
		.amdhsa_float_denorm_mode_16_64 3
		.amdhsa_fp16_overflow 0
		.amdhsa_memory_ordered 1
		.amdhsa_forward_progress 1
		.amdhsa_inst_pref_size 13
		.amdhsa_round_robin_scheduling 0
		.amdhsa_exception_fp_ieee_invalid_op 0
		.amdhsa_exception_fp_denorm_src 0
		.amdhsa_exception_fp_ieee_div_zero 0
		.amdhsa_exception_fp_ieee_overflow 0
		.amdhsa_exception_fp_ieee_underflow 0
		.amdhsa_exception_fp_ieee_inexact 0
		.amdhsa_exception_int_div_zero 0
	.end_amdhsa_kernel
	.section	.text._ZL29rocblas_internal_gemmt_kernelIiLi16ELi32ELi8ELc84ELc78ELc85ELb0ELb0EffPKfPfEviT_T9_T10_S3_lS5_S3_lS4_T11_S3_li,"axG",@progbits,_ZL29rocblas_internal_gemmt_kernelIiLi16ELi32ELi8ELc84ELc78ELc85ELb0ELb0EffPKfPfEviT_T9_T10_S3_lS5_S3_lS4_T11_S3_li,comdat
.Lfunc_end21:
	.size	_ZL29rocblas_internal_gemmt_kernelIiLi16ELi32ELi8ELc84ELc78ELc85ELb0ELb0EffPKfPfEviT_T9_T10_S3_lS5_S3_lS4_T11_S3_li, .Lfunc_end21-_ZL29rocblas_internal_gemmt_kernelIiLi16ELi32ELi8ELc84ELc78ELc85ELb0ELb0EffPKfPfEviT_T9_T10_S3_lS5_S3_lS4_T11_S3_li
                                        ; -- End function
	.set _ZL29rocblas_internal_gemmt_kernelIiLi16ELi32ELi8ELc84ELc78ELc85ELb0ELb0EffPKfPfEviT_T9_T10_S3_lS5_S3_lS4_T11_S3_li.num_vgpr, 52
	.set _ZL29rocblas_internal_gemmt_kernelIiLi16ELi32ELi8ELc84ELc78ELc85ELb0ELb0EffPKfPfEviT_T9_T10_S3_lS5_S3_lS4_T11_S3_li.num_agpr, 0
	.set _ZL29rocblas_internal_gemmt_kernelIiLi16ELi32ELi8ELc84ELc78ELc85ELb0ELb0EffPKfPfEviT_T9_T10_S3_lS5_S3_lS4_T11_S3_li.numbered_sgpr, 31
	.set _ZL29rocblas_internal_gemmt_kernelIiLi16ELi32ELi8ELc84ELc78ELc85ELb0ELb0EffPKfPfEviT_T9_T10_S3_lS5_S3_lS4_T11_S3_li.num_named_barrier, 0
	.set _ZL29rocblas_internal_gemmt_kernelIiLi16ELi32ELi8ELc84ELc78ELc85ELb0ELb0EffPKfPfEviT_T9_T10_S3_lS5_S3_lS4_T11_S3_li.private_seg_size, 0
	.set _ZL29rocblas_internal_gemmt_kernelIiLi16ELi32ELi8ELc84ELc78ELc85ELb0ELb0EffPKfPfEviT_T9_T10_S3_lS5_S3_lS4_T11_S3_li.uses_vcc, 1
	.set _ZL29rocblas_internal_gemmt_kernelIiLi16ELi32ELi8ELc84ELc78ELc85ELb0ELb0EffPKfPfEviT_T9_T10_S3_lS5_S3_lS4_T11_S3_li.uses_flat_scratch, 0
	.set _ZL29rocblas_internal_gemmt_kernelIiLi16ELi32ELi8ELc84ELc78ELc85ELb0ELb0EffPKfPfEviT_T9_T10_S3_lS5_S3_lS4_T11_S3_li.has_dyn_sized_stack, 0
	.set _ZL29rocblas_internal_gemmt_kernelIiLi16ELi32ELi8ELc84ELc78ELc85ELb0ELb0EffPKfPfEviT_T9_T10_S3_lS5_S3_lS4_T11_S3_li.has_recursion, 0
	.set _ZL29rocblas_internal_gemmt_kernelIiLi16ELi32ELi8ELc84ELc78ELc85ELb0ELb0EffPKfPfEviT_T9_T10_S3_lS5_S3_lS4_T11_S3_li.has_indirect_call, 0
	.section	.AMDGPU.csdata,"",@progbits
; Kernel info:
; codeLenInByte = 1620
; TotalNumSgprs: 33
; NumVgprs: 52
; ScratchSize: 0
; MemoryBound: 0
; FloatMode: 240
; IeeeMode: 1
; LDSByteSize: 2048 bytes/workgroup (compile time only)
; SGPRBlocks: 0
; VGPRBlocks: 3
; NumSGPRsForWavesPerEU: 33
; NumVGPRsForWavesPerEU: 52
; NamedBarCnt: 0
; Occupancy: 16
; WaveLimiterHint : 0
; COMPUTE_PGM_RSRC2:SCRATCH_EN: 0
; COMPUTE_PGM_RSRC2:USER_SGPR: 2
; COMPUTE_PGM_RSRC2:TRAP_HANDLER: 0
; COMPUTE_PGM_RSRC2:TGID_X_EN: 1
; COMPUTE_PGM_RSRC2:TGID_Y_EN: 1
; COMPUTE_PGM_RSRC2:TGID_Z_EN: 1
; COMPUTE_PGM_RSRC2:TIDIG_COMP_CNT: 1
	.section	.text._ZL29rocblas_internal_gemmt_kernelIiLi16ELi32ELi8ELc84ELc84ELc85ELb0ELb0EffPKfPfEviT_T9_T10_S3_lS5_S3_lS4_T11_S3_li,"axG",@progbits,_ZL29rocblas_internal_gemmt_kernelIiLi16ELi32ELi8ELc84ELc84ELc85ELb0ELb0EffPKfPfEviT_T9_T10_S3_lS5_S3_lS4_T11_S3_li,comdat
	.globl	_ZL29rocblas_internal_gemmt_kernelIiLi16ELi32ELi8ELc84ELc84ELc85ELb0ELb0EffPKfPfEviT_T9_T10_S3_lS5_S3_lS4_T11_S3_li ; -- Begin function _ZL29rocblas_internal_gemmt_kernelIiLi16ELi32ELi8ELc84ELc84ELc85ELb0ELb0EffPKfPfEviT_T9_T10_S3_lS5_S3_lS4_T11_S3_li
	.p2align	8
	.type	_ZL29rocblas_internal_gemmt_kernelIiLi16ELi32ELi8ELc84ELc84ELc85ELb0ELb0EffPKfPfEviT_T9_T10_S3_lS5_S3_lS4_T11_S3_li,@function
_ZL29rocblas_internal_gemmt_kernelIiLi16ELi32ELi8ELc84ELc84ELc85ELb0ELb0EffPKfPfEviT_T9_T10_S3_lS5_S3_lS4_T11_S3_li: ; @_ZL29rocblas_internal_gemmt_kernelIiLi16ELi32ELi8ELc84ELc84ELc85ELb0ELb0EffPKfPfEviT_T9_T10_S3_lS5_S3_lS4_T11_S3_li
; %bb.0:
	s_clause 0x1
	s_load_b32 s11, s[0:1], 0x40
	s_load_b96 s[8:10], s[0:1], 0x0
	s_wait_kmcnt 0x0
	s_cmp_neq_f32 s11, 1.0
	s_cselect_b32 s2, -1, 0
	s_delay_alu instid0(SALU_CYCLE_1)
	s_and_b32 vcc_lo, exec_lo, s2
	s_cbranch_vccnz .LBB22_2
; %bb.1:
	s_cmp_lg_u32 s9, 0
	s_cselect_b32 s2, -1, 0
	s_cmp_neq_f32 s10, 0
	s_cselect_b32 s3, -1, 0
	s_delay_alu instid0(SALU_CYCLE_1)
	s_and_b32 s2, s2, s3
.LBB22_2:
	s_delay_alu instid0(SALU_CYCLE_1)
	s_and_not1_b32 vcc_lo, exec_lo, s2
	s_cbranch_vccnz .LBB22_33
; %bb.3:
	s_load_b32 s19, s[0:1], 0x60
	s_bfe_u32 s2, ttmp6, 0x40014
	s_lshr_b32 s3, ttmp7, 16
	s_add_co_i32 s2, s2, 1
	s_bfe_u32 s5, ttmp6, 0x40008
	s_mul_i32 s4, s3, s2
	s_getreg_b32 s2, hwreg(HW_REG_IB_STS2, 6, 4)
	s_add_co_i32 s5, s5, s4
	s_cmp_eq_u32 s2, 0
	s_mov_b32 s21, 0
	s_cselect_b32 s20, s3, s5
	s_wait_kmcnt 0x0
	s_cmp_ge_u32 s20, s19
	s_cbranch_scc1 .LBB22_33
; %bb.4:
	s_clause 0x2
	s_load_b96 s[16:18], s[0:1], 0x10
	s_load_b32 s24, s[0:1], 0x30
	s_load_b96 s[12:14], s[0:1], 0x48
	v_and_b32_e32 v9, 0x3ff, v0
	v_bfe_u32 v10, v0, 10, 10
	s_clause 0x2
	s_load_b128 s[4:7], s[0:1], 0x20
	s_load_b64 s[26:27], s[0:1], 0x38
	s_load_b64 s[22:23], s[0:1], 0x58
	s_wait_xcnt 0x0
	s_bfe_u32 s0, ttmp6, 0x4000c
	s_bfe_u32 s1, ttmp6, 0x40010
	s_and_b32 s28, ttmp7, 0xffff
	s_add_co_i32 s29, s0, 1
	s_add_co_i32 s30, s1, 1
	v_lshl_add_u32 v1, v10, 4, v9
	s_and_b32 s15, ttmp6, 15
	v_and_b32_e32 v0, 7, v0
	v_lshl_add_u32 v25, v10, 5, 0x400
	s_delay_alu instid0(VALU_DEP_3)
	v_dual_mov_b32 v11, 0 :: v_dual_bitop2_b32 v4, 31, v1 bitop3:0x40
	v_dual_lshrrev_b32 v5, 3, v1 :: v_dual_lshrrev_b32 v22, 5, v1
	s_wait_kmcnt 0x0
	s_ashr_i32 s1, s18, 31
	s_mov_b32 s0, s18
	s_mul_i32 s18, ttmp9, s29
	s_mul_i32 s29, s28, s30
	s_bfe_u32 s30, ttmp6, 0x40004
	s_ashr_i32 s25, s24, 31
	s_ashr_i32 s3, s14, 31
	s_add_co_i32 s15, s15, s18
	s_add_co_i32 s30, s30, s29
	s_cmp_eq_u32 s2, 0
	s_cselect_b32 s2, ttmp9, s15
	s_cselect_b32 s15, s28, s30
	s_lshl_b32 s18, s2, 5
	s_lshl_b32 s15, s15, 5
	s_delay_alu instid0(SALU_CYCLE_1) | instskip(SKIP_1) | instid1(VALU_DEP_2)
	v_dual_add_nc_u32 v12, s15, v5 :: v_dual_bitop2_b32 v2, s18, v4 bitop3:0x54
	v_dual_mov_b32 v1, v11 :: v_dual_add_nc_u32 v14, s15, v10
	v_dual_lshlrev_b32 v4, 2, v4 :: v_dual_ashrrev_i32 v3, 31, v2
	s_mov_b32 s2, s14
	s_delay_alu instid0(VALU_DEP_2) | instskip(NEXT) | instid1(VALU_DEP_3)
	v_mul_u64_e32 v[18:19], s[24:25], v[0:1]
	v_dual_add_nc_u32 v20, 16, v14 :: v_dual_ashrrev_i32 v15, 31, v14
	s_delay_alu instid0(VALU_DEP_3) | instskip(SKIP_2) | instid1(VALU_DEP_4)
	v_mul_u64_e32 v[16:17], s[0:1], v[2:3]
	v_lshlrev_b32_e32 v3, 2, v0
	v_cmp_gt_i32_e64 s0, s8, v2
	v_dual_ashrrev_i32 v21, 31, v20 :: v_dual_add_nc_u32 v2, s18, v9
	v_lshl_or_b32 v1, v22, 7, v4
	s_delay_alu instid0(VALU_DEP_4) | instskip(SKIP_1) | instid1(VALU_DEP_4)
	v_lshl_or_b32 v3, v5, 5, v3
	v_mul_u64_e32 v[4:5], s[2:3], v[14:15]
	v_mul_u64_e32 v[6:7], s[2:3], v[20:21]
	v_dual_ashrrev_i32 v13, 31, v12 :: v_dual_add_nc_u32 v8, 16, v2
	v_cmp_gt_i32_e64 s1, s8, v12
	s_cmp_neq_f32 s10, 0
	v_lshlrev_b32_e32 v10, 2, v22
	v_lshlrev_b64_e32 v[12:13], 2, v[12:13]
	v_cmp_gt_i32_e32 vcc_lo, s8, v14
	s_cselect_b32 s14, -1, 0
	s_cmp_gt_i32 s9, 0
	v_cmp_le_i32_e64 s2, v2, v14
	v_lshlrev_b32_e32 v24, 2, v9
	v_cmp_le_i32_e64 s3, v8, v14
	v_ashrrev_i32_e32 v9, 31, v8
	s_cselect_b32 s15, -1, 0
	s_cmp_neq_f32 s11, 0
	v_add_nc_u32_e32 v23, 0x400, v3
	v_ashrrev_i32_e32 v3, 31, v2
	s_cselect_b32 s18, -1, 0
	s_and_b32 s28, vcc_lo, s2
	v_lshl_add_u64 v[12:13], v[18:19], 2, v[12:13]
	s_and_b32 s29, vcc_lo, s3
	v_cmp_gt_i32_e32 vcc_lo, s8, v20
	v_lshl_add_u64 v[10:11], v[16:17], 2, v[10:11]
	v_cmp_le_i32_e64 s2, v2, v20
	v_cmp_le_i32_e64 s3, v8, v20
	v_add_nc_u64_e32 v[12:13], s[6:7], v[12:13]
	s_lshl_b64 s[6:7], s[24:25], 5
	v_add_nc_u64_e32 v[10:11], s[16:17], v[10:11]
	s_and_b32 s8, vcc_lo, s2
	s_and_b32 s30, vcc_lo, s3
	s_and_b32 s16, s14, s15
	s_lshl_b64 s[2:3], s[4:5], 2
	s_lshl_b64 s[4:5], s[26:27], 2
	s_branch .LBB22_6
.LBB22_5:                               ;   in Loop: Header=BB22_6 Depth=1
	s_wait_xcnt 0x0
	s_or_b32 exec_lo, exec_lo, s14
	s_add_co_i32 s20, s20, 0x10000
	s_delay_alu instid0(SALU_CYCLE_1)
	s_cmp_lt_u32 s20, s19
	s_cbranch_scc0 .LBB22_33
.LBB22_6:                               ; =>This Loop Header: Depth=1
                                        ;     Child Loop BB22_9 Depth 2
	v_dual_mov_b32 v21, 0 :: v_dual_mov_b32 v20, 0
	v_dual_mov_b32 v15, 0 :: v_dual_mov_b32 v14, 0
	s_and_not1_b32 vcc_lo, exec_lo, s16
	s_cbranch_vccnz .LBB22_13
; %bb.7:                                ;   in Loop: Header=BB22_6 Depth=1
	v_mad_nc_u64_u32 v[16:17], s2, s20, v[10:11]
	v_mad_nc_u64_u32 v[18:19], s4, s20, v[12:13]
	v_mov_b32_e32 v14, 0
	s_mov_b32 s14, 0
	s_delay_alu instid0(VALU_DEP_1)
	v_dual_mov_b32 v15, v14 :: v_dual_mov_b32 v20, v14
	v_mov_b32_e32 v21, v14
	v_mad_u32 v17, s3, s20, v17
	v_mad_u32 v19, s5, s20, v19
	s_branch .LBB22_9
.LBB22_8:                               ;   in Loop: Header=BB22_9 Depth=2
	s_wait_xcnt 0x0
	s_or_b32 exec_lo, exec_lo, s15
	s_wait_loadcnt 0x0
	ds_store_b32 v23, v27
	s_wait_dscnt 0x0
	s_barrier_signal -1
	s_barrier_wait -1
	ds_load_b128 v[26:29], v25
	ds_load_2addr_b32 v[42:43], v24 offset1:16
	ds_load_b128 v[30:33], v25 offset:512
	ds_load_2addr_b32 v[44:45], v24 offset0:32 offset1:48
	ds_load_2addr_b32 v[46:47], v24 offset0:64 offset1:80
	;; [unrolled: 1-line block ×3, first 2 shown]
	ds_load_b128 v[34:37], v25 offset:16
	ds_load_2addr_b32 v[50:51], v24 offset0:128 offset1:144
	ds_load_b128 v[38:41], v25 offset:528
	v_add_nc_u64_e32 v[16:17], 32, v[16:17]
	v_add_nc_u64_e32 v[18:19], s[6:7], v[18:19]
	s_add_co_i32 s14, s14, 8
	s_delay_alu instid0(SALU_CYCLE_1)
	s_cmp_lt_i32 s14, s9
	s_wait_dscnt 0x7
	v_pk_fma_f32 v[20:21], v[42:43], v[26:27], v[20:21] op_sel_hi:[1,0,1]
	s_wait_dscnt 0x6
	v_pk_fma_f32 v[14:15], v[42:43], v[30:31], v[14:15] op_sel_hi:[1,0,1]
	ds_load_2addr_b32 v[42:43], v24 offset0:160 offset1:176
	s_wait_dscnt 0x6
	v_pk_fma_f32 v[20:21], v[44:45], v[26:27], v[20:21] op_sel:[0,1,0]
	v_pk_fma_f32 v[14:15], v[44:45], v[30:31], v[14:15] op_sel:[0,1,0]
	ds_load_2addr_b32 v[26:27], v24 offset0:192 offset1:208
	v_dual_mov_b32 v30, v29 :: v_dual_mov_b32 v44, v33
	s_wait_dscnt 0x6
	v_pk_fma_f32 v[20:21], v[46:47], v[28:29], v[20:21] op_sel_hi:[1,0,1]
	v_pk_fma_f32 v[14:15], v[46:47], v[32:33], v[14:15] op_sel_hi:[1,0,1]
	ds_load_2addr_b32 v[28:29], v24 offset0:224 offset1:240
	s_wait_dscnt 0x3
	v_mov_b32_e32 v32, v41
	s_wait_dscnt 0x0
	v_pk_fma_f32 v[20:21], v[48:49], v[30:31], v[20:21] op_sel_hi:[1,0,1]
	v_pk_fma_f32 v[14:15], v[48:49], v[44:45], v[14:15] op_sel_hi:[1,0,1]
	v_mov_b32_e32 v30, v37
	s_barrier_signal -1
	s_barrier_wait -1
	v_pk_fma_f32 v[20:21], v[50:51], v[34:35], v[20:21] op_sel_hi:[1,0,1]
	v_pk_fma_f32 v[14:15], v[50:51], v[38:39], v[14:15] op_sel_hi:[1,0,1]
	s_delay_alu instid0(VALU_DEP_2) | instskip(NEXT) | instid1(VALU_DEP_2)
	v_pk_fma_f32 v[20:21], v[42:43], v[34:35], v[20:21] op_sel:[0,1,0]
	v_pk_fma_f32 v[14:15], v[42:43], v[38:39], v[14:15] op_sel:[0,1,0]
	s_delay_alu instid0(VALU_DEP_2) | instskip(NEXT) | instid1(VALU_DEP_2)
	v_pk_fma_f32 v[20:21], v[26:27], v[36:37], v[20:21] op_sel_hi:[1,0,1]
	v_pk_fma_f32 v[14:15], v[26:27], v[40:41], v[14:15] op_sel_hi:[1,0,1]
	s_delay_alu instid0(VALU_DEP_2) | instskip(NEXT) | instid1(VALU_DEP_2)
	v_pk_fma_f32 v[20:21], v[28:29], v[30:31], v[20:21] op_sel_hi:[1,0,1]
	v_pk_fma_f32 v[14:15], v[28:29], v[32:33], v[14:15] op_sel_hi:[1,0,1]
	s_cbranch_scc0 .LBB22_13
.LBB22_9:                               ;   Parent Loop BB22_6 Depth=1
                                        ; =>  This Inner Loop Header: Depth=2
	v_add_nc_u32_e32 v26, s14, v22
	s_delay_alu instid0(VALU_DEP_1) | instskip(SKIP_2) | instid1(SALU_CYCLE_1)
	v_cmp_gt_i32_e32 vcc_lo, s9, v26
	v_mov_b32_e32 v26, 0
	s_and_b32 s17, s0, vcc_lo
	s_and_saveexec_b32 s15, s17
	s_cbranch_execz .LBB22_11
; %bb.10:                               ;   in Loop: Header=BB22_9 Depth=2
	global_load_b32 v26, v[16:17], off
.LBB22_11:                              ;   in Loop: Header=BB22_9 Depth=2
	s_wait_xcnt 0x0
	s_or_b32 exec_lo, exec_lo, s15
	v_add_nc_u32_e32 v27, s14, v0
	s_wait_loadcnt 0x0
	ds_store_b32 v1, v26
	v_cmp_gt_i32_e32 vcc_lo, s9, v27
	v_mov_b32_e32 v27, 0
	s_and_b32 s17, vcc_lo, s1
	s_delay_alu instid0(SALU_CYCLE_1)
	s_and_saveexec_b32 s15, s17
	s_cbranch_execz .LBB22_8
; %bb.12:                               ;   in Loop: Header=BB22_9 Depth=2
	global_load_b32 v27, v[18:19], off
	s_branch .LBB22_8
.LBB22_13:                              ;   in Loop: Header=BB22_6 Depth=1
	s_mul_u64 s[14:15], s[22:23], s[20:21]
	s_delay_alu instid0(SALU_CYCLE_1) | instskip(NEXT) | instid1(SALU_CYCLE_1)
	s_lshl_b64 s[14:15], s[14:15], 2
	s_add_nc_u64 s[14:15], s[12:13], s[14:15]
	s_delay_alu instid0(SALU_CYCLE_1)
	v_lshl_add_u64 v[16:17], v[4:5], 2, s[14:15]
	s_and_saveexec_b32 s17, s28
	s_cbranch_execz .LBB22_17
; %bb.14:                               ;   in Loop: Header=BB22_6 Depth=1
	v_mul_f32_e32 v20, s10, v20
	s_delay_alu instid0(VALU_DEP_2)
	v_lshl_add_u64 v[18:19], v[2:3], 2, v[16:17]
	s_and_b32 vcc_lo, exec_lo, s18
	s_cbranch_vccz .LBB22_28
; %bb.15:                               ;   in Loop: Header=BB22_6 Depth=1
	global_load_b32 v26, v[18:19], off
	s_wait_loadcnt 0x0
	v_fma_f32 v26, s11, v26, v20
	global_store_b32 v[18:19], v26, off
	s_cbranch_execnz .LBB22_17
.LBB22_16:                              ;   in Loop: Header=BB22_6 Depth=1
	global_store_b32 v[18:19], v20, off
.LBB22_17:                              ;   in Loop: Header=BB22_6 Depth=1
	s_wait_xcnt 0x0
	s_or_b32 exec_lo, exec_lo, s17
	s_and_saveexec_b32 s17, s29
	s_cbranch_execz .LBB22_21
; %bb.18:                               ;   in Loop: Header=BB22_6 Depth=1
	v_mul_f32_e32 v18, s10, v21
	v_lshl_add_u64 v[16:17], v[8:9], 2, v[16:17]
	s_and_not1_b32 vcc_lo, exec_lo, s18
	s_cbranch_vccnz .LBB22_29
; %bb.19:                               ;   in Loop: Header=BB22_6 Depth=1
	global_load_b32 v19, v[16:17], off
	s_wait_loadcnt 0x0
	v_fma_f32 v19, s11, v19, v18
	global_store_b32 v[16:17], v19, off
	s_cbranch_execnz .LBB22_21
.LBB22_20:                              ;   in Loop: Header=BB22_6 Depth=1
	global_store_b32 v[16:17], v18, off
.LBB22_21:                              ;   in Loop: Header=BB22_6 Depth=1
	s_wait_xcnt 0x0
	s_or_b32 exec_lo, exec_lo, s17
	v_lshl_add_u64 v[16:17], v[6:7], 2, s[14:15]
	s_and_saveexec_b32 s14, s8
	s_cbranch_execz .LBB22_25
; %bb.22:                               ;   in Loop: Header=BB22_6 Depth=1
	v_mul_f32_e32 v14, s10, v14
	s_delay_alu instid0(VALU_DEP_2)
	v_lshl_add_u64 v[18:19], v[2:3], 2, v[16:17]
	s_and_not1_b32 vcc_lo, exec_lo, s18
	s_cbranch_vccnz .LBB22_30
; %bb.23:                               ;   in Loop: Header=BB22_6 Depth=1
	global_load_b32 v20, v[18:19], off
	s_wait_loadcnt 0x0
	v_fma_f32 v20, s11, v20, v14
	global_store_b32 v[18:19], v20, off
	s_cbranch_execnz .LBB22_25
.LBB22_24:                              ;   in Loop: Header=BB22_6 Depth=1
	global_store_b32 v[18:19], v14, off
.LBB22_25:                              ;   in Loop: Header=BB22_6 Depth=1
	s_wait_xcnt 0x0
	s_or_b32 exec_lo, exec_lo, s14
	s_and_saveexec_b32 s14, s30
	s_cbranch_execz .LBB22_5
; %bb.26:                               ;   in Loop: Header=BB22_6 Depth=1
	v_mul_f32_e32 v18, s10, v15
	v_lshl_add_u64 v[14:15], v[8:9], 2, v[16:17]
	s_and_not1_b32 vcc_lo, exec_lo, s18
	s_cbranch_vccnz .LBB22_31
; %bb.27:                               ;   in Loop: Header=BB22_6 Depth=1
	global_load_b32 v16, v[14:15], off
	s_wait_loadcnt 0x0
	v_fma_f32 v16, s11, v16, v18
	global_store_b32 v[14:15], v16, off
	s_cbranch_execnz .LBB22_5
	s_branch .LBB22_32
.LBB22_28:                              ;   in Loop: Header=BB22_6 Depth=1
	s_branch .LBB22_16
.LBB22_29:                              ;   in Loop: Header=BB22_6 Depth=1
	s_branch .LBB22_20
.LBB22_30:                              ;   in Loop: Header=BB22_6 Depth=1
	s_branch .LBB22_24
.LBB22_31:                              ;   in Loop: Header=BB22_6 Depth=1
.LBB22_32:                              ;   in Loop: Header=BB22_6 Depth=1
	global_store_b32 v[14:15], v18, off
	s_branch .LBB22_5
.LBB22_33:
	s_endpgm
	.section	.rodata,"a",@progbits
	.p2align	6, 0x0
	.amdhsa_kernel _ZL29rocblas_internal_gemmt_kernelIiLi16ELi32ELi8ELc84ELc84ELc85ELb0ELb0EffPKfPfEviT_T9_T10_S3_lS5_S3_lS4_T11_S3_li
		.amdhsa_group_segment_fixed_size 2048
		.amdhsa_private_segment_fixed_size 0
		.amdhsa_kernarg_size 100
		.amdhsa_user_sgpr_count 2
		.amdhsa_user_sgpr_dispatch_ptr 0
		.amdhsa_user_sgpr_queue_ptr 0
		.amdhsa_user_sgpr_kernarg_segment_ptr 1
		.amdhsa_user_sgpr_dispatch_id 0
		.amdhsa_user_sgpr_kernarg_preload_length 0
		.amdhsa_user_sgpr_kernarg_preload_offset 0
		.amdhsa_user_sgpr_private_segment_size 0
		.amdhsa_wavefront_size32 1
		.amdhsa_uses_dynamic_stack 0
		.amdhsa_enable_private_segment 0
		.amdhsa_system_sgpr_workgroup_id_x 1
		.amdhsa_system_sgpr_workgroup_id_y 1
		.amdhsa_system_sgpr_workgroup_id_z 1
		.amdhsa_system_sgpr_workgroup_info 0
		.amdhsa_system_vgpr_workitem_id 1
		.amdhsa_next_free_vgpr 52
		.amdhsa_next_free_sgpr 31
		.amdhsa_named_barrier_count 0
		.amdhsa_reserve_vcc 1
		.amdhsa_float_round_mode_32 0
		.amdhsa_float_round_mode_16_64 0
		.amdhsa_float_denorm_mode_32 3
		.amdhsa_float_denorm_mode_16_64 3
		.amdhsa_fp16_overflow 0
		.amdhsa_memory_ordered 1
		.amdhsa_forward_progress 1
		.amdhsa_inst_pref_size 13
		.amdhsa_round_robin_scheduling 0
		.amdhsa_exception_fp_ieee_invalid_op 0
		.amdhsa_exception_fp_denorm_src 0
		.amdhsa_exception_fp_ieee_div_zero 0
		.amdhsa_exception_fp_ieee_overflow 0
		.amdhsa_exception_fp_ieee_underflow 0
		.amdhsa_exception_fp_ieee_inexact 0
		.amdhsa_exception_int_div_zero 0
	.end_amdhsa_kernel
	.section	.text._ZL29rocblas_internal_gemmt_kernelIiLi16ELi32ELi8ELc84ELc84ELc85ELb0ELb0EffPKfPfEviT_T9_T10_S3_lS5_S3_lS4_T11_S3_li,"axG",@progbits,_ZL29rocblas_internal_gemmt_kernelIiLi16ELi32ELi8ELc84ELc84ELc85ELb0ELb0EffPKfPfEviT_T9_T10_S3_lS5_S3_lS4_T11_S3_li,comdat
.Lfunc_end22:
	.size	_ZL29rocblas_internal_gemmt_kernelIiLi16ELi32ELi8ELc84ELc84ELc85ELb0ELb0EffPKfPfEviT_T9_T10_S3_lS5_S3_lS4_T11_S3_li, .Lfunc_end22-_ZL29rocblas_internal_gemmt_kernelIiLi16ELi32ELi8ELc84ELc84ELc85ELb0ELb0EffPKfPfEviT_T9_T10_S3_lS5_S3_lS4_T11_S3_li
                                        ; -- End function
	.set _ZL29rocblas_internal_gemmt_kernelIiLi16ELi32ELi8ELc84ELc84ELc85ELb0ELb0EffPKfPfEviT_T9_T10_S3_lS5_S3_lS4_T11_S3_li.num_vgpr, 52
	.set _ZL29rocblas_internal_gemmt_kernelIiLi16ELi32ELi8ELc84ELc84ELc85ELb0ELb0EffPKfPfEviT_T9_T10_S3_lS5_S3_lS4_T11_S3_li.num_agpr, 0
	.set _ZL29rocblas_internal_gemmt_kernelIiLi16ELi32ELi8ELc84ELc84ELc85ELb0ELb0EffPKfPfEviT_T9_T10_S3_lS5_S3_lS4_T11_S3_li.numbered_sgpr, 31
	.set _ZL29rocblas_internal_gemmt_kernelIiLi16ELi32ELi8ELc84ELc84ELc85ELb0ELb0EffPKfPfEviT_T9_T10_S3_lS5_S3_lS4_T11_S3_li.num_named_barrier, 0
	.set _ZL29rocblas_internal_gemmt_kernelIiLi16ELi32ELi8ELc84ELc84ELc85ELb0ELb0EffPKfPfEviT_T9_T10_S3_lS5_S3_lS4_T11_S3_li.private_seg_size, 0
	.set _ZL29rocblas_internal_gemmt_kernelIiLi16ELi32ELi8ELc84ELc84ELc85ELb0ELb0EffPKfPfEviT_T9_T10_S3_lS5_S3_lS4_T11_S3_li.uses_vcc, 1
	.set _ZL29rocblas_internal_gemmt_kernelIiLi16ELi32ELi8ELc84ELc84ELc85ELb0ELb0EffPKfPfEviT_T9_T10_S3_lS5_S3_lS4_T11_S3_li.uses_flat_scratch, 0
	.set _ZL29rocblas_internal_gemmt_kernelIiLi16ELi32ELi8ELc84ELc84ELc85ELb0ELb0EffPKfPfEviT_T9_T10_S3_lS5_S3_lS4_T11_S3_li.has_dyn_sized_stack, 0
	.set _ZL29rocblas_internal_gemmt_kernelIiLi16ELi32ELi8ELc84ELc84ELc85ELb0ELb0EffPKfPfEviT_T9_T10_S3_lS5_S3_lS4_T11_S3_li.has_recursion, 0
	.set _ZL29rocblas_internal_gemmt_kernelIiLi16ELi32ELi8ELc84ELc84ELc85ELb0ELb0EffPKfPfEviT_T9_T10_S3_lS5_S3_lS4_T11_S3_li.has_indirect_call, 0
	.section	.AMDGPU.csdata,"",@progbits
; Kernel info:
; codeLenInByte = 1640
; TotalNumSgprs: 33
; NumVgprs: 52
; ScratchSize: 0
; MemoryBound: 0
; FloatMode: 240
; IeeeMode: 1
; LDSByteSize: 2048 bytes/workgroup (compile time only)
; SGPRBlocks: 0
; VGPRBlocks: 3
; NumSGPRsForWavesPerEU: 33
; NumVGPRsForWavesPerEU: 52
; NamedBarCnt: 0
; Occupancy: 16
; WaveLimiterHint : 0
; COMPUTE_PGM_RSRC2:SCRATCH_EN: 0
; COMPUTE_PGM_RSRC2:USER_SGPR: 2
; COMPUTE_PGM_RSRC2:TRAP_HANDLER: 0
; COMPUTE_PGM_RSRC2:TGID_X_EN: 1
; COMPUTE_PGM_RSRC2:TGID_Y_EN: 1
; COMPUTE_PGM_RSRC2:TGID_Z_EN: 1
; COMPUTE_PGM_RSRC2:TIDIG_COMP_CNT: 1
	.section	.text._ZL29rocblas_internal_gemmt_kernelIiLi16ELi32ELi8ELc84ELc67ELc85ELb0ELb0EffPKfPfEviT_T9_T10_S3_lS5_S3_lS4_T11_S3_li,"axG",@progbits,_ZL29rocblas_internal_gemmt_kernelIiLi16ELi32ELi8ELc84ELc67ELc85ELb0ELb0EffPKfPfEviT_T9_T10_S3_lS5_S3_lS4_T11_S3_li,comdat
	.globl	_ZL29rocblas_internal_gemmt_kernelIiLi16ELi32ELi8ELc84ELc67ELc85ELb0ELb0EffPKfPfEviT_T9_T10_S3_lS5_S3_lS4_T11_S3_li ; -- Begin function _ZL29rocblas_internal_gemmt_kernelIiLi16ELi32ELi8ELc84ELc67ELc85ELb0ELb0EffPKfPfEviT_T9_T10_S3_lS5_S3_lS4_T11_S3_li
	.p2align	8
	.type	_ZL29rocblas_internal_gemmt_kernelIiLi16ELi32ELi8ELc84ELc67ELc85ELb0ELb0EffPKfPfEviT_T9_T10_S3_lS5_S3_lS4_T11_S3_li,@function
_ZL29rocblas_internal_gemmt_kernelIiLi16ELi32ELi8ELc84ELc67ELc85ELb0ELb0EffPKfPfEviT_T9_T10_S3_lS5_S3_lS4_T11_S3_li: ; @_ZL29rocblas_internal_gemmt_kernelIiLi16ELi32ELi8ELc84ELc67ELc85ELb0ELb0EffPKfPfEviT_T9_T10_S3_lS5_S3_lS4_T11_S3_li
; %bb.0:
	s_clause 0x1
	s_load_b32 s11, s[0:1], 0x40
	s_load_b96 s[8:10], s[0:1], 0x0
	s_wait_kmcnt 0x0
	s_cmp_neq_f32 s11, 1.0
	s_cselect_b32 s2, -1, 0
	s_delay_alu instid0(SALU_CYCLE_1)
	s_and_b32 vcc_lo, exec_lo, s2
	s_cbranch_vccnz .LBB23_2
; %bb.1:
	s_cmp_lg_u32 s9, 0
	s_cselect_b32 s2, -1, 0
	s_cmp_neq_f32 s10, 0
	s_cselect_b32 s3, -1, 0
	s_delay_alu instid0(SALU_CYCLE_1)
	s_and_b32 s2, s2, s3
.LBB23_2:
	s_delay_alu instid0(SALU_CYCLE_1)
	s_and_not1_b32 vcc_lo, exec_lo, s2
	s_cbranch_vccnz .LBB23_33
; %bb.3:
	s_load_b32 s19, s[0:1], 0x60
	s_bfe_u32 s2, ttmp6, 0x40014
	s_lshr_b32 s3, ttmp7, 16
	s_add_co_i32 s2, s2, 1
	s_bfe_u32 s5, ttmp6, 0x40008
	s_mul_i32 s4, s3, s2
	s_getreg_b32 s2, hwreg(HW_REG_IB_STS2, 6, 4)
	s_add_co_i32 s5, s5, s4
	s_cmp_eq_u32 s2, 0
	s_mov_b32 s21, 0
	s_cselect_b32 s20, s3, s5
	s_wait_kmcnt 0x0
	s_cmp_ge_u32 s20, s19
	s_cbranch_scc1 .LBB23_33
; %bb.4:
	s_clause 0x2
	s_load_b96 s[16:18], s[0:1], 0x10
	s_load_b32 s24, s[0:1], 0x30
	s_load_b96 s[12:14], s[0:1], 0x48
	v_and_b32_e32 v9, 0x3ff, v0
	v_bfe_u32 v10, v0, 10, 10
	s_clause 0x2
	s_load_b128 s[4:7], s[0:1], 0x20
	s_load_b64 s[26:27], s[0:1], 0x38
	s_load_b64 s[22:23], s[0:1], 0x58
	s_wait_xcnt 0x0
	s_bfe_u32 s0, ttmp6, 0x4000c
	s_bfe_u32 s1, ttmp6, 0x40010
	s_and_b32 s28, ttmp7, 0xffff
	s_add_co_i32 s29, s0, 1
	s_add_co_i32 s30, s1, 1
	v_lshl_add_u32 v1, v10, 4, v9
	s_and_b32 s15, ttmp6, 15
	v_and_b32_e32 v0, 7, v0
	v_lshl_add_u32 v25, v10, 5, 0x400
	s_delay_alu instid0(VALU_DEP_3)
	v_dual_mov_b32 v11, 0 :: v_dual_bitop2_b32 v4, 31, v1 bitop3:0x40
	v_dual_lshrrev_b32 v5, 3, v1 :: v_dual_lshrrev_b32 v22, 5, v1
	s_wait_kmcnt 0x0
	s_ashr_i32 s1, s18, 31
	s_mov_b32 s0, s18
	s_mul_i32 s18, ttmp9, s29
	s_mul_i32 s29, s28, s30
	s_bfe_u32 s30, ttmp6, 0x40004
	s_ashr_i32 s25, s24, 31
	s_ashr_i32 s3, s14, 31
	s_add_co_i32 s15, s15, s18
	s_add_co_i32 s30, s30, s29
	s_cmp_eq_u32 s2, 0
	s_cselect_b32 s2, ttmp9, s15
	s_cselect_b32 s15, s28, s30
	s_lshl_b32 s18, s2, 5
	s_lshl_b32 s15, s15, 5
	s_delay_alu instid0(SALU_CYCLE_1) | instskip(SKIP_1) | instid1(VALU_DEP_2)
	v_dual_add_nc_u32 v12, s15, v5 :: v_dual_bitop2_b32 v2, s18, v4 bitop3:0x54
	v_dual_mov_b32 v1, v11 :: v_dual_add_nc_u32 v14, s15, v10
	v_dual_lshlrev_b32 v4, 2, v4 :: v_dual_ashrrev_i32 v3, 31, v2
	s_mov_b32 s2, s14
	s_delay_alu instid0(VALU_DEP_2) | instskip(NEXT) | instid1(VALU_DEP_3)
	v_mul_u64_e32 v[18:19], s[24:25], v[0:1]
	v_dual_add_nc_u32 v20, 16, v14 :: v_dual_ashrrev_i32 v15, 31, v14
	s_delay_alu instid0(VALU_DEP_3) | instskip(SKIP_2) | instid1(VALU_DEP_4)
	v_mul_u64_e32 v[16:17], s[0:1], v[2:3]
	v_lshlrev_b32_e32 v3, 2, v0
	v_cmp_gt_i32_e64 s0, s8, v2
	v_dual_ashrrev_i32 v21, 31, v20 :: v_dual_add_nc_u32 v2, s18, v9
	v_lshl_or_b32 v1, v22, 7, v4
	s_delay_alu instid0(VALU_DEP_4) | instskip(SKIP_1) | instid1(VALU_DEP_4)
	v_lshl_or_b32 v3, v5, 5, v3
	v_mul_u64_e32 v[4:5], s[2:3], v[14:15]
	v_mul_u64_e32 v[6:7], s[2:3], v[20:21]
	v_dual_ashrrev_i32 v13, 31, v12 :: v_dual_add_nc_u32 v8, 16, v2
	v_cmp_gt_i32_e64 s1, s8, v12
	s_cmp_neq_f32 s10, 0
	v_lshlrev_b32_e32 v10, 2, v22
	v_lshlrev_b64_e32 v[12:13], 2, v[12:13]
	v_cmp_gt_i32_e32 vcc_lo, s8, v14
	s_cselect_b32 s14, -1, 0
	s_cmp_gt_i32 s9, 0
	v_cmp_le_i32_e64 s2, v2, v14
	v_lshlrev_b32_e32 v24, 2, v9
	v_cmp_le_i32_e64 s3, v8, v14
	v_ashrrev_i32_e32 v9, 31, v8
	s_cselect_b32 s15, -1, 0
	s_cmp_neq_f32 s11, 0
	v_add_nc_u32_e32 v23, 0x400, v3
	v_ashrrev_i32_e32 v3, 31, v2
	s_cselect_b32 s18, -1, 0
	s_and_b32 s28, vcc_lo, s2
	v_lshl_add_u64 v[12:13], v[18:19], 2, v[12:13]
	s_and_b32 s29, vcc_lo, s3
	v_cmp_gt_i32_e32 vcc_lo, s8, v20
	v_lshl_add_u64 v[10:11], v[16:17], 2, v[10:11]
	v_cmp_le_i32_e64 s2, v2, v20
	v_cmp_le_i32_e64 s3, v8, v20
	v_add_nc_u64_e32 v[12:13], s[6:7], v[12:13]
	s_lshl_b64 s[6:7], s[24:25], 5
	v_add_nc_u64_e32 v[10:11], s[16:17], v[10:11]
	s_and_b32 s8, vcc_lo, s2
	s_and_b32 s30, vcc_lo, s3
	s_and_b32 s16, s14, s15
	s_lshl_b64 s[2:3], s[4:5], 2
	s_lshl_b64 s[4:5], s[26:27], 2
	s_branch .LBB23_6
.LBB23_5:                               ;   in Loop: Header=BB23_6 Depth=1
	s_wait_xcnt 0x0
	s_or_b32 exec_lo, exec_lo, s14
	s_add_co_i32 s20, s20, 0x10000
	s_delay_alu instid0(SALU_CYCLE_1)
	s_cmp_lt_u32 s20, s19
	s_cbranch_scc0 .LBB23_33
.LBB23_6:                               ; =>This Loop Header: Depth=1
                                        ;     Child Loop BB23_9 Depth 2
	v_dual_mov_b32 v21, 0 :: v_dual_mov_b32 v20, 0
	v_dual_mov_b32 v15, 0 :: v_dual_mov_b32 v14, 0
	s_and_not1_b32 vcc_lo, exec_lo, s16
	s_cbranch_vccnz .LBB23_13
; %bb.7:                                ;   in Loop: Header=BB23_6 Depth=1
	v_mad_nc_u64_u32 v[16:17], s2, s20, v[10:11]
	v_mad_nc_u64_u32 v[18:19], s4, s20, v[12:13]
	v_mov_b32_e32 v14, 0
	s_mov_b32 s14, 0
	s_delay_alu instid0(VALU_DEP_1)
	v_dual_mov_b32 v15, v14 :: v_dual_mov_b32 v20, v14
	v_mov_b32_e32 v21, v14
	v_mad_u32 v17, s3, s20, v17
	v_mad_u32 v19, s5, s20, v19
	s_branch .LBB23_9
.LBB23_8:                               ;   in Loop: Header=BB23_9 Depth=2
	s_wait_xcnt 0x0
	s_or_b32 exec_lo, exec_lo, s15
	s_wait_loadcnt 0x0
	ds_store_b32 v23, v27
	s_wait_dscnt 0x0
	s_barrier_signal -1
	s_barrier_wait -1
	ds_load_b128 v[26:29], v25
	ds_load_2addr_b32 v[42:43], v24 offset1:16
	ds_load_b128 v[30:33], v25 offset:512
	ds_load_2addr_b32 v[44:45], v24 offset0:32 offset1:48
	ds_load_2addr_b32 v[46:47], v24 offset0:64 offset1:80
	;; [unrolled: 1-line block ×3, first 2 shown]
	ds_load_b128 v[34:37], v25 offset:16
	ds_load_2addr_b32 v[50:51], v24 offset0:128 offset1:144
	ds_load_b128 v[38:41], v25 offset:528
	v_add_nc_u64_e32 v[16:17], 32, v[16:17]
	v_add_nc_u64_e32 v[18:19], s[6:7], v[18:19]
	s_add_co_i32 s14, s14, 8
	s_delay_alu instid0(SALU_CYCLE_1)
	s_cmp_lt_i32 s14, s9
	s_wait_dscnt 0x7
	v_pk_fma_f32 v[20:21], v[42:43], v[26:27], v[20:21] op_sel_hi:[1,0,1]
	s_wait_dscnt 0x6
	v_pk_fma_f32 v[14:15], v[42:43], v[30:31], v[14:15] op_sel_hi:[1,0,1]
	ds_load_2addr_b32 v[42:43], v24 offset0:160 offset1:176
	s_wait_dscnt 0x6
	v_pk_fma_f32 v[20:21], v[44:45], v[26:27], v[20:21] op_sel:[0,1,0]
	v_pk_fma_f32 v[14:15], v[44:45], v[30:31], v[14:15] op_sel:[0,1,0]
	ds_load_2addr_b32 v[26:27], v24 offset0:192 offset1:208
	v_dual_mov_b32 v30, v29 :: v_dual_mov_b32 v44, v33
	s_wait_dscnt 0x6
	v_pk_fma_f32 v[20:21], v[46:47], v[28:29], v[20:21] op_sel_hi:[1,0,1]
	v_pk_fma_f32 v[14:15], v[46:47], v[32:33], v[14:15] op_sel_hi:[1,0,1]
	ds_load_2addr_b32 v[28:29], v24 offset0:224 offset1:240
	s_wait_dscnt 0x3
	v_mov_b32_e32 v32, v41
	s_wait_dscnt 0x0
	v_pk_fma_f32 v[20:21], v[48:49], v[30:31], v[20:21] op_sel_hi:[1,0,1]
	v_pk_fma_f32 v[14:15], v[48:49], v[44:45], v[14:15] op_sel_hi:[1,0,1]
	v_mov_b32_e32 v30, v37
	s_barrier_signal -1
	s_barrier_wait -1
	v_pk_fma_f32 v[20:21], v[50:51], v[34:35], v[20:21] op_sel_hi:[1,0,1]
	v_pk_fma_f32 v[14:15], v[50:51], v[38:39], v[14:15] op_sel_hi:[1,0,1]
	s_delay_alu instid0(VALU_DEP_2) | instskip(NEXT) | instid1(VALU_DEP_2)
	v_pk_fma_f32 v[20:21], v[42:43], v[34:35], v[20:21] op_sel:[0,1,0]
	v_pk_fma_f32 v[14:15], v[42:43], v[38:39], v[14:15] op_sel:[0,1,0]
	s_delay_alu instid0(VALU_DEP_2) | instskip(NEXT) | instid1(VALU_DEP_2)
	v_pk_fma_f32 v[20:21], v[26:27], v[36:37], v[20:21] op_sel_hi:[1,0,1]
	v_pk_fma_f32 v[14:15], v[26:27], v[40:41], v[14:15] op_sel_hi:[1,0,1]
	s_delay_alu instid0(VALU_DEP_2) | instskip(NEXT) | instid1(VALU_DEP_2)
	v_pk_fma_f32 v[20:21], v[28:29], v[30:31], v[20:21] op_sel_hi:[1,0,1]
	v_pk_fma_f32 v[14:15], v[28:29], v[32:33], v[14:15] op_sel_hi:[1,0,1]
	s_cbranch_scc0 .LBB23_13
.LBB23_9:                               ;   Parent Loop BB23_6 Depth=1
                                        ; =>  This Inner Loop Header: Depth=2
	v_add_nc_u32_e32 v26, s14, v22
	s_delay_alu instid0(VALU_DEP_1) | instskip(SKIP_2) | instid1(SALU_CYCLE_1)
	v_cmp_gt_i32_e32 vcc_lo, s9, v26
	v_mov_b32_e32 v26, 0
	s_and_b32 s17, s0, vcc_lo
	s_and_saveexec_b32 s15, s17
	s_cbranch_execz .LBB23_11
; %bb.10:                               ;   in Loop: Header=BB23_9 Depth=2
	global_load_b32 v26, v[16:17], off
.LBB23_11:                              ;   in Loop: Header=BB23_9 Depth=2
	s_wait_xcnt 0x0
	s_or_b32 exec_lo, exec_lo, s15
	v_add_nc_u32_e32 v27, s14, v0
	s_wait_loadcnt 0x0
	ds_store_b32 v1, v26
	v_cmp_gt_i32_e32 vcc_lo, s9, v27
	v_mov_b32_e32 v27, 0
	s_and_b32 s17, vcc_lo, s1
	s_delay_alu instid0(SALU_CYCLE_1)
	s_and_saveexec_b32 s15, s17
	s_cbranch_execz .LBB23_8
; %bb.12:                               ;   in Loop: Header=BB23_9 Depth=2
	global_load_b32 v27, v[18:19], off
	s_branch .LBB23_8
.LBB23_13:                              ;   in Loop: Header=BB23_6 Depth=1
	s_mul_u64 s[14:15], s[22:23], s[20:21]
	s_delay_alu instid0(SALU_CYCLE_1) | instskip(NEXT) | instid1(SALU_CYCLE_1)
	s_lshl_b64 s[14:15], s[14:15], 2
	s_add_nc_u64 s[14:15], s[12:13], s[14:15]
	s_delay_alu instid0(SALU_CYCLE_1)
	v_lshl_add_u64 v[16:17], v[4:5], 2, s[14:15]
	s_and_saveexec_b32 s17, s28
	s_cbranch_execz .LBB23_17
; %bb.14:                               ;   in Loop: Header=BB23_6 Depth=1
	v_mul_f32_e32 v20, s10, v20
	s_delay_alu instid0(VALU_DEP_2)
	v_lshl_add_u64 v[18:19], v[2:3], 2, v[16:17]
	s_and_b32 vcc_lo, exec_lo, s18
	s_cbranch_vccz .LBB23_28
; %bb.15:                               ;   in Loop: Header=BB23_6 Depth=1
	global_load_b32 v26, v[18:19], off
	s_wait_loadcnt 0x0
	v_fma_f32 v26, s11, v26, v20
	global_store_b32 v[18:19], v26, off
	s_cbranch_execnz .LBB23_17
.LBB23_16:                              ;   in Loop: Header=BB23_6 Depth=1
	global_store_b32 v[18:19], v20, off
.LBB23_17:                              ;   in Loop: Header=BB23_6 Depth=1
	s_wait_xcnt 0x0
	s_or_b32 exec_lo, exec_lo, s17
	s_and_saveexec_b32 s17, s29
	s_cbranch_execz .LBB23_21
; %bb.18:                               ;   in Loop: Header=BB23_6 Depth=1
	v_mul_f32_e32 v18, s10, v21
	v_lshl_add_u64 v[16:17], v[8:9], 2, v[16:17]
	s_and_not1_b32 vcc_lo, exec_lo, s18
	s_cbranch_vccnz .LBB23_29
; %bb.19:                               ;   in Loop: Header=BB23_6 Depth=1
	global_load_b32 v19, v[16:17], off
	s_wait_loadcnt 0x0
	v_fma_f32 v19, s11, v19, v18
	global_store_b32 v[16:17], v19, off
	s_cbranch_execnz .LBB23_21
.LBB23_20:                              ;   in Loop: Header=BB23_6 Depth=1
	global_store_b32 v[16:17], v18, off
.LBB23_21:                              ;   in Loop: Header=BB23_6 Depth=1
	s_wait_xcnt 0x0
	s_or_b32 exec_lo, exec_lo, s17
	v_lshl_add_u64 v[16:17], v[6:7], 2, s[14:15]
	s_and_saveexec_b32 s14, s8
	s_cbranch_execz .LBB23_25
; %bb.22:                               ;   in Loop: Header=BB23_6 Depth=1
	v_mul_f32_e32 v14, s10, v14
	s_delay_alu instid0(VALU_DEP_2)
	v_lshl_add_u64 v[18:19], v[2:3], 2, v[16:17]
	s_and_not1_b32 vcc_lo, exec_lo, s18
	s_cbranch_vccnz .LBB23_30
; %bb.23:                               ;   in Loop: Header=BB23_6 Depth=1
	global_load_b32 v20, v[18:19], off
	s_wait_loadcnt 0x0
	v_fma_f32 v20, s11, v20, v14
	global_store_b32 v[18:19], v20, off
	s_cbranch_execnz .LBB23_25
.LBB23_24:                              ;   in Loop: Header=BB23_6 Depth=1
	global_store_b32 v[18:19], v14, off
.LBB23_25:                              ;   in Loop: Header=BB23_6 Depth=1
	s_wait_xcnt 0x0
	s_or_b32 exec_lo, exec_lo, s14
	s_and_saveexec_b32 s14, s30
	s_cbranch_execz .LBB23_5
; %bb.26:                               ;   in Loop: Header=BB23_6 Depth=1
	v_mul_f32_e32 v18, s10, v15
	v_lshl_add_u64 v[14:15], v[8:9], 2, v[16:17]
	s_and_not1_b32 vcc_lo, exec_lo, s18
	s_cbranch_vccnz .LBB23_31
; %bb.27:                               ;   in Loop: Header=BB23_6 Depth=1
	global_load_b32 v16, v[14:15], off
	s_wait_loadcnt 0x0
	v_fma_f32 v16, s11, v16, v18
	global_store_b32 v[14:15], v16, off
	s_cbranch_execnz .LBB23_5
	s_branch .LBB23_32
.LBB23_28:                              ;   in Loop: Header=BB23_6 Depth=1
	s_branch .LBB23_16
.LBB23_29:                              ;   in Loop: Header=BB23_6 Depth=1
	s_branch .LBB23_20
.LBB23_30:                              ;   in Loop: Header=BB23_6 Depth=1
	s_branch .LBB23_24
.LBB23_31:                              ;   in Loop: Header=BB23_6 Depth=1
.LBB23_32:                              ;   in Loop: Header=BB23_6 Depth=1
	global_store_b32 v[14:15], v18, off
	s_branch .LBB23_5
.LBB23_33:
	s_endpgm
	.section	.rodata,"a",@progbits
	.p2align	6, 0x0
	.amdhsa_kernel _ZL29rocblas_internal_gemmt_kernelIiLi16ELi32ELi8ELc84ELc67ELc85ELb0ELb0EffPKfPfEviT_T9_T10_S3_lS5_S3_lS4_T11_S3_li
		.amdhsa_group_segment_fixed_size 2048
		.amdhsa_private_segment_fixed_size 0
		.amdhsa_kernarg_size 100
		.amdhsa_user_sgpr_count 2
		.amdhsa_user_sgpr_dispatch_ptr 0
		.amdhsa_user_sgpr_queue_ptr 0
		.amdhsa_user_sgpr_kernarg_segment_ptr 1
		.amdhsa_user_sgpr_dispatch_id 0
		.amdhsa_user_sgpr_kernarg_preload_length 0
		.amdhsa_user_sgpr_kernarg_preload_offset 0
		.amdhsa_user_sgpr_private_segment_size 0
		.amdhsa_wavefront_size32 1
		.amdhsa_uses_dynamic_stack 0
		.amdhsa_enable_private_segment 0
		.amdhsa_system_sgpr_workgroup_id_x 1
		.amdhsa_system_sgpr_workgroup_id_y 1
		.amdhsa_system_sgpr_workgroup_id_z 1
		.amdhsa_system_sgpr_workgroup_info 0
		.amdhsa_system_vgpr_workitem_id 1
		.amdhsa_next_free_vgpr 52
		.amdhsa_next_free_sgpr 31
		.amdhsa_named_barrier_count 0
		.amdhsa_reserve_vcc 1
		.amdhsa_float_round_mode_32 0
		.amdhsa_float_round_mode_16_64 0
		.amdhsa_float_denorm_mode_32 3
		.amdhsa_float_denorm_mode_16_64 3
		.amdhsa_fp16_overflow 0
		.amdhsa_memory_ordered 1
		.amdhsa_forward_progress 1
		.amdhsa_inst_pref_size 13
		.amdhsa_round_robin_scheduling 0
		.amdhsa_exception_fp_ieee_invalid_op 0
		.amdhsa_exception_fp_denorm_src 0
		.amdhsa_exception_fp_ieee_div_zero 0
		.amdhsa_exception_fp_ieee_overflow 0
		.amdhsa_exception_fp_ieee_underflow 0
		.amdhsa_exception_fp_ieee_inexact 0
		.amdhsa_exception_int_div_zero 0
	.end_amdhsa_kernel
	.section	.text._ZL29rocblas_internal_gemmt_kernelIiLi16ELi32ELi8ELc84ELc67ELc85ELb0ELb0EffPKfPfEviT_T9_T10_S3_lS5_S3_lS4_T11_S3_li,"axG",@progbits,_ZL29rocblas_internal_gemmt_kernelIiLi16ELi32ELi8ELc84ELc67ELc85ELb0ELb0EffPKfPfEviT_T9_T10_S3_lS5_S3_lS4_T11_S3_li,comdat
.Lfunc_end23:
	.size	_ZL29rocblas_internal_gemmt_kernelIiLi16ELi32ELi8ELc84ELc67ELc85ELb0ELb0EffPKfPfEviT_T9_T10_S3_lS5_S3_lS4_T11_S3_li, .Lfunc_end23-_ZL29rocblas_internal_gemmt_kernelIiLi16ELi32ELi8ELc84ELc67ELc85ELb0ELb0EffPKfPfEviT_T9_T10_S3_lS5_S3_lS4_T11_S3_li
                                        ; -- End function
	.set _ZL29rocblas_internal_gemmt_kernelIiLi16ELi32ELi8ELc84ELc67ELc85ELb0ELb0EffPKfPfEviT_T9_T10_S3_lS5_S3_lS4_T11_S3_li.num_vgpr, 52
	.set _ZL29rocblas_internal_gemmt_kernelIiLi16ELi32ELi8ELc84ELc67ELc85ELb0ELb0EffPKfPfEviT_T9_T10_S3_lS5_S3_lS4_T11_S3_li.num_agpr, 0
	.set _ZL29rocblas_internal_gemmt_kernelIiLi16ELi32ELi8ELc84ELc67ELc85ELb0ELb0EffPKfPfEviT_T9_T10_S3_lS5_S3_lS4_T11_S3_li.numbered_sgpr, 31
	.set _ZL29rocblas_internal_gemmt_kernelIiLi16ELi32ELi8ELc84ELc67ELc85ELb0ELb0EffPKfPfEviT_T9_T10_S3_lS5_S3_lS4_T11_S3_li.num_named_barrier, 0
	.set _ZL29rocblas_internal_gemmt_kernelIiLi16ELi32ELi8ELc84ELc67ELc85ELb0ELb0EffPKfPfEviT_T9_T10_S3_lS5_S3_lS4_T11_S3_li.private_seg_size, 0
	.set _ZL29rocblas_internal_gemmt_kernelIiLi16ELi32ELi8ELc84ELc67ELc85ELb0ELb0EffPKfPfEviT_T9_T10_S3_lS5_S3_lS4_T11_S3_li.uses_vcc, 1
	.set _ZL29rocblas_internal_gemmt_kernelIiLi16ELi32ELi8ELc84ELc67ELc85ELb0ELb0EffPKfPfEviT_T9_T10_S3_lS5_S3_lS4_T11_S3_li.uses_flat_scratch, 0
	.set _ZL29rocblas_internal_gemmt_kernelIiLi16ELi32ELi8ELc84ELc67ELc85ELb0ELb0EffPKfPfEviT_T9_T10_S3_lS5_S3_lS4_T11_S3_li.has_dyn_sized_stack, 0
	.set _ZL29rocblas_internal_gemmt_kernelIiLi16ELi32ELi8ELc84ELc67ELc85ELb0ELb0EffPKfPfEviT_T9_T10_S3_lS5_S3_lS4_T11_S3_li.has_recursion, 0
	.set _ZL29rocblas_internal_gemmt_kernelIiLi16ELi32ELi8ELc84ELc67ELc85ELb0ELb0EffPKfPfEviT_T9_T10_S3_lS5_S3_lS4_T11_S3_li.has_indirect_call, 0
	.section	.AMDGPU.csdata,"",@progbits
; Kernel info:
; codeLenInByte = 1640
; TotalNumSgprs: 33
; NumVgprs: 52
; ScratchSize: 0
; MemoryBound: 0
; FloatMode: 240
; IeeeMode: 1
; LDSByteSize: 2048 bytes/workgroup (compile time only)
; SGPRBlocks: 0
; VGPRBlocks: 3
; NumSGPRsForWavesPerEU: 33
; NumVGPRsForWavesPerEU: 52
; NamedBarCnt: 0
; Occupancy: 16
; WaveLimiterHint : 0
; COMPUTE_PGM_RSRC2:SCRATCH_EN: 0
; COMPUTE_PGM_RSRC2:USER_SGPR: 2
; COMPUTE_PGM_RSRC2:TRAP_HANDLER: 0
; COMPUTE_PGM_RSRC2:TGID_X_EN: 1
; COMPUTE_PGM_RSRC2:TGID_Y_EN: 1
; COMPUTE_PGM_RSRC2:TGID_Z_EN: 1
; COMPUTE_PGM_RSRC2:TIDIG_COMP_CNT: 1
	.section	.text._ZL29rocblas_internal_gemmt_kernelIiLi16ELi32ELi8ELc67ELc78ELc85ELb0ELb0EffPKfPfEviT_T9_T10_S3_lS5_S3_lS4_T11_S3_li,"axG",@progbits,_ZL29rocblas_internal_gemmt_kernelIiLi16ELi32ELi8ELc67ELc78ELc85ELb0ELb0EffPKfPfEviT_T9_T10_S3_lS5_S3_lS4_T11_S3_li,comdat
	.globl	_ZL29rocblas_internal_gemmt_kernelIiLi16ELi32ELi8ELc67ELc78ELc85ELb0ELb0EffPKfPfEviT_T9_T10_S3_lS5_S3_lS4_T11_S3_li ; -- Begin function _ZL29rocblas_internal_gemmt_kernelIiLi16ELi32ELi8ELc67ELc78ELc85ELb0ELb0EffPKfPfEviT_T9_T10_S3_lS5_S3_lS4_T11_S3_li
	.p2align	8
	.type	_ZL29rocblas_internal_gemmt_kernelIiLi16ELi32ELi8ELc67ELc78ELc85ELb0ELb0EffPKfPfEviT_T9_T10_S3_lS5_S3_lS4_T11_S3_li,@function
_ZL29rocblas_internal_gemmt_kernelIiLi16ELi32ELi8ELc67ELc78ELc85ELb0ELb0EffPKfPfEviT_T9_T10_S3_lS5_S3_lS4_T11_S3_li: ; @_ZL29rocblas_internal_gemmt_kernelIiLi16ELi32ELi8ELc67ELc78ELc85ELb0ELb0EffPKfPfEviT_T9_T10_S3_lS5_S3_lS4_T11_S3_li
; %bb.0:
	s_clause 0x1
	s_load_b32 s7, s[0:1], 0x40
	s_load_b96 s[4:6], s[0:1], 0x0
	s_wait_kmcnt 0x0
	s_cmp_neq_f32 s7, 1.0
	s_cselect_b32 s2, -1, 0
	s_delay_alu instid0(SALU_CYCLE_1)
	s_and_b32 vcc_lo, exec_lo, s2
	s_cbranch_vccnz .LBB24_2
; %bb.1:
	s_cmp_lg_u32 s5, 0
	s_cselect_b32 s2, -1, 0
	s_cmp_neq_f32 s6, 0
	s_cselect_b32 s3, -1, 0
	s_delay_alu instid0(SALU_CYCLE_1)
	s_and_b32 s2, s2, s3
.LBB24_2:
	s_delay_alu instid0(SALU_CYCLE_1)
	s_and_not1_b32 vcc_lo, exec_lo, s2
	s_cbranch_vccnz .LBB24_33
; %bb.3:
	s_load_b32 s15, s[0:1], 0x60
	s_bfe_u32 s2, ttmp6, 0x40014
	s_lshr_b32 s3, ttmp7, 16
	s_add_co_i32 s2, s2, 1
	s_bfe_u32 s8, ttmp6, 0x40008
	s_mul_i32 s2, s3, s2
	s_getreg_b32 s19, hwreg(HW_REG_IB_STS2, 6, 4)
	s_add_co_i32 s8, s8, s2
	s_cmp_eq_u32 s19, 0
	s_mov_b32 s21, 0
	s_cselect_b32 s20, s3, s8
	s_wait_kmcnt 0x0
	s_cmp_ge_u32 s20, s15
	s_cbranch_scc1 .LBB24_33
; %bb.4:
	s_clause 0x2
	s_load_b96 s[16:18], s[0:1], 0x10
	s_load_b32 s2, s[0:1], 0x30
	s_load_b96 s[12:14], s[0:1], 0x48
	v_and_b32_e32 v5, 0x3ff, v0
	v_bfe_u32 v6, v0, 10, 10
	s_clause 0x2
	s_load_b128 s[8:11], s[0:1], 0x20
	s_load_b64 s[24:25], s[0:1], 0x38
	s_load_b64 s[22:23], s[0:1], 0x58
	s_wait_xcnt 0x0
	s_bfe_u32 s1, ttmp6, 0x4000c
	s_bfe_u32 s3, ttmp6, 0x40010
	s_and_b32 s26, ttmp7, 0xffff
	s_add_co_i32 s28, s1, 1
	s_add_co_i32 s29, s3, 1
	v_and_b32_e32 v20, 7, v0
	v_lshl_add_u32 v0, v6, 4, v5
	s_and_b32 s0, ttmp6, 15
	s_mul_i32 s28, ttmp9, s28
	s_mul_i32 s29, s26, s29
	s_bfe_u32 s30, ttmp6, 0x40004
	s_add_co_i32 s0, s0, s28
	s_add_co_i32 s30, s30, s29
	v_dual_lshrrev_b32 v4, 3, v0 :: v_dual_bitop2_b32 v7, 31, v0 bitop3:0x40
	s_wait_kmcnt 0x0
	s_ashr_i32 s1, s18, 31
	s_ashr_i32 s3, s2, 31
	;; [unrolled: 1-line block ×3, first 2 shown]
	s_cmp_eq_u32 s19, 0
	v_lshrrev_b32_e32 v21, 5, v0
	s_cselect_b32 s0, ttmp9, s0
	s_cselect_b32 s19, s26, s30
	s_lshl_b32 s28, s0, 5
	s_lshl_b32 s19, s19, 5
	s_delay_alu instid0(SALU_CYCLE_1) | instskip(SKIP_3) | instid1(VALU_DEP_2)
	v_dual_add_nc_u32 v2, s19, v4 :: v_dual_bitop2_b32 v0, s28, v7 bitop3:0x54
	v_add_nc_u32_e32 v8, s19, v6
	s_mov_b32 s0, s18
	s_mov_b32 s26, s14
	v_dual_ashrrev_i32 v1, 31, v0 :: v_dual_ashrrev_i32 v3, 31, v2
	s_cmp_neq_f32 s6, 0
	v_lshl_add_u32 v25, v6, 5, 0x400
	v_lshlrev_b32_e32 v24, 2, v5
	s_delay_alu instid0(VALU_DEP_3)
	v_mul_u64_e32 v[10:11], s[0:1], v[0:1]
	v_mul_u64_e32 v[12:13], s[2:3], v[2:3]
	v_dual_lshlrev_b32 v1, 2, v7 :: v_dual_add_nc_u32 v14, 16, v8
	v_ashrrev_i32_e32 v9, 31, v8
	v_lshlrev_b32_e32 v16, 2, v20
	v_cmp_gt_i32_e64 s0, s4, v0
	s_delay_alu instid0(VALU_DEP_4)
	v_lshl_or_b32 v22, v21, 7, v1
	v_ashrrev_i32_e32 v15, 31, v14
	v_cmp_gt_i32_e64 s1, s4, v2
	v_mul_u64_e32 v[0:1], s[26:27], v[8:9]
	v_lshl_or_b32 v7, v4, 5, v16
	v_add_nc_u32_e32 v4, s28, v5
	v_mul_u64_e32 v[2:3], s[26:27], v[14:15]
	s_cselect_b32 s29, -1, 0
	s_cmp_gt_i32 s5, 0
	v_cmp_gt_i32_e32 vcc_lo, s4, v8
	v_cmp_le_i32_e64 s2, v4, v8
	v_dual_mov_b32 v9, 0 :: v_dual_add_nc_u32 v6, 16, v4
	s_cselect_b32 s30, -1, 0
	s_cmp_neq_f32 s7, 0
	v_ashrrev_i32_e32 v5, 31, v4
	v_add_nc_u32_e32 v23, 0x400, v7
	v_dual_mov_b32 v17, v9 :: v_dual_ashrrev_i32 v7, 31, v6
	s_cselect_b32 s14, -1, 0
	s_and_b32 s18, vcc_lo, s2
	v_cmp_le_i32_e64 s2, v6, v8
	v_lshlrev_b32_e32 v8, 2, v21
	v_cmp_gt_i32_e64 s3, s4, v14
	v_cmp_le_i32_e64 s4, v4, v14
	s_and_b32 s19, vcc_lo, s2
	v_lshl_add_u64 v[8:9], v[10:11], 2, v[8:9]
	v_lshl_add_u64 v[10:11], v[12:13], 2, v[16:17]
	v_cmp_le_i32_e32 vcc_lo, v6, v14
	s_and_b32 s4, s3, s4
	s_delay_alu instid0(VALU_DEP_3) | instskip(NEXT) | instid1(VALU_DEP_3)
	v_add_nc_u64_e32 v[8:9], s[16:17], v[8:9]
	v_add_nc_u64_e32 v[10:11], s[10:11], v[10:11]
	s_and_b32 s16, s29, s30
	s_and_b32 s17, s3, vcc_lo
	s_lshl_b64 s[2:3], s[8:9], 2
	s_lshl_b64 s[8:9], s[24:25], 2
	s_branch .LBB24_6
.LBB24_5:                               ;   in Loop: Header=BB24_6 Depth=1
	s_wait_xcnt 0x0
	s_or_b32 exec_lo, exec_lo, s10
	s_add_co_i32 s20, s20, 0x10000
	s_delay_alu instid0(SALU_CYCLE_1)
	s_cmp_lt_u32 s20, s15
	s_cbranch_scc0 .LBB24_33
.LBB24_6:                               ; =>This Loop Header: Depth=1
                                        ;     Child Loop BB24_9 Depth 2
	v_dual_mov_b32 v19, 0 :: v_dual_mov_b32 v18, 0
	v_dual_mov_b32 v13, 0 :: v_dual_mov_b32 v12, 0
	s_and_not1_b32 vcc_lo, exec_lo, s16
	s_cbranch_vccnz .LBB24_13
; %bb.7:                                ;   in Loop: Header=BB24_6 Depth=1
	v_mad_nc_u64_u32 v[14:15], s2, s20, v[8:9]
	v_mad_nc_u64_u32 v[16:17], s8, s20, v[10:11]
	v_mov_b32_e32 v12, 0
	s_mov_b32 s10, 0
	s_delay_alu instid0(VALU_DEP_1)
	v_dual_mov_b32 v13, v12 :: v_dual_mov_b32 v18, v12
	v_mov_b32_e32 v19, v12
	v_mad_u32 v15, s3, s20, v15
	v_mad_u32 v17, s9, s20, v17
	s_branch .LBB24_9
.LBB24_8:                               ;   in Loop: Header=BB24_9 Depth=2
	s_wait_xcnt 0x0
	s_or_b32 exec_lo, exec_lo, s11
	s_wait_loadcnt 0x0
	ds_store_b32 v23, v27
	s_wait_dscnt 0x0
	s_barrier_signal -1
	s_barrier_wait -1
	ds_load_b128 v[26:29], v25
	ds_load_2addr_b32 v[42:43], v24 offset1:16
	ds_load_b128 v[30:33], v25 offset:512
	ds_load_2addr_b32 v[44:45], v24 offset0:32 offset1:48
	ds_load_2addr_b32 v[46:47], v24 offset0:64 offset1:80
	;; [unrolled: 1-line block ×3, first 2 shown]
	ds_load_b128 v[34:37], v25 offset:16
	ds_load_2addr_b32 v[50:51], v24 offset0:128 offset1:144
	ds_load_b128 v[38:41], v25 offset:528
	v_add_nc_u64_e32 v[14:15], 32, v[14:15]
	v_add_nc_u64_e32 v[16:17], 32, v[16:17]
	s_add_co_i32 s10, s10, 8
	s_delay_alu instid0(SALU_CYCLE_1)
	s_cmp_lt_i32 s10, s5
	s_wait_dscnt 0x7
	v_pk_fma_f32 v[18:19], v[42:43], v[26:27], v[18:19] op_sel_hi:[1,0,1]
	s_wait_dscnt 0x6
	v_pk_fma_f32 v[12:13], v[42:43], v[30:31], v[12:13] op_sel_hi:[1,0,1]
	ds_load_2addr_b32 v[42:43], v24 offset0:160 offset1:176
	s_wait_dscnt 0x6
	v_pk_fma_f32 v[18:19], v[44:45], v[26:27], v[18:19] op_sel:[0,1,0]
	v_pk_fma_f32 v[12:13], v[44:45], v[30:31], v[12:13] op_sel:[0,1,0]
	ds_load_2addr_b32 v[26:27], v24 offset0:192 offset1:208
	v_dual_mov_b32 v30, v29 :: v_dual_mov_b32 v44, v33
	s_wait_dscnt 0x6
	v_pk_fma_f32 v[18:19], v[46:47], v[28:29], v[18:19] op_sel_hi:[1,0,1]
	v_pk_fma_f32 v[12:13], v[46:47], v[32:33], v[12:13] op_sel_hi:[1,0,1]
	ds_load_2addr_b32 v[28:29], v24 offset0:224 offset1:240
	s_wait_dscnt 0x3
	v_mov_b32_e32 v32, v41
	s_wait_dscnt 0x0
	v_pk_fma_f32 v[18:19], v[48:49], v[30:31], v[18:19] op_sel_hi:[1,0,1]
	v_pk_fma_f32 v[12:13], v[48:49], v[44:45], v[12:13] op_sel_hi:[1,0,1]
	v_mov_b32_e32 v30, v37
	s_barrier_signal -1
	s_barrier_wait -1
	v_pk_fma_f32 v[18:19], v[50:51], v[34:35], v[18:19] op_sel_hi:[1,0,1]
	v_pk_fma_f32 v[12:13], v[50:51], v[38:39], v[12:13] op_sel_hi:[1,0,1]
	s_delay_alu instid0(VALU_DEP_2) | instskip(NEXT) | instid1(VALU_DEP_2)
	v_pk_fma_f32 v[18:19], v[42:43], v[34:35], v[18:19] op_sel:[0,1,0]
	v_pk_fma_f32 v[12:13], v[42:43], v[38:39], v[12:13] op_sel:[0,1,0]
	s_delay_alu instid0(VALU_DEP_2) | instskip(NEXT) | instid1(VALU_DEP_2)
	v_pk_fma_f32 v[18:19], v[26:27], v[36:37], v[18:19] op_sel_hi:[1,0,1]
	v_pk_fma_f32 v[12:13], v[26:27], v[40:41], v[12:13] op_sel_hi:[1,0,1]
	s_delay_alu instid0(VALU_DEP_2) | instskip(NEXT) | instid1(VALU_DEP_2)
	v_pk_fma_f32 v[18:19], v[28:29], v[30:31], v[18:19] op_sel_hi:[1,0,1]
	v_pk_fma_f32 v[12:13], v[28:29], v[32:33], v[12:13] op_sel_hi:[1,0,1]
	s_cbranch_scc0 .LBB24_13
.LBB24_9:                               ;   Parent Loop BB24_6 Depth=1
                                        ; =>  This Inner Loop Header: Depth=2
	v_add_nc_u32_e32 v26, s10, v21
	s_delay_alu instid0(VALU_DEP_1) | instskip(SKIP_2) | instid1(SALU_CYCLE_1)
	v_cmp_gt_i32_e32 vcc_lo, s5, v26
	v_mov_b32_e32 v26, 0
	s_and_b32 s24, s0, vcc_lo
	s_and_saveexec_b32 s11, s24
	s_cbranch_execz .LBB24_11
; %bb.10:                               ;   in Loop: Header=BB24_9 Depth=2
	global_load_b32 v26, v[14:15], off
.LBB24_11:                              ;   in Loop: Header=BB24_9 Depth=2
	s_wait_xcnt 0x0
	s_or_b32 exec_lo, exec_lo, s11
	v_add_nc_u32_e32 v27, s10, v20
	s_wait_loadcnt 0x0
	ds_store_b32 v22, v26
	v_cmp_gt_i32_e32 vcc_lo, s5, v27
	v_mov_b32_e32 v27, 0
	s_and_b32 s24, vcc_lo, s1
	s_delay_alu instid0(SALU_CYCLE_1)
	s_and_saveexec_b32 s11, s24
	s_cbranch_execz .LBB24_8
; %bb.12:                               ;   in Loop: Header=BB24_9 Depth=2
	global_load_b32 v27, v[16:17], off
	s_branch .LBB24_8
.LBB24_13:                              ;   in Loop: Header=BB24_6 Depth=1
	s_mul_u64 s[10:11], s[22:23], s[20:21]
	s_delay_alu instid0(SALU_CYCLE_1) | instskip(NEXT) | instid1(SALU_CYCLE_1)
	s_lshl_b64 s[10:11], s[10:11], 2
	s_add_nc_u64 s[10:11], s[12:13], s[10:11]
	s_delay_alu instid0(SALU_CYCLE_1)
	v_lshl_add_u64 v[14:15], v[0:1], 2, s[10:11]
	s_and_saveexec_b32 s24, s18
	s_cbranch_execz .LBB24_17
; %bb.14:                               ;   in Loop: Header=BB24_6 Depth=1
	v_mul_f32_e32 v18, s6, v18
	s_delay_alu instid0(VALU_DEP_2)
	v_lshl_add_u64 v[16:17], v[4:5], 2, v[14:15]
	s_and_b32 vcc_lo, exec_lo, s14
	s_cbranch_vccz .LBB24_28
; %bb.15:                               ;   in Loop: Header=BB24_6 Depth=1
	global_load_b32 v26, v[16:17], off
	s_wait_loadcnt 0x0
	v_fma_f32 v26, s7, v26, v18
	global_store_b32 v[16:17], v26, off
	s_cbranch_execnz .LBB24_17
.LBB24_16:                              ;   in Loop: Header=BB24_6 Depth=1
	global_store_b32 v[16:17], v18, off
.LBB24_17:                              ;   in Loop: Header=BB24_6 Depth=1
	s_wait_xcnt 0x0
	s_or_b32 exec_lo, exec_lo, s24
	s_and_saveexec_b32 s24, s19
	s_cbranch_execz .LBB24_21
; %bb.18:                               ;   in Loop: Header=BB24_6 Depth=1
	v_mul_f32_e32 v16, s6, v19
	v_lshl_add_u64 v[14:15], v[6:7], 2, v[14:15]
	s_and_not1_b32 vcc_lo, exec_lo, s14
	s_cbranch_vccnz .LBB24_29
; %bb.19:                               ;   in Loop: Header=BB24_6 Depth=1
	global_load_b32 v17, v[14:15], off
	s_wait_loadcnt 0x0
	v_fma_f32 v17, s7, v17, v16
	global_store_b32 v[14:15], v17, off
	s_cbranch_execnz .LBB24_21
.LBB24_20:                              ;   in Loop: Header=BB24_6 Depth=1
	global_store_b32 v[14:15], v16, off
.LBB24_21:                              ;   in Loop: Header=BB24_6 Depth=1
	s_wait_xcnt 0x0
	s_or_b32 exec_lo, exec_lo, s24
	v_lshl_add_u64 v[14:15], v[2:3], 2, s[10:11]
	s_and_saveexec_b32 s10, s4
	s_cbranch_execz .LBB24_25
; %bb.22:                               ;   in Loop: Header=BB24_6 Depth=1
	v_mul_f32_e32 v12, s6, v12
	s_delay_alu instid0(VALU_DEP_2)
	v_lshl_add_u64 v[16:17], v[4:5], 2, v[14:15]
	s_and_not1_b32 vcc_lo, exec_lo, s14
	s_cbranch_vccnz .LBB24_30
; %bb.23:                               ;   in Loop: Header=BB24_6 Depth=1
	global_load_b32 v18, v[16:17], off
	s_wait_loadcnt 0x0
	v_fma_f32 v18, s7, v18, v12
	global_store_b32 v[16:17], v18, off
	s_cbranch_execnz .LBB24_25
.LBB24_24:                              ;   in Loop: Header=BB24_6 Depth=1
	global_store_b32 v[16:17], v12, off
.LBB24_25:                              ;   in Loop: Header=BB24_6 Depth=1
	s_wait_xcnt 0x0
	s_or_b32 exec_lo, exec_lo, s10
	s_and_saveexec_b32 s10, s17
	s_cbranch_execz .LBB24_5
; %bb.26:                               ;   in Loop: Header=BB24_6 Depth=1
	v_mul_f32_e32 v16, s6, v13
	v_lshl_add_u64 v[12:13], v[6:7], 2, v[14:15]
	s_and_not1_b32 vcc_lo, exec_lo, s14
	s_cbranch_vccnz .LBB24_31
; %bb.27:                               ;   in Loop: Header=BB24_6 Depth=1
	global_load_b32 v14, v[12:13], off
	s_wait_loadcnt 0x0
	v_fma_f32 v14, s7, v14, v16
	global_store_b32 v[12:13], v14, off
	s_cbranch_execnz .LBB24_5
	s_branch .LBB24_32
.LBB24_28:                              ;   in Loop: Header=BB24_6 Depth=1
	s_branch .LBB24_16
.LBB24_29:                              ;   in Loop: Header=BB24_6 Depth=1
	s_branch .LBB24_20
.LBB24_30:                              ;   in Loop: Header=BB24_6 Depth=1
	s_branch .LBB24_24
.LBB24_31:                              ;   in Loop: Header=BB24_6 Depth=1
.LBB24_32:                              ;   in Loop: Header=BB24_6 Depth=1
	global_store_b32 v[12:13], v16, off
	s_branch .LBB24_5
.LBB24_33:
	s_endpgm
	.section	.rodata,"a",@progbits
	.p2align	6, 0x0
	.amdhsa_kernel _ZL29rocblas_internal_gemmt_kernelIiLi16ELi32ELi8ELc67ELc78ELc85ELb0ELb0EffPKfPfEviT_T9_T10_S3_lS5_S3_lS4_T11_S3_li
		.amdhsa_group_segment_fixed_size 2048
		.amdhsa_private_segment_fixed_size 0
		.amdhsa_kernarg_size 100
		.amdhsa_user_sgpr_count 2
		.amdhsa_user_sgpr_dispatch_ptr 0
		.amdhsa_user_sgpr_queue_ptr 0
		.amdhsa_user_sgpr_kernarg_segment_ptr 1
		.amdhsa_user_sgpr_dispatch_id 0
		.amdhsa_user_sgpr_kernarg_preload_length 0
		.amdhsa_user_sgpr_kernarg_preload_offset 0
		.amdhsa_user_sgpr_private_segment_size 0
		.amdhsa_wavefront_size32 1
		.amdhsa_uses_dynamic_stack 0
		.amdhsa_enable_private_segment 0
		.amdhsa_system_sgpr_workgroup_id_x 1
		.amdhsa_system_sgpr_workgroup_id_y 1
		.amdhsa_system_sgpr_workgroup_id_z 1
		.amdhsa_system_sgpr_workgroup_info 0
		.amdhsa_system_vgpr_workitem_id 1
		.amdhsa_next_free_vgpr 52
		.amdhsa_next_free_sgpr 31
		.amdhsa_named_barrier_count 0
		.amdhsa_reserve_vcc 1
		.amdhsa_float_round_mode_32 0
		.amdhsa_float_round_mode_16_64 0
		.amdhsa_float_denorm_mode_32 3
		.amdhsa_float_denorm_mode_16_64 3
		.amdhsa_fp16_overflow 0
		.amdhsa_memory_ordered 1
		.amdhsa_forward_progress 1
		.amdhsa_inst_pref_size 13
		.amdhsa_round_robin_scheduling 0
		.amdhsa_exception_fp_ieee_invalid_op 0
		.amdhsa_exception_fp_denorm_src 0
		.amdhsa_exception_fp_ieee_div_zero 0
		.amdhsa_exception_fp_ieee_overflow 0
		.amdhsa_exception_fp_ieee_underflow 0
		.amdhsa_exception_fp_ieee_inexact 0
		.amdhsa_exception_int_div_zero 0
	.end_amdhsa_kernel
	.section	.text._ZL29rocblas_internal_gemmt_kernelIiLi16ELi32ELi8ELc67ELc78ELc85ELb0ELb0EffPKfPfEviT_T9_T10_S3_lS5_S3_lS4_T11_S3_li,"axG",@progbits,_ZL29rocblas_internal_gemmt_kernelIiLi16ELi32ELi8ELc67ELc78ELc85ELb0ELb0EffPKfPfEviT_T9_T10_S3_lS5_S3_lS4_T11_S3_li,comdat
.Lfunc_end24:
	.size	_ZL29rocblas_internal_gemmt_kernelIiLi16ELi32ELi8ELc67ELc78ELc85ELb0ELb0EffPKfPfEviT_T9_T10_S3_lS5_S3_lS4_T11_S3_li, .Lfunc_end24-_ZL29rocblas_internal_gemmt_kernelIiLi16ELi32ELi8ELc67ELc78ELc85ELb0ELb0EffPKfPfEviT_T9_T10_S3_lS5_S3_lS4_T11_S3_li
                                        ; -- End function
	.set _ZL29rocblas_internal_gemmt_kernelIiLi16ELi32ELi8ELc67ELc78ELc85ELb0ELb0EffPKfPfEviT_T9_T10_S3_lS5_S3_lS4_T11_S3_li.num_vgpr, 52
	.set _ZL29rocblas_internal_gemmt_kernelIiLi16ELi32ELi8ELc67ELc78ELc85ELb0ELb0EffPKfPfEviT_T9_T10_S3_lS5_S3_lS4_T11_S3_li.num_agpr, 0
	.set _ZL29rocblas_internal_gemmt_kernelIiLi16ELi32ELi8ELc67ELc78ELc85ELb0ELb0EffPKfPfEviT_T9_T10_S3_lS5_S3_lS4_T11_S3_li.numbered_sgpr, 31
	.set _ZL29rocblas_internal_gemmt_kernelIiLi16ELi32ELi8ELc67ELc78ELc85ELb0ELb0EffPKfPfEviT_T9_T10_S3_lS5_S3_lS4_T11_S3_li.num_named_barrier, 0
	.set _ZL29rocblas_internal_gemmt_kernelIiLi16ELi32ELi8ELc67ELc78ELc85ELb0ELb0EffPKfPfEviT_T9_T10_S3_lS5_S3_lS4_T11_S3_li.private_seg_size, 0
	.set _ZL29rocblas_internal_gemmt_kernelIiLi16ELi32ELi8ELc67ELc78ELc85ELb0ELb0EffPKfPfEviT_T9_T10_S3_lS5_S3_lS4_T11_S3_li.uses_vcc, 1
	.set _ZL29rocblas_internal_gemmt_kernelIiLi16ELi32ELi8ELc67ELc78ELc85ELb0ELb0EffPKfPfEviT_T9_T10_S3_lS5_S3_lS4_T11_S3_li.uses_flat_scratch, 0
	.set _ZL29rocblas_internal_gemmt_kernelIiLi16ELi32ELi8ELc67ELc78ELc85ELb0ELb0EffPKfPfEviT_T9_T10_S3_lS5_S3_lS4_T11_S3_li.has_dyn_sized_stack, 0
	.set _ZL29rocblas_internal_gemmt_kernelIiLi16ELi32ELi8ELc67ELc78ELc85ELb0ELb0EffPKfPfEviT_T9_T10_S3_lS5_S3_lS4_T11_S3_li.has_recursion, 0
	.set _ZL29rocblas_internal_gemmt_kernelIiLi16ELi32ELi8ELc67ELc78ELc85ELb0ELb0EffPKfPfEviT_T9_T10_S3_lS5_S3_lS4_T11_S3_li.has_indirect_call, 0
	.section	.AMDGPU.csdata,"",@progbits
; Kernel info:
; codeLenInByte = 1620
; TotalNumSgprs: 33
; NumVgprs: 52
; ScratchSize: 0
; MemoryBound: 0
; FloatMode: 240
; IeeeMode: 1
; LDSByteSize: 2048 bytes/workgroup (compile time only)
; SGPRBlocks: 0
; VGPRBlocks: 3
; NumSGPRsForWavesPerEU: 33
; NumVGPRsForWavesPerEU: 52
; NamedBarCnt: 0
; Occupancy: 16
; WaveLimiterHint : 0
; COMPUTE_PGM_RSRC2:SCRATCH_EN: 0
; COMPUTE_PGM_RSRC2:USER_SGPR: 2
; COMPUTE_PGM_RSRC2:TRAP_HANDLER: 0
; COMPUTE_PGM_RSRC2:TGID_X_EN: 1
; COMPUTE_PGM_RSRC2:TGID_Y_EN: 1
; COMPUTE_PGM_RSRC2:TGID_Z_EN: 1
; COMPUTE_PGM_RSRC2:TIDIG_COMP_CNT: 1
	.section	.text._ZL29rocblas_internal_gemmt_kernelIiLi16ELi32ELi8ELc67ELc84ELc85ELb0ELb0EffPKfPfEviT_T9_T10_S3_lS5_S3_lS4_T11_S3_li,"axG",@progbits,_ZL29rocblas_internal_gemmt_kernelIiLi16ELi32ELi8ELc67ELc84ELc85ELb0ELb0EffPKfPfEviT_T9_T10_S3_lS5_S3_lS4_T11_S3_li,comdat
	.globl	_ZL29rocblas_internal_gemmt_kernelIiLi16ELi32ELi8ELc67ELc84ELc85ELb0ELb0EffPKfPfEviT_T9_T10_S3_lS5_S3_lS4_T11_S3_li ; -- Begin function _ZL29rocblas_internal_gemmt_kernelIiLi16ELi32ELi8ELc67ELc84ELc85ELb0ELb0EffPKfPfEviT_T9_T10_S3_lS5_S3_lS4_T11_S3_li
	.p2align	8
	.type	_ZL29rocblas_internal_gemmt_kernelIiLi16ELi32ELi8ELc67ELc84ELc85ELb0ELb0EffPKfPfEviT_T9_T10_S3_lS5_S3_lS4_T11_S3_li,@function
_ZL29rocblas_internal_gemmt_kernelIiLi16ELi32ELi8ELc67ELc84ELc85ELb0ELb0EffPKfPfEviT_T9_T10_S3_lS5_S3_lS4_T11_S3_li: ; @_ZL29rocblas_internal_gemmt_kernelIiLi16ELi32ELi8ELc67ELc84ELc85ELb0ELb0EffPKfPfEviT_T9_T10_S3_lS5_S3_lS4_T11_S3_li
; %bb.0:
	s_clause 0x1
	s_load_b32 s11, s[0:1], 0x40
	s_load_b96 s[8:10], s[0:1], 0x0
	s_wait_kmcnt 0x0
	s_cmp_neq_f32 s11, 1.0
	s_cselect_b32 s2, -1, 0
	s_delay_alu instid0(SALU_CYCLE_1)
	s_and_b32 vcc_lo, exec_lo, s2
	s_cbranch_vccnz .LBB25_2
; %bb.1:
	s_cmp_lg_u32 s9, 0
	s_cselect_b32 s2, -1, 0
	s_cmp_neq_f32 s10, 0
	s_cselect_b32 s3, -1, 0
	s_delay_alu instid0(SALU_CYCLE_1)
	s_and_b32 s2, s2, s3
.LBB25_2:
	s_delay_alu instid0(SALU_CYCLE_1)
	s_and_not1_b32 vcc_lo, exec_lo, s2
	s_cbranch_vccnz .LBB25_33
; %bb.3:
	s_load_b32 s19, s[0:1], 0x60
	s_bfe_u32 s2, ttmp6, 0x40014
	s_lshr_b32 s3, ttmp7, 16
	s_add_co_i32 s2, s2, 1
	s_bfe_u32 s5, ttmp6, 0x40008
	s_mul_i32 s4, s3, s2
	s_getreg_b32 s2, hwreg(HW_REG_IB_STS2, 6, 4)
	s_add_co_i32 s5, s5, s4
	s_cmp_eq_u32 s2, 0
	s_mov_b32 s21, 0
	s_cselect_b32 s20, s3, s5
	s_wait_kmcnt 0x0
	s_cmp_ge_u32 s20, s19
	s_cbranch_scc1 .LBB25_33
; %bb.4:
	s_clause 0x2
	s_load_b96 s[16:18], s[0:1], 0x10
	s_load_b32 s24, s[0:1], 0x30
	s_load_b96 s[12:14], s[0:1], 0x48
	v_and_b32_e32 v9, 0x3ff, v0
	v_bfe_u32 v10, v0, 10, 10
	s_clause 0x2
	s_load_b128 s[4:7], s[0:1], 0x20
	s_load_b64 s[26:27], s[0:1], 0x38
	s_load_b64 s[22:23], s[0:1], 0x58
	s_wait_xcnt 0x0
	s_bfe_u32 s0, ttmp6, 0x4000c
	s_bfe_u32 s1, ttmp6, 0x40010
	s_and_b32 s28, ttmp7, 0xffff
	s_add_co_i32 s29, s0, 1
	s_add_co_i32 s30, s1, 1
	v_lshl_add_u32 v1, v10, 4, v9
	s_and_b32 s15, ttmp6, 15
	v_and_b32_e32 v0, 7, v0
	v_lshl_add_u32 v25, v10, 5, 0x400
	s_delay_alu instid0(VALU_DEP_3)
	v_dual_mov_b32 v11, 0 :: v_dual_bitop2_b32 v4, 31, v1 bitop3:0x40
	v_dual_lshrrev_b32 v5, 3, v1 :: v_dual_lshrrev_b32 v22, 5, v1
	s_wait_kmcnt 0x0
	s_ashr_i32 s1, s18, 31
	s_mov_b32 s0, s18
	s_mul_i32 s18, ttmp9, s29
	s_mul_i32 s29, s28, s30
	s_bfe_u32 s30, ttmp6, 0x40004
	s_ashr_i32 s25, s24, 31
	s_ashr_i32 s3, s14, 31
	s_add_co_i32 s15, s15, s18
	s_add_co_i32 s30, s30, s29
	s_cmp_eq_u32 s2, 0
	s_cselect_b32 s2, ttmp9, s15
	s_cselect_b32 s15, s28, s30
	s_lshl_b32 s18, s2, 5
	s_lshl_b32 s15, s15, 5
	s_delay_alu instid0(SALU_CYCLE_1) | instskip(SKIP_1) | instid1(VALU_DEP_2)
	v_dual_add_nc_u32 v12, s15, v5 :: v_dual_bitop2_b32 v2, s18, v4 bitop3:0x54
	v_dual_mov_b32 v1, v11 :: v_dual_add_nc_u32 v14, s15, v10
	v_dual_lshlrev_b32 v4, 2, v4 :: v_dual_ashrrev_i32 v3, 31, v2
	s_mov_b32 s2, s14
	s_delay_alu instid0(VALU_DEP_2) | instskip(NEXT) | instid1(VALU_DEP_3)
	v_mul_u64_e32 v[18:19], s[24:25], v[0:1]
	v_dual_add_nc_u32 v20, 16, v14 :: v_dual_ashrrev_i32 v15, 31, v14
	s_delay_alu instid0(VALU_DEP_3) | instskip(SKIP_2) | instid1(VALU_DEP_4)
	v_mul_u64_e32 v[16:17], s[0:1], v[2:3]
	v_lshlrev_b32_e32 v3, 2, v0
	v_cmp_gt_i32_e64 s0, s8, v2
	v_dual_ashrrev_i32 v21, 31, v20 :: v_dual_add_nc_u32 v2, s18, v9
	v_lshl_or_b32 v1, v22, 7, v4
	s_delay_alu instid0(VALU_DEP_4) | instskip(SKIP_1) | instid1(VALU_DEP_4)
	v_lshl_or_b32 v3, v5, 5, v3
	v_mul_u64_e32 v[4:5], s[2:3], v[14:15]
	v_mul_u64_e32 v[6:7], s[2:3], v[20:21]
	v_dual_ashrrev_i32 v13, 31, v12 :: v_dual_add_nc_u32 v8, 16, v2
	v_cmp_gt_i32_e64 s1, s8, v12
	s_cmp_neq_f32 s10, 0
	v_lshlrev_b32_e32 v10, 2, v22
	v_lshlrev_b64_e32 v[12:13], 2, v[12:13]
	v_cmp_gt_i32_e32 vcc_lo, s8, v14
	s_cselect_b32 s14, -1, 0
	s_cmp_gt_i32 s9, 0
	v_cmp_le_i32_e64 s2, v2, v14
	v_lshlrev_b32_e32 v24, 2, v9
	v_cmp_le_i32_e64 s3, v8, v14
	v_ashrrev_i32_e32 v9, 31, v8
	s_cselect_b32 s15, -1, 0
	s_cmp_neq_f32 s11, 0
	v_add_nc_u32_e32 v23, 0x400, v3
	v_ashrrev_i32_e32 v3, 31, v2
	s_cselect_b32 s18, -1, 0
	s_and_b32 s28, vcc_lo, s2
	v_lshl_add_u64 v[12:13], v[18:19], 2, v[12:13]
	s_and_b32 s29, vcc_lo, s3
	v_cmp_gt_i32_e32 vcc_lo, s8, v20
	v_lshl_add_u64 v[10:11], v[16:17], 2, v[10:11]
	v_cmp_le_i32_e64 s2, v2, v20
	v_cmp_le_i32_e64 s3, v8, v20
	v_add_nc_u64_e32 v[12:13], s[6:7], v[12:13]
	s_lshl_b64 s[6:7], s[24:25], 5
	v_add_nc_u64_e32 v[10:11], s[16:17], v[10:11]
	s_and_b32 s8, vcc_lo, s2
	s_and_b32 s30, vcc_lo, s3
	s_and_b32 s16, s14, s15
	s_lshl_b64 s[2:3], s[4:5], 2
	s_lshl_b64 s[4:5], s[26:27], 2
	s_branch .LBB25_6
.LBB25_5:                               ;   in Loop: Header=BB25_6 Depth=1
	s_wait_xcnt 0x0
	s_or_b32 exec_lo, exec_lo, s14
	s_add_co_i32 s20, s20, 0x10000
	s_delay_alu instid0(SALU_CYCLE_1)
	s_cmp_lt_u32 s20, s19
	s_cbranch_scc0 .LBB25_33
.LBB25_6:                               ; =>This Loop Header: Depth=1
                                        ;     Child Loop BB25_9 Depth 2
	v_dual_mov_b32 v21, 0 :: v_dual_mov_b32 v20, 0
	v_dual_mov_b32 v15, 0 :: v_dual_mov_b32 v14, 0
	s_and_not1_b32 vcc_lo, exec_lo, s16
	s_cbranch_vccnz .LBB25_13
; %bb.7:                                ;   in Loop: Header=BB25_6 Depth=1
	v_mad_nc_u64_u32 v[16:17], s2, s20, v[10:11]
	v_mad_nc_u64_u32 v[18:19], s4, s20, v[12:13]
	v_mov_b32_e32 v14, 0
	s_mov_b32 s14, 0
	s_delay_alu instid0(VALU_DEP_1)
	v_dual_mov_b32 v15, v14 :: v_dual_mov_b32 v20, v14
	v_mov_b32_e32 v21, v14
	v_mad_u32 v17, s3, s20, v17
	v_mad_u32 v19, s5, s20, v19
	s_branch .LBB25_9
.LBB25_8:                               ;   in Loop: Header=BB25_9 Depth=2
	s_wait_xcnt 0x0
	s_or_b32 exec_lo, exec_lo, s15
	s_wait_loadcnt 0x0
	ds_store_b32 v23, v27
	s_wait_dscnt 0x0
	s_barrier_signal -1
	s_barrier_wait -1
	ds_load_b128 v[26:29], v25
	ds_load_2addr_b32 v[42:43], v24 offset1:16
	ds_load_b128 v[30:33], v25 offset:512
	ds_load_2addr_b32 v[44:45], v24 offset0:32 offset1:48
	ds_load_2addr_b32 v[46:47], v24 offset0:64 offset1:80
	;; [unrolled: 1-line block ×3, first 2 shown]
	ds_load_b128 v[34:37], v25 offset:16
	ds_load_2addr_b32 v[50:51], v24 offset0:128 offset1:144
	ds_load_b128 v[38:41], v25 offset:528
	v_add_nc_u64_e32 v[16:17], 32, v[16:17]
	v_add_nc_u64_e32 v[18:19], s[6:7], v[18:19]
	s_add_co_i32 s14, s14, 8
	s_delay_alu instid0(SALU_CYCLE_1)
	s_cmp_lt_i32 s14, s9
	s_wait_dscnt 0x7
	v_pk_fma_f32 v[20:21], v[42:43], v[26:27], v[20:21] op_sel_hi:[1,0,1]
	s_wait_dscnt 0x6
	v_pk_fma_f32 v[14:15], v[42:43], v[30:31], v[14:15] op_sel_hi:[1,0,1]
	ds_load_2addr_b32 v[42:43], v24 offset0:160 offset1:176
	s_wait_dscnt 0x6
	v_pk_fma_f32 v[20:21], v[44:45], v[26:27], v[20:21] op_sel:[0,1,0]
	v_pk_fma_f32 v[14:15], v[44:45], v[30:31], v[14:15] op_sel:[0,1,0]
	ds_load_2addr_b32 v[26:27], v24 offset0:192 offset1:208
	v_dual_mov_b32 v30, v29 :: v_dual_mov_b32 v44, v33
	s_wait_dscnt 0x6
	v_pk_fma_f32 v[20:21], v[46:47], v[28:29], v[20:21] op_sel_hi:[1,0,1]
	v_pk_fma_f32 v[14:15], v[46:47], v[32:33], v[14:15] op_sel_hi:[1,0,1]
	ds_load_2addr_b32 v[28:29], v24 offset0:224 offset1:240
	s_wait_dscnt 0x3
	v_mov_b32_e32 v32, v41
	s_wait_dscnt 0x0
	v_pk_fma_f32 v[20:21], v[48:49], v[30:31], v[20:21] op_sel_hi:[1,0,1]
	v_pk_fma_f32 v[14:15], v[48:49], v[44:45], v[14:15] op_sel_hi:[1,0,1]
	v_mov_b32_e32 v30, v37
	s_barrier_signal -1
	s_barrier_wait -1
	v_pk_fma_f32 v[20:21], v[50:51], v[34:35], v[20:21] op_sel_hi:[1,0,1]
	v_pk_fma_f32 v[14:15], v[50:51], v[38:39], v[14:15] op_sel_hi:[1,0,1]
	s_delay_alu instid0(VALU_DEP_2) | instskip(NEXT) | instid1(VALU_DEP_2)
	v_pk_fma_f32 v[20:21], v[42:43], v[34:35], v[20:21] op_sel:[0,1,0]
	v_pk_fma_f32 v[14:15], v[42:43], v[38:39], v[14:15] op_sel:[0,1,0]
	s_delay_alu instid0(VALU_DEP_2) | instskip(NEXT) | instid1(VALU_DEP_2)
	v_pk_fma_f32 v[20:21], v[26:27], v[36:37], v[20:21] op_sel_hi:[1,0,1]
	v_pk_fma_f32 v[14:15], v[26:27], v[40:41], v[14:15] op_sel_hi:[1,0,1]
	s_delay_alu instid0(VALU_DEP_2) | instskip(NEXT) | instid1(VALU_DEP_2)
	v_pk_fma_f32 v[20:21], v[28:29], v[30:31], v[20:21] op_sel_hi:[1,0,1]
	v_pk_fma_f32 v[14:15], v[28:29], v[32:33], v[14:15] op_sel_hi:[1,0,1]
	s_cbranch_scc0 .LBB25_13
.LBB25_9:                               ;   Parent Loop BB25_6 Depth=1
                                        ; =>  This Inner Loop Header: Depth=2
	v_add_nc_u32_e32 v26, s14, v22
	s_delay_alu instid0(VALU_DEP_1) | instskip(SKIP_2) | instid1(SALU_CYCLE_1)
	v_cmp_gt_i32_e32 vcc_lo, s9, v26
	v_mov_b32_e32 v26, 0
	s_and_b32 s17, s0, vcc_lo
	s_and_saveexec_b32 s15, s17
	s_cbranch_execz .LBB25_11
; %bb.10:                               ;   in Loop: Header=BB25_9 Depth=2
	global_load_b32 v26, v[16:17], off
.LBB25_11:                              ;   in Loop: Header=BB25_9 Depth=2
	s_wait_xcnt 0x0
	s_or_b32 exec_lo, exec_lo, s15
	v_add_nc_u32_e32 v27, s14, v0
	s_wait_loadcnt 0x0
	ds_store_b32 v1, v26
	v_cmp_gt_i32_e32 vcc_lo, s9, v27
	v_mov_b32_e32 v27, 0
	s_and_b32 s17, vcc_lo, s1
	s_delay_alu instid0(SALU_CYCLE_1)
	s_and_saveexec_b32 s15, s17
	s_cbranch_execz .LBB25_8
; %bb.12:                               ;   in Loop: Header=BB25_9 Depth=2
	global_load_b32 v27, v[18:19], off
	s_branch .LBB25_8
.LBB25_13:                              ;   in Loop: Header=BB25_6 Depth=1
	s_mul_u64 s[14:15], s[22:23], s[20:21]
	s_delay_alu instid0(SALU_CYCLE_1) | instskip(NEXT) | instid1(SALU_CYCLE_1)
	s_lshl_b64 s[14:15], s[14:15], 2
	s_add_nc_u64 s[14:15], s[12:13], s[14:15]
	s_delay_alu instid0(SALU_CYCLE_1)
	v_lshl_add_u64 v[16:17], v[4:5], 2, s[14:15]
	s_and_saveexec_b32 s17, s28
	s_cbranch_execz .LBB25_17
; %bb.14:                               ;   in Loop: Header=BB25_6 Depth=1
	v_mul_f32_e32 v20, s10, v20
	s_delay_alu instid0(VALU_DEP_2)
	v_lshl_add_u64 v[18:19], v[2:3], 2, v[16:17]
	s_and_b32 vcc_lo, exec_lo, s18
	s_cbranch_vccz .LBB25_28
; %bb.15:                               ;   in Loop: Header=BB25_6 Depth=1
	global_load_b32 v26, v[18:19], off
	s_wait_loadcnt 0x0
	v_fma_f32 v26, s11, v26, v20
	global_store_b32 v[18:19], v26, off
	s_cbranch_execnz .LBB25_17
.LBB25_16:                              ;   in Loop: Header=BB25_6 Depth=1
	global_store_b32 v[18:19], v20, off
.LBB25_17:                              ;   in Loop: Header=BB25_6 Depth=1
	s_wait_xcnt 0x0
	s_or_b32 exec_lo, exec_lo, s17
	s_and_saveexec_b32 s17, s29
	s_cbranch_execz .LBB25_21
; %bb.18:                               ;   in Loop: Header=BB25_6 Depth=1
	v_mul_f32_e32 v18, s10, v21
	v_lshl_add_u64 v[16:17], v[8:9], 2, v[16:17]
	s_and_not1_b32 vcc_lo, exec_lo, s18
	s_cbranch_vccnz .LBB25_29
; %bb.19:                               ;   in Loop: Header=BB25_6 Depth=1
	global_load_b32 v19, v[16:17], off
	s_wait_loadcnt 0x0
	v_fma_f32 v19, s11, v19, v18
	global_store_b32 v[16:17], v19, off
	s_cbranch_execnz .LBB25_21
.LBB25_20:                              ;   in Loop: Header=BB25_6 Depth=1
	global_store_b32 v[16:17], v18, off
.LBB25_21:                              ;   in Loop: Header=BB25_6 Depth=1
	s_wait_xcnt 0x0
	s_or_b32 exec_lo, exec_lo, s17
	v_lshl_add_u64 v[16:17], v[6:7], 2, s[14:15]
	s_and_saveexec_b32 s14, s8
	s_cbranch_execz .LBB25_25
; %bb.22:                               ;   in Loop: Header=BB25_6 Depth=1
	v_mul_f32_e32 v14, s10, v14
	s_delay_alu instid0(VALU_DEP_2)
	v_lshl_add_u64 v[18:19], v[2:3], 2, v[16:17]
	s_and_not1_b32 vcc_lo, exec_lo, s18
	s_cbranch_vccnz .LBB25_30
; %bb.23:                               ;   in Loop: Header=BB25_6 Depth=1
	global_load_b32 v20, v[18:19], off
	s_wait_loadcnt 0x0
	v_fma_f32 v20, s11, v20, v14
	global_store_b32 v[18:19], v20, off
	s_cbranch_execnz .LBB25_25
.LBB25_24:                              ;   in Loop: Header=BB25_6 Depth=1
	global_store_b32 v[18:19], v14, off
.LBB25_25:                              ;   in Loop: Header=BB25_6 Depth=1
	s_wait_xcnt 0x0
	s_or_b32 exec_lo, exec_lo, s14
	s_and_saveexec_b32 s14, s30
	s_cbranch_execz .LBB25_5
; %bb.26:                               ;   in Loop: Header=BB25_6 Depth=1
	v_mul_f32_e32 v18, s10, v15
	v_lshl_add_u64 v[14:15], v[8:9], 2, v[16:17]
	s_and_not1_b32 vcc_lo, exec_lo, s18
	s_cbranch_vccnz .LBB25_31
; %bb.27:                               ;   in Loop: Header=BB25_6 Depth=1
	global_load_b32 v16, v[14:15], off
	s_wait_loadcnt 0x0
	v_fma_f32 v16, s11, v16, v18
	global_store_b32 v[14:15], v16, off
	s_cbranch_execnz .LBB25_5
	s_branch .LBB25_32
.LBB25_28:                              ;   in Loop: Header=BB25_6 Depth=1
	s_branch .LBB25_16
.LBB25_29:                              ;   in Loop: Header=BB25_6 Depth=1
	s_branch .LBB25_20
.LBB25_30:                              ;   in Loop: Header=BB25_6 Depth=1
	s_branch .LBB25_24
.LBB25_31:                              ;   in Loop: Header=BB25_6 Depth=1
.LBB25_32:                              ;   in Loop: Header=BB25_6 Depth=1
	global_store_b32 v[14:15], v18, off
	s_branch .LBB25_5
.LBB25_33:
	s_endpgm
	.section	.rodata,"a",@progbits
	.p2align	6, 0x0
	.amdhsa_kernel _ZL29rocblas_internal_gemmt_kernelIiLi16ELi32ELi8ELc67ELc84ELc85ELb0ELb0EffPKfPfEviT_T9_T10_S3_lS5_S3_lS4_T11_S3_li
		.amdhsa_group_segment_fixed_size 2048
		.amdhsa_private_segment_fixed_size 0
		.amdhsa_kernarg_size 100
		.amdhsa_user_sgpr_count 2
		.amdhsa_user_sgpr_dispatch_ptr 0
		.amdhsa_user_sgpr_queue_ptr 0
		.amdhsa_user_sgpr_kernarg_segment_ptr 1
		.amdhsa_user_sgpr_dispatch_id 0
		.amdhsa_user_sgpr_kernarg_preload_length 0
		.amdhsa_user_sgpr_kernarg_preload_offset 0
		.amdhsa_user_sgpr_private_segment_size 0
		.amdhsa_wavefront_size32 1
		.amdhsa_uses_dynamic_stack 0
		.amdhsa_enable_private_segment 0
		.amdhsa_system_sgpr_workgroup_id_x 1
		.amdhsa_system_sgpr_workgroup_id_y 1
		.amdhsa_system_sgpr_workgroup_id_z 1
		.amdhsa_system_sgpr_workgroup_info 0
		.amdhsa_system_vgpr_workitem_id 1
		.amdhsa_next_free_vgpr 52
		.amdhsa_next_free_sgpr 31
		.amdhsa_named_barrier_count 0
		.amdhsa_reserve_vcc 1
		.amdhsa_float_round_mode_32 0
		.amdhsa_float_round_mode_16_64 0
		.amdhsa_float_denorm_mode_32 3
		.amdhsa_float_denorm_mode_16_64 3
		.amdhsa_fp16_overflow 0
		.amdhsa_memory_ordered 1
		.amdhsa_forward_progress 1
		.amdhsa_inst_pref_size 13
		.amdhsa_round_robin_scheduling 0
		.amdhsa_exception_fp_ieee_invalid_op 0
		.amdhsa_exception_fp_denorm_src 0
		.amdhsa_exception_fp_ieee_div_zero 0
		.amdhsa_exception_fp_ieee_overflow 0
		.amdhsa_exception_fp_ieee_underflow 0
		.amdhsa_exception_fp_ieee_inexact 0
		.amdhsa_exception_int_div_zero 0
	.end_amdhsa_kernel
	.section	.text._ZL29rocblas_internal_gemmt_kernelIiLi16ELi32ELi8ELc67ELc84ELc85ELb0ELb0EffPKfPfEviT_T9_T10_S3_lS5_S3_lS4_T11_S3_li,"axG",@progbits,_ZL29rocblas_internal_gemmt_kernelIiLi16ELi32ELi8ELc67ELc84ELc85ELb0ELb0EffPKfPfEviT_T9_T10_S3_lS5_S3_lS4_T11_S3_li,comdat
.Lfunc_end25:
	.size	_ZL29rocblas_internal_gemmt_kernelIiLi16ELi32ELi8ELc67ELc84ELc85ELb0ELb0EffPKfPfEviT_T9_T10_S3_lS5_S3_lS4_T11_S3_li, .Lfunc_end25-_ZL29rocblas_internal_gemmt_kernelIiLi16ELi32ELi8ELc67ELc84ELc85ELb0ELb0EffPKfPfEviT_T9_T10_S3_lS5_S3_lS4_T11_S3_li
                                        ; -- End function
	.set _ZL29rocblas_internal_gemmt_kernelIiLi16ELi32ELi8ELc67ELc84ELc85ELb0ELb0EffPKfPfEviT_T9_T10_S3_lS5_S3_lS4_T11_S3_li.num_vgpr, 52
	.set _ZL29rocblas_internal_gemmt_kernelIiLi16ELi32ELi8ELc67ELc84ELc85ELb0ELb0EffPKfPfEviT_T9_T10_S3_lS5_S3_lS4_T11_S3_li.num_agpr, 0
	.set _ZL29rocblas_internal_gemmt_kernelIiLi16ELi32ELi8ELc67ELc84ELc85ELb0ELb0EffPKfPfEviT_T9_T10_S3_lS5_S3_lS4_T11_S3_li.numbered_sgpr, 31
	.set _ZL29rocblas_internal_gemmt_kernelIiLi16ELi32ELi8ELc67ELc84ELc85ELb0ELb0EffPKfPfEviT_T9_T10_S3_lS5_S3_lS4_T11_S3_li.num_named_barrier, 0
	.set _ZL29rocblas_internal_gemmt_kernelIiLi16ELi32ELi8ELc67ELc84ELc85ELb0ELb0EffPKfPfEviT_T9_T10_S3_lS5_S3_lS4_T11_S3_li.private_seg_size, 0
	.set _ZL29rocblas_internal_gemmt_kernelIiLi16ELi32ELi8ELc67ELc84ELc85ELb0ELb0EffPKfPfEviT_T9_T10_S3_lS5_S3_lS4_T11_S3_li.uses_vcc, 1
	.set _ZL29rocblas_internal_gemmt_kernelIiLi16ELi32ELi8ELc67ELc84ELc85ELb0ELb0EffPKfPfEviT_T9_T10_S3_lS5_S3_lS4_T11_S3_li.uses_flat_scratch, 0
	.set _ZL29rocblas_internal_gemmt_kernelIiLi16ELi32ELi8ELc67ELc84ELc85ELb0ELb0EffPKfPfEviT_T9_T10_S3_lS5_S3_lS4_T11_S3_li.has_dyn_sized_stack, 0
	.set _ZL29rocblas_internal_gemmt_kernelIiLi16ELi32ELi8ELc67ELc84ELc85ELb0ELb0EffPKfPfEviT_T9_T10_S3_lS5_S3_lS4_T11_S3_li.has_recursion, 0
	.set _ZL29rocblas_internal_gemmt_kernelIiLi16ELi32ELi8ELc67ELc84ELc85ELb0ELb0EffPKfPfEviT_T9_T10_S3_lS5_S3_lS4_T11_S3_li.has_indirect_call, 0
	.section	.AMDGPU.csdata,"",@progbits
; Kernel info:
; codeLenInByte = 1640
; TotalNumSgprs: 33
; NumVgprs: 52
; ScratchSize: 0
; MemoryBound: 0
; FloatMode: 240
; IeeeMode: 1
; LDSByteSize: 2048 bytes/workgroup (compile time only)
; SGPRBlocks: 0
; VGPRBlocks: 3
; NumSGPRsForWavesPerEU: 33
; NumVGPRsForWavesPerEU: 52
; NamedBarCnt: 0
; Occupancy: 16
; WaveLimiterHint : 0
; COMPUTE_PGM_RSRC2:SCRATCH_EN: 0
; COMPUTE_PGM_RSRC2:USER_SGPR: 2
; COMPUTE_PGM_RSRC2:TRAP_HANDLER: 0
; COMPUTE_PGM_RSRC2:TGID_X_EN: 1
; COMPUTE_PGM_RSRC2:TGID_Y_EN: 1
; COMPUTE_PGM_RSRC2:TGID_Z_EN: 1
; COMPUTE_PGM_RSRC2:TIDIG_COMP_CNT: 1
	.section	.text._ZL29rocblas_internal_gemmt_kernelIiLi16ELi32ELi8ELc67ELc67ELc85ELb0ELb0EffPKfPfEviT_T9_T10_S3_lS5_S3_lS4_T11_S3_li,"axG",@progbits,_ZL29rocblas_internal_gemmt_kernelIiLi16ELi32ELi8ELc67ELc67ELc85ELb0ELb0EffPKfPfEviT_T9_T10_S3_lS5_S3_lS4_T11_S3_li,comdat
	.globl	_ZL29rocblas_internal_gemmt_kernelIiLi16ELi32ELi8ELc67ELc67ELc85ELb0ELb0EffPKfPfEviT_T9_T10_S3_lS5_S3_lS4_T11_S3_li ; -- Begin function _ZL29rocblas_internal_gemmt_kernelIiLi16ELi32ELi8ELc67ELc67ELc85ELb0ELb0EffPKfPfEviT_T9_T10_S3_lS5_S3_lS4_T11_S3_li
	.p2align	8
	.type	_ZL29rocblas_internal_gemmt_kernelIiLi16ELi32ELi8ELc67ELc67ELc85ELb0ELb0EffPKfPfEviT_T9_T10_S3_lS5_S3_lS4_T11_S3_li,@function
_ZL29rocblas_internal_gemmt_kernelIiLi16ELi32ELi8ELc67ELc67ELc85ELb0ELb0EffPKfPfEviT_T9_T10_S3_lS5_S3_lS4_T11_S3_li: ; @_ZL29rocblas_internal_gemmt_kernelIiLi16ELi32ELi8ELc67ELc67ELc85ELb0ELb0EffPKfPfEviT_T9_T10_S3_lS5_S3_lS4_T11_S3_li
; %bb.0:
	s_clause 0x1
	s_load_b32 s11, s[0:1], 0x40
	s_load_b96 s[8:10], s[0:1], 0x0
	s_wait_kmcnt 0x0
	s_cmp_neq_f32 s11, 1.0
	s_cselect_b32 s2, -1, 0
	s_delay_alu instid0(SALU_CYCLE_1)
	s_and_b32 vcc_lo, exec_lo, s2
	s_cbranch_vccnz .LBB26_2
; %bb.1:
	s_cmp_lg_u32 s9, 0
	s_cselect_b32 s2, -1, 0
	s_cmp_neq_f32 s10, 0
	s_cselect_b32 s3, -1, 0
	s_delay_alu instid0(SALU_CYCLE_1)
	s_and_b32 s2, s2, s3
.LBB26_2:
	s_delay_alu instid0(SALU_CYCLE_1)
	s_and_not1_b32 vcc_lo, exec_lo, s2
	s_cbranch_vccnz .LBB26_33
; %bb.3:
	s_load_b32 s19, s[0:1], 0x60
	s_bfe_u32 s2, ttmp6, 0x40014
	s_lshr_b32 s3, ttmp7, 16
	s_add_co_i32 s2, s2, 1
	s_bfe_u32 s5, ttmp6, 0x40008
	s_mul_i32 s4, s3, s2
	s_getreg_b32 s2, hwreg(HW_REG_IB_STS2, 6, 4)
	s_add_co_i32 s5, s5, s4
	s_cmp_eq_u32 s2, 0
	s_mov_b32 s21, 0
	s_cselect_b32 s20, s3, s5
	s_wait_kmcnt 0x0
	s_cmp_ge_u32 s20, s19
	s_cbranch_scc1 .LBB26_33
; %bb.4:
	s_clause 0x2
	s_load_b96 s[16:18], s[0:1], 0x10
	s_load_b32 s24, s[0:1], 0x30
	s_load_b96 s[12:14], s[0:1], 0x48
	v_and_b32_e32 v9, 0x3ff, v0
	v_bfe_u32 v10, v0, 10, 10
	s_clause 0x2
	s_load_b128 s[4:7], s[0:1], 0x20
	s_load_b64 s[26:27], s[0:1], 0x38
	s_load_b64 s[22:23], s[0:1], 0x58
	s_wait_xcnt 0x0
	s_bfe_u32 s0, ttmp6, 0x4000c
	s_bfe_u32 s1, ttmp6, 0x40010
	s_and_b32 s28, ttmp7, 0xffff
	s_add_co_i32 s29, s0, 1
	s_add_co_i32 s30, s1, 1
	v_lshl_add_u32 v1, v10, 4, v9
	s_and_b32 s15, ttmp6, 15
	v_and_b32_e32 v0, 7, v0
	v_lshl_add_u32 v25, v10, 5, 0x400
	s_delay_alu instid0(VALU_DEP_3)
	v_dual_mov_b32 v11, 0 :: v_dual_bitop2_b32 v4, 31, v1 bitop3:0x40
	v_dual_lshrrev_b32 v5, 3, v1 :: v_dual_lshrrev_b32 v22, 5, v1
	s_wait_kmcnt 0x0
	s_ashr_i32 s1, s18, 31
	s_mov_b32 s0, s18
	s_mul_i32 s18, ttmp9, s29
	s_mul_i32 s29, s28, s30
	s_bfe_u32 s30, ttmp6, 0x40004
	s_ashr_i32 s25, s24, 31
	s_ashr_i32 s3, s14, 31
	s_add_co_i32 s15, s15, s18
	s_add_co_i32 s30, s30, s29
	s_cmp_eq_u32 s2, 0
	s_cselect_b32 s2, ttmp9, s15
	s_cselect_b32 s15, s28, s30
	s_lshl_b32 s18, s2, 5
	s_lshl_b32 s15, s15, 5
	s_delay_alu instid0(SALU_CYCLE_1) | instskip(SKIP_1) | instid1(VALU_DEP_2)
	v_dual_add_nc_u32 v12, s15, v5 :: v_dual_bitop2_b32 v2, s18, v4 bitop3:0x54
	v_dual_mov_b32 v1, v11 :: v_dual_add_nc_u32 v14, s15, v10
	v_dual_lshlrev_b32 v4, 2, v4 :: v_dual_ashrrev_i32 v3, 31, v2
	s_mov_b32 s2, s14
	s_delay_alu instid0(VALU_DEP_2) | instskip(NEXT) | instid1(VALU_DEP_3)
	v_mul_u64_e32 v[18:19], s[24:25], v[0:1]
	v_dual_add_nc_u32 v20, 16, v14 :: v_dual_ashrrev_i32 v15, 31, v14
	s_delay_alu instid0(VALU_DEP_3) | instskip(SKIP_2) | instid1(VALU_DEP_4)
	v_mul_u64_e32 v[16:17], s[0:1], v[2:3]
	v_lshlrev_b32_e32 v3, 2, v0
	v_cmp_gt_i32_e64 s0, s8, v2
	v_dual_ashrrev_i32 v21, 31, v20 :: v_dual_add_nc_u32 v2, s18, v9
	v_lshl_or_b32 v1, v22, 7, v4
	s_delay_alu instid0(VALU_DEP_4) | instskip(SKIP_1) | instid1(VALU_DEP_4)
	v_lshl_or_b32 v3, v5, 5, v3
	v_mul_u64_e32 v[4:5], s[2:3], v[14:15]
	v_mul_u64_e32 v[6:7], s[2:3], v[20:21]
	v_dual_ashrrev_i32 v13, 31, v12 :: v_dual_add_nc_u32 v8, 16, v2
	v_cmp_gt_i32_e64 s1, s8, v12
	s_cmp_neq_f32 s10, 0
	v_lshlrev_b32_e32 v10, 2, v22
	v_lshlrev_b64_e32 v[12:13], 2, v[12:13]
	v_cmp_gt_i32_e32 vcc_lo, s8, v14
	s_cselect_b32 s14, -1, 0
	s_cmp_gt_i32 s9, 0
	v_cmp_le_i32_e64 s2, v2, v14
	v_lshlrev_b32_e32 v24, 2, v9
	v_cmp_le_i32_e64 s3, v8, v14
	v_ashrrev_i32_e32 v9, 31, v8
	s_cselect_b32 s15, -1, 0
	s_cmp_neq_f32 s11, 0
	v_add_nc_u32_e32 v23, 0x400, v3
	v_ashrrev_i32_e32 v3, 31, v2
	s_cselect_b32 s18, -1, 0
	s_and_b32 s28, vcc_lo, s2
	v_lshl_add_u64 v[12:13], v[18:19], 2, v[12:13]
	s_and_b32 s29, vcc_lo, s3
	v_cmp_gt_i32_e32 vcc_lo, s8, v20
	v_lshl_add_u64 v[10:11], v[16:17], 2, v[10:11]
	v_cmp_le_i32_e64 s2, v2, v20
	v_cmp_le_i32_e64 s3, v8, v20
	v_add_nc_u64_e32 v[12:13], s[6:7], v[12:13]
	s_lshl_b64 s[6:7], s[24:25], 5
	v_add_nc_u64_e32 v[10:11], s[16:17], v[10:11]
	s_and_b32 s8, vcc_lo, s2
	s_and_b32 s30, vcc_lo, s3
	s_and_b32 s16, s14, s15
	s_lshl_b64 s[2:3], s[4:5], 2
	s_lshl_b64 s[4:5], s[26:27], 2
	s_branch .LBB26_6
.LBB26_5:                               ;   in Loop: Header=BB26_6 Depth=1
	s_wait_xcnt 0x0
	s_or_b32 exec_lo, exec_lo, s14
	s_add_co_i32 s20, s20, 0x10000
	s_delay_alu instid0(SALU_CYCLE_1)
	s_cmp_lt_u32 s20, s19
	s_cbranch_scc0 .LBB26_33
.LBB26_6:                               ; =>This Loop Header: Depth=1
                                        ;     Child Loop BB26_9 Depth 2
	v_dual_mov_b32 v21, 0 :: v_dual_mov_b32 v20, 0
	v_dual_mov_b32 v15, 0 :: v_dual_mov_b32 v14, 0
	s_and_not1_b32 vcc_lo, exec_lo, s16
	s_cbranch_vccnz .LBB26_13
; %bb.7:                                ;   in Loop: Header=BB26_6 Depth=1
	v_mad_nc_u64_u32 v[16:17], s2, s20, v[10:11]
	v_mad_nc_u64_u32 v[18:19], s4, s20, v[12:13]
	v_mov_b32_e32 v14, 0
	s_mov_b32 s14, 0
	s_delay_alu instid0(VALU_DEP_1)
	v_dual_mov_b32 v15, v14 :: v_dual_mov_b32 v20, v14
	v_mov_b32_e32 v21, v14
	v_mad_u32 v17, s3, s20, v17
	v_mad_u32 v19, s5, s20, v19
	s_branch .LBB26_9
.LBB26_8:                               ;   in Loop: Header=BB26_9 Depth=2
	s_wait_xcnt 0x0
	s_or_b32 exec_lo, exec_lo, s15
	s_wait_loadcnt 0x0
	ds_store_b32 v23, v27
	s_wait_dscnt 0x0
	s_barrier_signal -1
	s_barrier_wait -1
	ds_load_b128 v[26:29], v25
	ds_load_2addr_b32 v[42:43], v24 offset1:16
	ds_load_b128 v[30:33], v25 offset:512
	ds_load_2addr_b32 v[44:45], v24 offset0:32 offset1:48
	ds_load_2addr_b32 v[46:47], v24 offset0:64 offset1:80
	;; [unrolled: 1-line block ×3, first 2 shown]
	ds_load_b128 v[34:37], v25 offset:16
	ds_load_2addr_b32 v[50:51], v24 offset0:128 offset1:144
	ds_load_b128 v[38:41], v25 offset:528
	v_add_nc_u64_e32 v[16:17], 32, v[16:17]
	v_add_nc_u64_e32 v[18:19], s[6:7], v[18:19]
	s_add_co_i32 s14, s14, 8
	s_delay_alu instid0(SALU_CYCLE_1)
	s_cmp_lt_i32 s14, s9
	s_wait_dscnt 0x7
	v_pk_fma_f32 v[20:21], v[42:43], v[26:27], v[20:21] op_sel_hi:[1,0,1]
	s_wait_dscnt 0x6
	v_pk_fma_f32 v[14:15], v[42:43], v[30:31], v[14:15] op_sel_hi:[1,0,1]
	ds_load_2addr_b32 v[42:43], v24 offset0:160 offset1:176
	s_wait_dscnt 0x6
	v_pk_fma_f32 v[20:21], v[44:45], v[26:27], v[20:21] op_sel:[0,1,0]
	v_pk_fma_f32 v[14:15], v[44:45], v[30:31], v[14:15] op_sel:[0,1,0]
	ds_load_2addr_b32 v[26:27], v24 offset0:192 offset1:208
	v_dual_mov_b32 v30, v29 :: v_dual_mov_b32 v44, v33
	s_wait_dscnt 0x6
	v_pk_fma_f32 v[20:21], v[46:47], v[28:29], v[20:21] op_sel_hi:[1,0,1]
	v_pk_fma_f32 v[14:15], v[46:47], v[32:33], v[14:15] op_sel_hi:[1,0,1]
	ds_load_2addr_b32 v[28:29], v24 offset0:224 offset1:240
	s_wait_dscnt 0x3
	v_mov_b32_e32 v32, v41
	s_wait_dscnt 0x0
	v_pk_fma_f32 v[20:21], v[48:49], v[30:31], v[20:21] op_sel_hi:[1,0,1]
	v_pk_fma_f32 v[14:15], v[48:49], v[44:45], v[14:15] op_sel_hi:[1,0,1]
	v_mov_b32_e32 v30, v37
	s_barrier_signal -1
	s_barrier_wait -1
	v_pk_fma_f32 v[20:21], v[50:51], v[34:35], v[20:21] op_sel_hi:[1,0,1]
	v_pk_fma_f32 v[14:15], v[50:51], v[38:39], v[14:15] op_sel_hi:[1,0,1]
	s_delay_alu instid0(VALU_DEP_2) | instskip(NEXT) | instid1(VALU_DEP_2)
	v_pk_fma_f32 v[20:21], v[42:43], v[34:35], v[20:21] op_sel:[0,1,0]
	v_pk_fma_f32 v[14:15], v[42:43], v[38:39], v[14:15] op_sel:[0,1,0]
	s_delay_alu instid0(VALU_DEP_2) | instskip(NEXT) | instid1(VALU_DEP_2)
	v_pk_fma_f32 v[20:21], v[26:27], v[36:37], v[20:21] op_sel_hi:[1,0,1]
	v_pk_fma_f32 v[14:15], v[26:27], v[40:41], v[14:15] op_sel_hi:[1,0,1]
	s_delay_alu instid0(VALU_DEP_2) | instskip(NEXT) | instid1(VALU_DEP_2)
	v_pk_fma_f32 v[20:21], v[28:29], v[30:31], v[20:21] op_sel_hi:[1,0,1]
	v_pk_fma_f32 v[14:15], v[28:29], v[32:33], v[14:15] op_sel_hi:[1,0,1]
	s_cbranch_scc0 .LBB26_13
.LBB26_9:                               ;   Parent Loop BB26_6 Depth=1
                                        ; =>  This Inner Loop Header: Depth=2
	v_add_nc_u32_e32 v26, s14, v22
	s_delay_alu instid0(VALU_DEP_1) | instskip(SKIP_2) | instid1(SALU_CYCLE_1)
	v_cmp_gt_i32_e32 vcc_lo, s9, v26
	v_mov_b32_e32 v26, 0
	s_and_b32 s17, s0, vcc_lo
	s_and_saveexec_b32 s15, s17
	s_cbranch_execz .LBB26_11
; %bb.10:                               ;   in Loop: Header=BB26_9 Depth=2
	global_load_b32 v26, v[16:17], off
.LBB26_11:                              ;   in Loop: Header=BB26_9 Depth=2
	s_wait_xcnt 0x0
	s_or_b32 exec_lo, exec_lo, s15
	v_add_nc_u32_e32 v27, s14, v0
	s_wait_loadcnt 0x0
	ds_store_b32 v1, v26
	v_cmp_gt_i32_e32 vcc_lo, s9, v27
	v_mov_b32_e32 v27, 0
	s_and_b32 s17, vcc_lo, s1
	s_delay_alu instid0(SALU_CYCLE_1)
	s_and_saveexec_b32 s15, s17
	s_cbranch_execz .LBB26_8
; %bb.12:                               ;   in Loop: Header=BB26_9 Depth=2
	global_load_b32 v27, v[18:19], off
	s_branch .LBB26_8
.LBB26_13:                              ;   in Loop: Header=BB26_6 Depth=1
	s_mul_u64 s[14:15], s[22:23], s[20:21]
	s_delay_alu instid0(SALU_CYCLE_1) | instskip(NEXT) | instid1(SALU_CYCLE_1)
	s_lshl_b64 s[14:15], s[14:15], 2
	s_add_nc_u64 s[14:15], s[12:13], s[14:15]
	s_delay_alu instid0(SALU_CYCLE_1)
	v_lshl_add_u64 v[16:17], v[4:5], 2, s[14:15]
	s_and_saveexec_b32 s17, s28
	s_cbranch_execz .LBB26_17
; %bb.14:                               ;   in Loop: Header=BB26_6 Depth=1
	v_mul_f32_e32 v20, s10, v20
	s_delay_alu instid0(VALU_DEP_2)
	v_lshl_add_u64 v[18:19], v[2:3], 2, v[16:17]
	s_and_b32 vcc_lo, exec_lo, s18
	s_cbranch_vccz .LBB26_28
; %bb.15:                               ;   in Loop: Header=BB26_6 Depth=1
	global_load_b32 v26, v[18:19], off
	s_wait_loadcnt 0x0
	v_fma_f32 v26, s11, v26, v20
	global_store_b32 v[18:19], v26, off
	s_cbranch_execnz .LBB26_17
.LBB26_16:                              ;   in Loop: Header=BB26_6 Depth=1
	global_store_b32 v[18:19], v20, off
.LBB26_17:                              ;   in Loop: Header=BB26_6 Depth=1
	s_wait_xcnt 0x0
	s_or_b32 exec_lo, exec_lo, s17
	s_and_saveexec_b32 s17, s29
	s_cbranch_execz .LBB26_21
; %bb.18:                               ;   in Loop: Header=BB26_6 Depth=1
	v_mul_f32_e32 v18, s10, v21
	v_lshl_add_u64 v[16:17], v[8:9], 2, v[16:17]
	s_and_not1_b32 vcc_lo, exec_lo, s18
	s_cbranch_vccnz .LBB26_29
; %bb.19:                               ;   in Loop: Header=BB26_6 Depth=1
	global_load_b32 v19, v[16:17], off
	s_wait_loadcnt 0x0
	v_fma_f32 v19, s11, v19, v18
	global_store_b32 v[16:17], v19, off
	s_cbranch_execnz .LBB26_21
.LBB26_20:                              ;   in Loop: Header=BB26_6 Depth=1
	global_store_b32 v[16:17], v18, off
.LBB26_21:                              ;   in Loop: Header=BB26_6 Depth=1
	s_wait_xcnt 0x0
	s_or_b32 exec_lo, exec_lo, s17
	v_lshl_add_u64 v[16:17], v[6:7], 2, s[14:15]
	s_and_saveexec_b32 s14, s8
	s_cbranch_execz .LBB26_25
; %bb.22:                               ;   in Loop: Header=BB26_6 Depth=1
	v_mul_f32_e32 v14, s10, v14
	s_delay_alu instid0(VALU_DEP_2)
	v_lshl_add_u64 v[18:19], v[2:3], 2, v[16:17]
	s_and_not1_b32 vcc_lo, exec_lo, s18
	s_cbranch_vccnz .LBB26_30
; %bb.23:                               ;   in Loop: Header=BB26_6 Depth=1
	global_load_b32 v20, v[18:19], off
	s_wait_loadcnt 0x0
	v_fma_f32 v20, s11, v20, v14
	global_store_b32 v[18:19], v20, off
	s_cbranch_execnz .LBB26_25
.LBB26_24:                              ;   in Loop: Header=BB26_6 Depth=1
	global_store_b32 v[18:19], v14, off
.LBB26_25:                              ;   in Loop: Header=BB26_6 Depth=1
	s_wait_xcnt 0x0
	s_or_b32 exec_lo, exec_lo, s14
	s_and_saveexec_b32 s14, s30
	s_cbranch_execz .LBB26_5
; %bb.26:                               ;   in Loop: Header=BB26_6 Depth=1
	v_mul_f32_e32 v18, s10, v15
	v_lshl_add_u64 v[14:15], v[8:9], 2, v[16:17]
	s_and_not1_b32 vcc_lo, exec_lo, s18
	s_cbranch_vccnz .LBB26_31
; %bb.27:                               ;   in Loop: Header=BB26_6 Depth=1
	global_load_b32 v16, v[14:15], off
	s_wait_loadcnt 0x0
	v_fma_f32 v16, s11, v16, v18
	global_store_b32 v[14:15], v16, off
	s_cbranch_execnz .LBB26_5
	s_branch .LBB26_32
.LBB26_28:                              ;   in Loop: Header=BB26_6 Depth=1
	s_branch .LBB26_16
.LBB26_29:                              ;   in Loop: Header=BB26_6 Depth=1
	s_branch .LBB26_20
.LBB26_30:                              ;   in Loop: Header=BB26_6 Depth=1
	s_branch .LBB26_24
.LBB26_31:                              ;   in Loop: Header=BB26_6 Depth=1
.LBB26_32:                              ;   in Loop: Header=BB26_6 Depth=1
	global_store_b32 v[14:15], v18, off
	s_branch .LBB26_5
.LBB26_33:
	s_endpgm
	.section	.rodata,"a",@progbits
	.p2align	6, 0x0
	.amdhsa_kernel _ZL29rocblas_internal_gemmt_kernelIiLi16ELi32ELi8ELc67ELc67ELc85ELb0ELb0EffPKfPfEviT_T9_T10_S3_lS5_S3_lS4_T11_S3_li
		.amdhsa_group_segment_fixed_size 2048
		.amdhsa_private_segment_fixed_size 0
		.amdhsa_kernarg_size 100
		.amdhsa_user_sgpr_count 2
		.amdhsa_user_sgpr_dispatch_ptr 0
		.amdhsa_user_sgpr_queue_ptr 0
		.amdhsa_user_sgpr_kernarg_segment_ptr 1
		.amdhsa_user_sgpr_dispatch_id 0
		.amdhsa_user_sgpr_kernarg_preload_length 0
		.amdhsa_user_sgpr_kernarg_preload_offset 0
		.amdhsa_user_sgpr_private_segment_size 0
		.amdhsa_wavefront_size32 1
		.amdhsa_uses_dynamic_stack 0
		.amdhsa_enable_private_segment 0
		.amdhsa_system_sgpr_workgroup_id_x 1
		.amdhsa_system_sgpr_workgroup_id_y 1
		.amdhsa_system_sgpr_workgroup_id_z 1
		.amdhsa_system_sgpr_workgroup_info 0
		.amdhsa_system_vgpr_workitem_id 1
		.amdhsa_next_free_vgpr 52
		.amdhsa_next_free_sgpr 31
		.amdhsa_named_barrier_count 0
		.amdhsa_reserve_vcc 1
		.amdhsa_float_round_mode_32 0
		.amdhsa_float_round_mode_16_64 0
		.amdhsa_float_denorm_mode_32 3
		.amdhsa_float_denorm_mode_16_64 3
		.amdhsa_fp16_overflow 0
		.amdhsa_memory_ordered 1
		.amdhsa_forward_progress 1
		.amdhsa_inst_pref_size 13
		.amdhsa_round_robin_scheduling 0
		.amdhsa_exception_fp_ieee_invalid_op 0
		.amdhsa_exception_fp_denorm_src 0
		.amdhsa_exception_fp_ieee_div_zero 0
		.amdhsa_exception_fp_ieee_overflow 0
		.amdhsa_exception_fp_ieee_underflow 0
		.amdhsa_exception_fp_ieee_inexact 0
		.amdhsa_exception_int_div_zero 0
	.end_amdhsa_kernel
	.section	.text._ZL29rocblas_internal_gemmt_kernelIiLi16ELi32ELi8ELc67ELc67ELc85ELb0ELb0EffPKfPfEviT_T9_T10_S3_lS5_S3_lS4_T11_S3_li,"axG",@progbits,_ZL29rocblas_internal_gemmt_kernelIiLi16ELi32ELi8ELc67ELc67ELc85ELb0ELb0EffPKfPfEviT_T9_T10_S3_lS5_S3_lS4_T11_S3_li,comdat
.Lfunc_end26:
	.size	_ZL29rocblas_internal_gemmt_kernelIiLi16ELi32ELi8ELc67ELc67ELc85ELb0ELb0EffPKfPfEviT_T9_T10_S3_lS5_S3_lS4_T11_S3_li, .Lfunc_end26-_ZL29rocblas_internal_gemmt_kernelIiLi16ELi32ELi8ELc67ELc67ELc85ELb0ELb0EffPKfPfEviT_T9_T10_S3_lS5_S3_lS4_T11_S3_li
                                        ; -- End function
	.set _ZL29rocblas_internal_gemmt_kernelIiLi16ELi32ELi8ELc67ELc67ELc85ELb0ELb0EffPKfPfEviT_T9_T10_S3_lS5_S3_lS4_T11_S3_li.num_vgpr, 52
	.set _ZL29rocblas_internal_gemmt_kernelIiLi16ELi32ELi8ELc67ELc67ELc85ELb0ELb0EffPKfPfEviT_T9_T10_S3_lS5_S3_lS4_T11_S3_li.num_agpr, 0
	.set _ZL29rocblas_internal_gemmt_kernelIiLi16ELi32ELi8ELc67ELc67ELc85ELb0ELb0EffPKfPfEviT_T9_T10_S3_lS5_S3_lS4_T11_S3_li.numbered_sgpr, 31
	.set _ZL29rocblas_internal_gemmt_kernelIiLi16ELi32ELi8ELc67ELc67ELc85ELb0ELb0EffPKfPfEviT_T9_T10_S3_lS5_S3_lS4_T11_S3_li.num_named_barrier, 0
	.set _ZL29rocblas_internal_gemmt_kernelIiLi16ELi32ELi8ELc67ELc67ELc85ELb0ELb0EffPKfPfEviT_T9_T10_S3_lS5_S3_lS4_T11_S3_li.private_seg_size, 0
	.set _ZL29rocblas_internal_gemmt_kernelIiLi16ELi32ELi8ELc67ELc67ELc85ELb0ELb0EffPKfPfEviT_T9_T10_S3_lS5_S3_lS4_T11_S3_li.uses_vcc, 1
	.set _ZL29rocblas_internal_gemmt_kernelIiLi16ELi32ELi8ELc67ELc67ELc85ELb0ELb0EffPKfPfEviT_T9_T10_S3_lS5_S3_lS4_T11_S3_li.uses_flat_scratch, 0
	.set _ZL29rocblas_internal_gemmt_kernelIiLi16ELi32ELi8ELc67ELc67ELc85ELb0ELb0EffPKfPfEviT_T9_T10_S3_lS5_S3_lS4_T11_S3_li.has_dyn_sized_stack, 0
	.set _ZL29rocblas_internal_gemmt_kernelIiLi16ELi32ELi8ELc67ELc67ELc85ELb0ELb0EffPKfPfEviT_T9_T10_S3_lS5_S3_lS4_T11_S3_li.has_recursion, 0
	.set _ZL29rocblas_internal_gemmt_kernelIiLi16ELi32ELi8ELc67ELc67ELc85ELb0ELb0EffPKfPfEviT_T9_T10_S3_lS5_S3_lS4_T11_S3_li.has_indirect_call, 0
	.section	.AMDGPU.csdata,"",@progbits
; Kernel info:
; codeLenInByte = 1640
; TotalNumSgprs: 33
; NumVgprs: 52
; ScratchSize: 0
; MemoryBound: 0
; FloatMode: 240
; IeeeMode: 1
; LDSByteSize: 2048 bytes/workgroup (compile time only)
; SGPRBlocks: 0
; VGPRBlocks: 3
; NumSGPRsForWavesPerEU: 33
; NumVGPRsForWavesPerEU: 52
; NamedBarCnt: 0
; Occupancy: 16
; WaveLimiterHint : 0
; COMPUTE_PGM_RSRC2:SCRATCH_EN: 0
; COMPUTE_PGM_RSRC2:USER_SGPR: 2
; COMPUTE_PGM_RSRC2:TRAP_HANDLER: 0
; COMPUTE_PGM_RSRC2:TGID_X_EN: 1
; COMPUTE_PGM_RSRC2:TGID_Y_EN: 1
; COMPUTE_PGM_RSRC2:TGID_Z_EN: 1
; COMPUTE_PGM_RSRC2:TIDIG_COMP_CNT: 1
	.section	.text._ZL29rocblas_internal_gemmt_kernelIiLi16ELi32ELi8ELc78ELc78ELc76ELb0ELb0EffPKfPfEviT_T9_T10_S3_lS5_S3_lS4_T11_S3_li,"axG",@progbits,_ZL29rocblas_internal_gemmt_kernelIiLi16ELi32ELi8ELc78ELc78ELc76ELb0ELb0EffPKfPfEviT_T9_T10_S3_lS5_S3_lS4_T11_S3_li,comdat
	.globl	_ZL29rocblas_internal_gemmt_kernelIiLi16ELi32ELi8ELc78ELc78ELc76ELb0ELb0EffPKfPfEviT_T9_T10_S3_lS5_S3_lS4_T11_S3_li ; -- Begin function _ZL29rocblas_internal_gemmt_kernelIiLi16ELi32ELi8ELc78ELc78ELc76ELb0ELb0EffPKfPfEviT_T9_T10_S3_lS5_S3_lS4_T11_S3_li
	.p2align	8
	.type	_ZL29rocblas_internal_gemmt_kernelIiLi16ELi32ELi8ELc78ELc78ELc76ELb0ELb0EffPKfPfEviT_T9_T10_S3_lS5_S3_lS4_T11_S3_li,@function
_ZL29rocblas_internal_gemmt_kernelIiLi16ELi32ELi8ELc78ELc78ELc76ELb0ELb0EffPKfPfEviT_T9_T10_S3_lS5_S3_lS4_T11_S3_li: ; @_ZL29rocblas_internal_gemmt_kernelIiLi16ELi32ELi8ELc78ELc78ELc76ELb0ELb0EffPKfPfEviT_T9_T10_S3_lS5_S3_lS4_T11_S3_li
; %bb.0:
	s_clause 0x1
	s_load_b32 s7, s[0:1], 0x40
	s_load_b96 s[4:6], s[0:1], 0x0
	s_wait_kmcnt 0x0
	s_cmp_neq_f32 s7, 1.0
	s_cselect_b32 s2, -1, 0
	s_delay_alu instid0(SALU_CYCLE_1)
	s_and_b32 vcc_lo, exec_lo, s2
	s_cbranch_vccnz .LBB27_2
; %bb.1:
	s_cmp_lg_u32 s5, 0
	s_cselect_b32 s2, -1, 0
	s_cmp_neq_f32 s6, 0
	s_cselect_b32 s3, -1, 0
	s_delay_alu instid0(SALU_CYCLE_1)
	s_and_b32 s2, s2, s3
.LBB27_2:
	s_delay_alu instid0(SALU_CYCLE_1)
	s_and_not1_b32 vcc_lo, exec_lo, s2
	s_cbranch_vccnz .LBB27_33
; %bb.3:
	s_load_b32 s26, s[0:1], 0x60
	s_bfe_u32 s2, ttmp6, 0x40014
	s_lshr_b32 s3, ttmp7, 16
	s_add_co_i32 s2, s2, 1
	s_bfe_u32 s8, ttmp6, 0x40008
	s_mul_i32 s2, s3, s2
	s_getreg_b32 s15, hwreg(HW_REG_IB_STS2, 6, 4)
	s_add_co_i32 s8, s8, s2
	s_cmp_eq_u32 s15, 0
	s_mov_b32 s21, 0
	s_cselect_b32 s20, s3, s8
	s_wait_kmcnt 0x0
	s_cmp_ge_u32 s20, s26
	s_cbranch_scc1 .LBB27_33
; %bb.4:
	s_clause 0x2
	s_load_b96 s[16:18], s[0:1], 0x10
	s_load_b32 s2, s[0:1], 0x30
	s_load_b96 s[12:14], s[0:1], 0x48
	v_and_b32_e32 v8, 0x3ff, v0
	v_bfe_u32 v9, v0, 10, 10
	s_clause 0x2
	s_load_b128 s[8:11], s[0:1], 0x20
	s_load_b64 s[24:25], s[0:1], 0x38
	s_load_b64 s[22:23], s[0:1], 0x58
	s_wait_xcnt 0x0
	s_bfe_u32 s1, ttmp6, 0x4000c
	s_bfe_u32 s28, ttmp6, 0x40010
	s_and_b32 s27, ttmp7, 0xffff
	s_add_co_i32 s1, s1, 1
	s_add_co_i32 s28, s28, 1
	v_lshl_add_u32 v1, v9, 4, v8
	s_and_b32 s0, ttmp6, 15
	s_mul_i32 s1, ttmp9, s1
	s_mul_i32 s28, s27, s28
	s_bfe_u32 s30, ttmp6, 0x40004
	s_add_co_i32 s0, s0, s1
	s_add_co_i32 s30, s30, s28
	v_dual_lshrrev_b32 v4, 3, v1 :: v_dual_bitop2_b32 v5, 31, v1 bitop3:0x40
	s_wait_kmcnt 0x0
	s_ashr_i32 s19, s18, 31
	s_ashr_i32 s3, s2, 31
	;; [unrolled: 1-line block ×3, first 2 shown]
	s_cmp_eq_u32 s15, 0
	v_dual_lshrrev_b32 v0, 5, v1 :: v_dual_bitop2_b32 v22, 7, v0 bitop3:0x40
	s_cselect_b32 s0, ttmp9, s0
	s_cselect_b32 s1, s27, s30
	s_lshl_b32 s15, s0, 5
	s_lshl_b32 s0, s1, 5
	s_delay_alu instid0(SALU_CYCLE_1) | instskip(SKIP_2) | instid1(VALU_DEP_3)
	v_dual_add_nc_u32 v2, s0, v4 :: v_dual_bitop2_b32 v10, s15, v5 bitop3:0x54
	v_dual_mov_b32 v1, 0 :: v_dual_add_nc_u32 v12, s0, v9
	v_dual_lshlrev_b32 v20, 2, v22 :: v_dual_lshlrev_b32 v5, 2, v5
	v_ashrrev_i32_e32 v3, 31, v2
	s_delay_alu instid0(VALU_DEP_3) | instskip(NEXT) | instid1(VALU_DEP_4)
	v_mul_u64_e32 v[14:15], s[18:19], v[0:1]
	v_dual_add_nc_u32 v18, 16, v12 :: v_dual_ashrrev_i32 v13, 31, v12
	s_mov_b32 s28, s14
	s_delay_alu instid0(VALU_DEP_3) | instskip(SKIP_1) | instid1(VALU_DEP_3)
	v_mul_u64_e32 v[16:17], s[2:3], v[2:3]
	v_lshl_or_b32 v23, v0, 7, v5
	v_ashrrev_i32_e32 v19, 31, v18
	v_lshl_or_b32 v3, v4, 5, v20
	v_mul_u64_e32 v[4:5], s[28:29], v[12:13]
	v_cmp_gt_i32_e64 s1, s4, v2
	v_dual_add_nc_u32 v2, s15, v8 :: v_dual_lshlrev_b32 v25, 2, v8
	v_mul_u64_e32 v[6:7], s[28:29], v[18:19]
	v_dual_mov_b32 v21, v1 :: v_dual_add_nc_u32 v24, 0x400, v3
	s_delay_alu instid0(VALU_DEP_3) | instskip(SKIP_3) | instid1(VALU_DEP_4)
	v_dual_add_nc_u32 v8, 16, v2 :: v_dual_ashrrev_i32 v3, 31, v2
	v_ashrrev_i32_e32 v11, 31, v10
	v_cmp_gt_i32_e64 s0, s4, v10
	v_lshl_add_u32 v26, v9, 5, 0x400
	v_ashrrev_i32_e32 v9, 31, v8
	s_cmp_neq_f32 s6, 0
	v_lshlrev_b64_e32 v[10:11], 2, v[10:11]
	v_cmp_le_i32_e32 vcc_lo, v12, v2
	v_cmp_gt_i32_e64 s2, s4, v2
	s_cselect_b32 s14, -1, 0
	s_cmp_gt_i32 s5, 0
	v_cmp_le_i32_e64 s3, v12, v8
	v_cmp_gt_i32_e64 s4, s4, v8
	s_cselect_b32 s31, -1, 0
	s_cmp_neq_f32 s7, 0
	v_lshl_add_u64 v[10:11], v[14:15], 2, v[10:11]
	s_cselect_b32 s27, -1, 0
	s_and_b32 s28, vcc_lo, s2
	v_lshl_add_u64 v[12:13], v[16:17], 2, v[20:21]
	s_and_b32 s29, s3, s4
	v_cmp_le_i32_e32 vcc_lo, v18, v2
	v_cmp_le_i32_e64 s3, v18, v8
	v_add_nc_u64_e32 v[10:11], s[16:17], v[10:11]
	v_add_nc_u64_e32 v[12:13], s[10:11], v[12:13]
	s_and_b32 s16, s14, s31
	s_and_b32 s30, vcc_lo, s2
	s_and_b32 s4, s3, s4
	s_lshl_b64 s[2:3], s[8:9], 2
	s_lshl_b64 s[8:9], s[18:19], 5
	s_lshl_b64 s[10:11], s[24:25], 2
	s_branch .LBB27_6
.LBB27_5:                               ;   in Loop: Header=BB27_6 Depth=1
	s_wait_xcnt 0x0
	s_or_b32 exec_lo, exec_lo, s14
	s_add_co_i32 s20, s20, 0x10000
	s_delay_alu instid0(SALU_CYCLE_1)
	s_cmp_lt_u32 s20, s26
	s_cbranch_scc0 .LBB27_33
.LBB27_6:                               ; =>This Loop Header: Depth=1
                                        ;     Child Loop BB27_9 Depth 2
	v_dual_mov_b32 v21, 0 :: v_dual_mov_b32 v20, 0
	v_dual_mov_b32 v15, 0 :: v_dual_mov_b32 v14, 0
	s_and_not1_b32 vcc_lo, exec_lo, s16
	s_cbranch_vccnz .LBB27_13
; %bb.7:                                ;   in Loop: Header=BB27_6 Depth=1
	v_mad_nc_u64_u32 v[16:17], s2, s20, v[10:11]
	v_mad_nc_u64_u32 v[18:19], s10, s20, v[12:13]
	v_mov_b32_e32 v14, 0
	s_mov_b32 s14, 0
	s_delay_alu instid0(VALU_DEP_1)
	v_dual_mov_b32 v15, v14 :: v_dual_mov_b32 v20, v14
	v_mov_b32_e32 v21, v14
	v_mad_u32 v17, s3, s20, v17
	v_mad_u32 v19, s11, s20, v19
	s_branch .LBB27_9
.LBB27_8:                               ;   in Loop: Header=BB27_9 Depth=2
	s_wait_xcnt 0x0
	s_or_b32 exec_lo, exec_lo, s15
	s_wait_loadcnt 0x0
	ds_store_b32 v24, v27
	s_wait_dscnt 0x0
	s_barrier_signal -1
	s_barrier_wait -1
	ds_load_b128 v[28:31], v26
	ds_load_2addr_b32 v[44:45], v25 offset1:16
	ds_load_b128 v[32:35], v26 offset:512
	ds_load_2addr_b32 v[46:47], v25 offset0:32 offset1:48
	ds_load_2addr_b32 v[48:49], v25 offset0:64 offset1:80
	;; [unrolled: 1-line block ×3, first 2 shown]
	ds_load_b128 v[36:39], v26 offset:16
	ds_load_2addr_b32 v[52:53], v25 offset0:128 offset1:144
	ds_load_b128 v[40:43], v26 offset:528
	v_add_nc_u64_e32 v[16:17], s[8:9], v[16:17]
	v_add_nc_u64_e32 v[18:19], 32, v[18:19]
	s_add_co_i32 s14, s14, 8
	s_delay_alu instid0(SALU_CYCLE_1)
	s_cmp_lt_i32 s14, s5
	s_wait_dscnt 0x7
	v_pk_fma_f32 v[20:21], v[44:45], v[28:29], v[20:21] op_sel_hi:[1,0,1]
	s_wait_dscnt 0x6
	v_pk_fma_f32 v[14:15], v[44:45], v[32:33], v[14:15] op_sel_hi:[1,0,1]
	ds_load_2addr_b32 v[44:45], v25 offset0:160 offset1:176
	s_wait_dscnt 0x6
	v_pk_fma_f32 v[20:21], v[46:47], v[28:29], v[20:21] op_sel:[0,1,0]
	v_pk_fma_f32 v[14:15], v[46:47], v[32:33], v[14:15] op_sel:[0,1,0]
	ds_load_2addr_b32 v[28:29], v25 offset0:192 offset1:208
	v_dual_mov_b32 v32, v31 :: v_dual_mov_b32 v46, v35
	s_wait_dscnt 0x6
	v_pk_fma_f32 v[20:21], v[48:49], v[30:31], v[20:21] op_sel_hi:[1,0,1]
	v_pk_fma_f32 v[14:15], v[48:49], v[34:35], v[14:15] op_sel_hi:[1,0,1]
	ds_load_2addr_b32 v[30:31], v25 offset0:224 offset1:240
	s_wait_dscnt 0x3
	v_mov_b32_e32 v34, v43
	s_wait_dscnt 0x0
	v_pk_fma_f32 v[20:21], v[50:51], v[32:33], v[20:21] op_sel_hi:[1,0,1]
	v_pk_fma_f32 v[14:15], v[50:51], v[46:47], v[14:15] op_sel_hi:[1,0,1]
	v_mov_b32_e32 v32, v39
	s_barrier_signal -1
	s_barrier_wait -1
	v_pk_fma_f32 v[20:21], v[52:53], v[36:37], v[20:21] op_sel_hi:[1,0,1]
	v_pk_fma_f32 v[14:15], v[52:53], v[40:41], v[14:15] op_sel_hi:[1,0,1]
	s_delay_alu instid0(VALU_DEP_2) | instskip(NEXT) | instid1(VALU_DEP_2)
	v_pk_fma_f32 v[20:21], v[44:45], v[36:37], v[20:21] op_sel:[0,1,0]
	v_pk_fma_f32 v[14:15], v[44:45], v[40:41], v[14:15] op_sel:[0,1,0]
	s_delay_alu instid0(VALU_DEP_2) | instskip(NEXT) | instid1(VALU_DEP_2)
	v_pk_fma_f32 v[20:21], v[28:29], v[38:39], v[20:21] op_sel_hi:[1,0,1]
	v_pk_fma_f32 v[14:15], v[28:29], v[42:43], v[14:15] op_sel_hi:[1,0,1]
	s_delay_alu instid0(VALU_DEP_2) | instskip(NEXT) | instid1(VALU_DEP_2)
	v_pk_fma_f32 v[20:21], v[30:31], v[32:33], v[20:21] op_sel_hi:[1,0,1]
	v_pk_fma_f32 v[14:15], v[30:31], v[34:35], v[14:15] op_sel_hi:[1,0,1]
	s_cbranch_scc0 .LBB27_13
.LBB27_9:                               ;   Parent Loop BB27_6 Depth=1
                                        ; =>  This Inner Loop Header: Depth=2
	v_add_nc_u32_e32 v1, s14, v0
	s_delay_alu instid0(VALU_DEP_1) | instskip(SKIP_2) | instid1(SALU_CYCLE_1)
	v_cmp_gt_i32_e32 vcc_lo, s5, v1
	v_mov_b32_e32 v1, 0
	s_and_b32 s17, s0, vcc_lo
	s_and_saveexec_b32 s15, s17
	s_cbranch_execz .LBB27_11
; %bb.10:                               ;   in Loop: Header=BB27_9 Depth=2
	global_load_b32 v1, v[16:17], off
.LBB27_11:                              ;   in Loop: Header=BB27_9 Depth=2
	s_wait_xcnt 0x0
	s_or_b32 exec_lo, exec_lo, s15
	v_add_nc_u32_e32 v27, s14, v22
	s_wait_loadcnt 0x0
	ds_store_b32 v23, v1
	v_cmp_gt_i32_e32 vcc_lo, s5, v27
	v_mov_b32_e32 v27, 0
	s_and_b32 s17, vcc_lo, s1
	s_delay_alu instid0(SALU_CYCLE_1)
	s_and_saveexec_b32 s15, s17
	s_cbranch_execz .LBB27_8
; %bb.12:                               ;   in Loop: Header=BB27_9 Depth=2
	global_load_b32 v27, v[18:19], off
	s_branch .LBB27_8
.LBB27_13:                              ;   in Loop: Header=BB27_6 Depth=1
	s_mul_u64 s[14:15], s[22:23], s[20:21]
	s_delay_alu instid0(SALU_CYCLE_1) | instskip(NEXT) | instid1(SALU_CYCLE_1)
	s_lshl_b64 s[14:15], s[14:15], 2
	s_add_nc_u64 s[14:15], s[12:13], s[14:15]
	s_delay_alu instid0(SALU_CYCLE_1)
	v_lshl_add_u64 v[16:17], v[4:5], 2, s[14:15]
	s_and_saveexec_b32 s17, s28
	s_cbranch_execz .LBB27_17
; %bb.14:                               ;   in Loop: Header=BB27_6 Depth=1
	v_mul_f32_e32 v1, s6, v20
	s_delay_alu instid0(VALU_DEP_2)
	v_lshl_add_u64 v[18:19], v[2:3], 2, v[16:17]
	s_and_b32 vcc_lo, exec_lo, s27
	s_cbranch_vccz .LBB27_28
; %bb.15:                               ;   in Loop: Header=BB27_6 Depth=1
	global_load_b32 v20, v[18:19], off
	s_wait_loadcnt 0x0
	v_fma_f32 v20, s7, v20, v1
	global_store_b32 v[18:19], v20, off
	s_cbranch_execnz .LBB27_17
.LBB27_16:                              ;   in Loop: Header=BB27_6 Depth=1
	global_store_b32 v[18:19], v1, off
.LBB27_17:                              ;   in Loop: Header=BB27_6 Depth=1
	s_wait_xcnt 0x0
	s_or_b32 exec_lo, exec_lo, s17
	s_and_saveexec_b32 s17, s29
	s_cbranch_execz .LBB27_21
; %bb.18:                               ;   in Loop: Header=BB27_6 Depth=1
	v_mul_f32_e32 v1, s6, v21
	v_lshl_add_u64 v[16:17], v[8:9], 2, v[16:17]
	s_and_not1_b32 vcc_lo, exec_lo, s27
	s_cbranch_vccnz .LBB27_29
; %bb.19:                               ;   in Loop: Header=BB27_6 Depth=1
	global_load_b32 v18, v[16:17], off
	s_wait_loadcnt 0x0
	v_fma_f32 v18, s7, v18, v1
	global_store_b32 v[16:17], v18, off
	s_cbranch_execnz .LBB27_21
.LBB27_20:                              ;   in Loop: Header=BB27_6 Depth=1
	global_store_b32 v[16:17], v1, off
.LBB27_21:                              ;   in Loop: Header=BB27_6 Depth=1
	s_wait_xcnt 0x0
	s_or_b32 exec_lo, exec_lo, s17
	v_lshl_add_u64 v[16:17], v[6:7], 2, s[14:15]
	s_and_saveexec_b32 s14, s30
	s_cbranch_execz .LBB27_25
; %bb.22:                               ;   in Loop: Header=BB27_6 Depth=1
	v_mul_f32_e32 v1, s6, v14
	s_delay_alu instid0(VALU_DEP_2)
	v_lshl_add_u64 v[18:19], v[2:3], 2, v[16:17]
	s_and_not1_b32 vcc_lo, exec_lo, s27
	s_cbranch_vccnz .LBB27_30
; %bb.23:                               ;   in Loop: Header=BB27_6 Depth=1
	global_load_b32 v14, v[18:19], off
	s_wait_loadcnt 0x0
	v_fma_f32 v14, s7, v14, v1
	global_store_b32 v[18:19], v14, off
	s_cbranch_execnz .LBB27_25
.LBB27_24:                              ;   in Loop: Header=BB27_6 Depth=1
	global_store_b32 v[18:19], v1, off
.LBB27_25:                              ;   in Loop: Header=BB27_6 Depth=1
	s_wait_xcnt 0x0
	s_or_b32 exec_lo, exec_lo, s14
	s_and_saveexec_b32 s14, s4
	s_cbranch_execz .LBB27_5
; %bb.26:                               ;   in Loop: Header=BB27_6 Depth=1
	v_mul_f32_e32 v1, s6, v15
	v_lshl_add_u64 v[14:15], v[8:9], 2, v[16:17]
	s_and_not1_b32 vcc_lo, exec_lo, s27
	s_cbranch_vccnz .LBB27_31
; %bb.27:                               ;   in Loop: Header=BB27_6 Depth=1
	global_load_b32 v16, v[14:15], off
	s_wait_loadcnt 0x0
	v_fma_f32 v16, s7, v16, v1
	global_store_b32 v[14:15], v16, off
	s_cbranch_execnz .LBB27_5
	s_branch .LBB27_32
.LBB27_28:                              ;   in Loop: Header=BB27_6 Depth=1
	s_branch .LBB27_16
.LBB27_29:                              ;   in Loop: Header=BB27_6 Depth=1
	s_branch .LBB27_20
.LBB27_30:                              ;   in Loop: Header=BB27_6 Depth=1
	s_branch .LBB27_24
.LBB27_31:                              ;   in Loop: Header=BB27_6 Depth=1
.LBB27_32:                              ;   in Loop: Header=BB27_6 Depth=1
	global_store_b32 v[14:15], v1, off
	s_branch .LBB27_5
.LBB27_33:
	s_endpgm
	.section	.rodata,"a",@progbits
	.p2align	6, 0x0
	.amdhsa_kernel _ZL29rocblas_internal_gemmt_kernelIiLi16ELi32ELi8ELc78ELc78ELc76ELb0ELb0EffPKfPfEviT_T9_T10_S3_lS5_S3_lS4_T11_S3_li
		.amdhsa_group_segment_fixed_size 2048
		.amdhsa_private_segment_fixed_size 0
		.amdhsa_kernarg_size 100
		.amdhsa_user_sgpr_count 2
		.amdhsa_user_sgpr_dispatch_ptr 0
		.amdhsa_user_sgpr_queue_ptr 0
		.amdhsa_user_sgpr_kernarg_segment_ptr 1
		.amdhsa_user_sgpr_dispatch_id 0
		.amdhsa_user_sgpr_kernarg_preload_length 0
		.amdhsa_user_sgpr_kernarg_preload_offset 0
		.amdhsa_user_sgpr_private_segment_size 0
		.amdhsa_wavefront_size32 1
		.amdhsa_uses_dynamic_stack 0
		.amdhsa_enable_private_segment 0
		.amdhsa_system_sgpr_workgroup_id_x 1
		.amdhsa_system_sgpr_workgroup_id_y 1
		.amdhsa_system_sgpr_workgroup_id_z 1
		.amdhsa_system_sgpr_workgroup_info 0
		.amdhsa_system_vgpr_workitem_id 1
		.amdhsa_next_free_vgpr 54
		.amdhsa_next_free_sgpr 32
		.amdhsa_named_barrier_count 0
		.amdhsa_reserve_vcc 1
		.amdhsa_float_round_mode_32 0
		.amdhsa_float_round_mode_16_64 0
		.amdhsa_float_denorm_mode_32 3
		.amdhsa_float_denorm_mode_16_64 3
		.amdhsa_fp16_overflow 0
		.amdhsa_memory_ordered 1
		.amdhsa_forward_progress 1
		.amdhsa_inst_pref_size 13
		.amdhsa_round_robin_scheduling 0
		.amdhsa_exception_fp_ieee_invalid_op 0
		.amdhsa_exception_fp_denorm_src 0
		.amdhsa_exception_fp_ieee_div_zero 0
		.amdhsa_exception_fp_ieee_overflow 0
		.amdhsa_exception_fp_ieee_underflow 0
		.amdhsa_exception_fp_ieee_inexact 0
		.amdhsa_exception_int_div_zero 0
	.end_amdhsa_kernel
	.section	.text._ZL29rocblas_internal_gemmt_kernelIiLi16ELi32ELi8ELc78ELc78ELc76ELb0ELb0EffPKfPfEviT_T9_T10_S3_lS5_S3_lS4_T11_S3_li,"axG",@progbits,_ZL29rocblas_internal_gemmt_kernelIiLi16ELi32ELi8ELc78ELc78ELc76ELb0ELb0EffPKfPfEviT_T9_T10_S3_lS5_S3_lS4_T11_S3_li,comdat
.Lfunc_end27:
	.size	_ZL29rocblas_internal_gemmt_kernelIiLi16ELi32ELi8ELc78ELc78ELc76ELb0ELb0EffPKfPfEviT_T9_T10_S3_lS5_S3_lS4_T11_S3_li, .Lfunc_end27-_ZL29rocblas_internal_gemmt_kernelIiLi16ELi32ELi8ELc78ELc78ELc76ELb0ELb0EffPKfPfEviT_T9_T10_S3_lS5_S3_lS4_T11_S3_li
                                        ; -- End function
	.set _ZL29rocblas_internal_gemmt_kernelIiLi16ELi32ELi8ELc78ELc78ELc76ELb0ELb0EffPKfPfEviT_T9_T10_S3_lS5_S3_lS4_T11_S3_li.num_vgpr, 54
	.set _ZL29rocblas_internal_gemmt_kernelIiLi16ELi32ELi8ELc78ELc78ELc76ELb0ELb0EffPKfPfEviT_T9_T10_S3_lS5_S3_lS4_T11_S3_li.num_agpr, 0
	.set _ZL29rocblas_internal_gemmt_kernelIiLi16ELi32ELi8ELc78ELc78ELc76ELb0ELb0EffPKfPfEviT_T9_T10_S3_lS5_S3_lS4_T11_S3_li.numbered_sgpr, 32
	.set _ZL29rocblas_internal_gemmt_kernelIiLi16ELi32ELi8ELc78ELc78ELc76ELb0ELb0EffPKfPfEviT_T9_T10_S3_lS5_S3_lS4_T11_S3_li.num_named_barrier, 0
	.set _ZL29rocblas_internal_gemmt_kernelIiLi16ELi32ELi8ELc78ELc78ELc76ELb0ELb0EffPKfPfEviT_T9_T10_S3_lS5_S3_lS4_T11_S3_li.private_seg_size, 0
	.set _ZL29rocblas_internal_gemmt_kernelIiLi16ELi32ELi8ELc78ELc78ELc76ELb0ELb0EffPKfPfEviT_T9_T10_S3_lS5_S3_lS4_T11_S3_li.uses_vcc, 1
	.set _ZL29rocblas_internal_gemmt_kernelIiLi16ELi32ELi8ELc78ELc78ELc76ELb0ELb0EffPKfPfEviT_T9_T10_S3_lS5_S3_lS4_T11_S3_li.uses_flat_scratch, 0
	.set _ZL29rocblas_internal_gemmt_kernelIiLi16ELi32ELi8ELc78ELc78ELc76ELb0ELb0EffPKfPfEviT_T9_T10_S3_lS5_S3_lS4_T11_S3_li.has_dyn_sized_stack, 0
	.set _ZL29rocblas_internal_gemmt_kernelIiLi16ELi32ELi8ELc78ELc78ELc76ELb0ELb0EffPKfPfEviT_T9_T10_S3_lS5_S3_lS4_T11_S3_li.has_recursion, 0
	.set _ZL29rocblas_internal_gemmt_kernelIiLi16ELi32ELi8ELc78ELc78ELc76ELb0ELb0EffPKfPfEviT_T9_T10_S3_lS5_S3_lS4_T11_S3_li.has_indirect_call, 0
	.section	.AMDGPU.csdata,"",@progbits
; Kernel info:
; codeLenInByte = 1628
; TotalNumSgprs: 34
; NumVgprs: 54
; ScratchSize: 0
; MemoryBound: 0
; FloatMode: 240
; IeeeMode: 1
; LDSByteSize: 2048 bytes/workgroup (compile time only)
; SGPRBlocks: 0
; VGPRBlocks: 3
; NumSGPRsForWavesPerEU: 34
; NumVGPRsForWavesPerEU: 54
; NamedBarCnt: 0
; Occupancy: 16
; WaveLimiterHint : 0
; COMPUTE_PGM_RSRC2:SCRATCH_EN: 0
; COMPUTE_PGM_RSRC2:USER_SGPR: 2
; COMPUTE_PGM_RSRC2:TRAP_HANDLER: 0
; COMPUTE_PGM_RSRC2:TGID_X_EN: 1
; COMPUTE_PGM_RSRC2:TGID_Y_EN: 1
; COMPUTE_PGM_RSRC2:TGID_Z_EN: 1
; COMPUTE_PGM_RSRC2:TIDIG_COMP_CNT: 1
	.section	.text._ZL29rocblas_internal_gemmt_kernelIiLi16ELi32ELi8ELc78ELc84ELc76ELb0ELb0EffPKfPfEviT_T9_T10_S3_lS5_S3_lS4_T11_S3_li,"axG",@progbits,_ZL29rocblas_internal_gemmt_kernelIiLi16ELi32ELi8ELc78ELc84ELc76ELb0ELb0EffPKfPfEviT_T9_T10_S3_lS5_S3_lS4_T11_S3_li,comdat
	.globl	_ZL29rocblas_internal_gemmt_kernelIiLi16ELi32ELi8ELc78ELc84ELc76ELb0ELb0EffPKfPfEviT_T9_T10_S3_lS5_S3_lS4_T11_S3_li ; -- Begin function _ZL29rocblas_internal_gemmt_kernelIiLi16ELi32ELi8ELc78ELc84ELc76ELb0ELb0EffPKfPfEviT_T9_T10_S3_lS5_S3_lS4_T11_S3_li
	.p2align	8
	.type	_ZL29rocblas_internal_gemmt_kernelIiLi16ELi32ELi8ELc78ELc84ELc76ELb0ELb0EffPKfPfEviT_T9_T10_S3_lS5_S3_lS4_T11_S3_li,@function
_ZL29rocblas_internal_gemmt_kernelIiLi16ELi32ELi8ELc78ELc84ELc76ELb0ELb0EffPKfPfEviT_T9_T10_S3_lS5_S3_lS4_T11_S3_li: ; @_ZL29rocblas_internal_gemmt_kernelIiLi16ELi32ELi8ELc78ELc84ELc76ELb0ELb0EffPKfPfEviT_T9_T10_S3_lS5_S3_lS4_T11_S3_li
; %bb.0:
	s_clause 0x1
	s_load_b32 s7, s[0:1], 0x40
	s_load_b96 s[4:6], s[0:1], 0x0
	s_wait_kmcnt 0x0
	s_cmp_neq_f32 s7, 1.0
	s_cselect_b32 s2, -1, 0
	s_delay_alu instid0(SALU_CYCLE_1)
	s_and_b32 vcc_lo, exec_lo, s2
	s_cbranch_vccnz .LBB28_2
; %bb.1:
	s_cmp_lg_u32 s5, 0
	s_cselect_b32 s2, -1, 0
	s_cmp_neq_f32 s6, 0
	s_cselect_b32 s3, -1, 0
	s_delay_alu instid0(SALU_CYCLE_1)
	s_and_b32 s2, s2, s3
.LBB28_2:
	s_delay_alu instid0(SALU_CYCLE_1)
	s_and_not1_b32 vcc_lo, exec_lo, s2
	s_cbranch_vccnz .LBB28_33
; %bb.3:
	s_load_b32 s28, s[0:1], 0x60
	s_bfe_u32 s2, ttmp6, 0x40014
	s_lshr_b32 s3, ttmp7, 16
	s_add_co_i32 s2, s2, 1
	s_bfe_u32 s9, ttmp6, 0x40008
	s_mul_i32 s8, s3, s2
	s_getreg_b32 s2, hwreg(HW_REG_IB_STS2, 6, 4)
	s_add_co_i32 s9, s9, s8
	s_cmp_eq_u32 s2, 0
	s_mov_b32 s21, 0
	s_cselect_b32 s20, s3, s9
	s_wait_kmcnt 0x0
	s_cmp_ge_u32 s20, s28
	s_cbranch_scc1 .LBB28_33
; %bb.4:
	s_clause 0x2
	s_load_b96 s[16:18], s[0:1], 0x10
	s_load_b32 s24, s[0:1], 0x30
	s_load_b96 s[12:14], s[0:1], 0x48
	v_and_b32_e32 v5, 0x3ff, v0
	v_bfe_u32 v10, v0, 10, 10
	s_clause 0x2
	s_load_b128 s[8:11], s[0:1], 0x20
	s_load_b64 s[26:27], s[0:1], 0x38
	s_load_b64 s[22:23], s[0:1], 0x58
	s_wait_xcnt 0x0
	s_bfe_u32 s1, ttmp6, 0x4000c
	s_bfe_u32 s29, ttmp6, 0x40010
	s_and_b32 s3, ttmp7, 0xffff
	s_add_co_i32 s1, s1, 1
	s_add_co_i32 s29, s29, 1
	v_lshl_add_u32 v1, v10, 4, v5
	s_and_b32 s0, ttmp6, 15
	s_mul_i32 s1, ttmp9, s1
	s_mul_i32 s29, s3, s29
	s_bfe_u32 s30, ttmp6, 0x40004
	s_add_co_i32 s0, s0, s1
	s_add_co_i32 s30, s30, s29
	v_dual_lshrrev_b32 v6, 3, v1 :: v_dual_bitop2_b32 v4, 31, v1 bitop3:0x40
	s_wait_kmcnt 0x0
	s_ashr_i32 s19, s18, 31
	s_ashr_i32 s25, s24, 31
	;; [unrolled: 1-line block ×3, first 2 shown]
	s_cmp_eq_u32 s2, 0
	v_dual_lshrrev_b32 v2, 5, v1 :: v_dual_bitop2_b32 v0, 7, v0 bitop3:0x40
	s_cselect_b32 s0, ttmp9, s0
	s_cselect_b32 s1, s3, s30
	s_lshl_b32 s2, s0, 5
	s_delay_alu instid0(SALU_CYCLE_1) | instskip(SKIP_1) | instid1(SALU_CYCLE_1)
	v_dual_mov_b32 v3, 0 :: v_dual_bitop2_b32 v12, s2, v4 bitop3:0x54
	s_lshl_b32 s0, s1, 5
	v_dual_lshlrev_b32 v7, 2, v0 :: v_dual_add_nc_u32 v16, s0, v10
	s_delay_alu instid0(VALU_DEP_2) | instskip(SKIP_2) | instid1(VALU_DEP_4)
	v_dual_mov_b32 v1, v3 :: v_dual_add_nc_u32 v14, s0, v6
	v_mul_u64_e32 v[18:19], s[18:19], v[2:3]
	v_lshl_add_u32 v25, v10, 5, 0x400
	v_dual_add_nc_u32 v22, 16, v16 :: v_dual_ashrrev_i32 v17, 31, v16
	s_delay_alu instid0(VALU_DEP_4) | instskip(SKIP_2) | instid1(VALU_DEP_4)
	v_mul_u64_e32 v[20:21], s[24:25], v[0:1]
	v_lshlrev_b32_e32 v3, 2, v4
	v_lshl_or_b32 v4, v6, 5, v7
	v_ashrrev_i32_e32 v23, 31, v22
	v_mul_u64_e32 v[6:7], s[14:15], v[16:17]
	v_ashrrev_i32_e32 v15, 31, v14
	v_lshl_or_b32 v1, v2, 7, v3
	v_add_nc_u32_e32 v3, 0x400, v4
	v_mul_u64_e32 v[8:9], s[14:15], v[22:23]
	v_dual_add_nc_u32 v4, s2, v5 :: v_dual_lshlrev_b32 v24, 2, v5
	v_cmp_gt_i32_e64 s0, s4, v12
	v_cmp_gt_i32_e64 s1, s4, v14
	v_lshlrev_b64_e32 v[14:15], 2, v[14:15]
	s_delay_alu instid0(VALU_DEP_4)
	v_add_nc_u32_e32 v10, 16, v4
	v_ashrrev_i32_e32 v13, 31, v12
	s_cmp_neq_f32 s6, 0
	v_cmp_le_i32_e32 vcc_lo, v16, v4
	v_cmp_gt_i32_e64 s2, s4, v4
	v_ashrrev_i32_e32 v11, 31, v10
	v_lshlrev_b64_e32 v[12:13], 2, v[12:13]
	s_cselect_b32 s34, -1, 0
	s_cmp_gt_i32 s5, 0
	v_cmp_le_i32_e64 s3, v16, v10
	v_cmp_gt_i32_e64 s4, s4, v10
	s_cselect_b32 s35, -1, 0
	s_cmp_neq_f32 s7, 0
	v_ashrrev_i32_e32 v5, 31, v4
	v_lshl_add_u64 v[12:13], v[18:19], 2, v[12:13]
	s_cselect_b32 s29, -1, 0
	s_and_b32 s30, vcc_lo, s2
	v_lshl_add_u64 v[14:15], v[20:21], 2, v[14:15]
	s_and_b32 s31, s3, s4
	v_cmp_le_i32_e32 vcc_lo, v22, v4
	v_cmp_le_i32_e64 s3, v22, v10
	v_add_nc_u64_e32 v[12:13], s[16:17], v[12:13]
	v_add_nc_u64_e32 v[14:15], s[10:11], v[14:15]
	s_and_b32 s34, s34, s35
	s_and_b32 s33, vcc_lo, s2
	s_and_b32 s4, s3, s4
	s_lshl_b64 s[2:3], s[8:9], 2
	s_lshl_b64 s[8:9], s[18:19], 5
	;; [unrolled: 1-line block ×4, first 2 shown]
	s_branch .LBB28_6
.LBB28_5:                               ;   in Loop: Header=BB28_6 Depth=1
	s_wait_xcnt 0x0
	s_or_b32 exec_lo, exec_lo, s16
	s_add_co_i32 s20, s20, 0x10000
	s_delay_alu instid0(SALU_CYCLE_1)
	s_cmp_lt_u32 s20, s28
	s_cbranch_scc0 .LBB28_33
.LBB28_6:                               ; =>This Loop Header: Depth=1
                                        ;     Child Loop BB28_9 Depth 2
	v_dual_mov_b32 v23, 0 :: v_dual_mov_b32 v22, 0
	v_dual_mov_b32 v17, 0 :: v_dual_mov_b32 v16, 0
	s_and_not1_b32 vcc_lo, exec_lo, s34
	s_cbranch_vccnz .LBB28_13
; %bb.7:                                ;   in Loop: Header=BB28_6 Depth=1
	v_mad_nc_u64_u32 v[18:19], s2, s20, v[12:13]
	v_mad_nc_u64_u32 v[20:21], s10, s20, v[14:15]
	v_mov_b32_e32 v16, 0
	s_mov_b32 s16, 0
	s_delay_alu instid0(VALU_DEP_1)
	v_dual_mov_b32 v17, v16 :: v_dual_mov_b32 v22, v16
	v_mov_b32_e32 v23, v16
	v_mad_u32 v19, s3, s20, v19
	v_mad_u32 v21, s11, s20, v21
	s_branch .LBB28_9
.LBB28_8:                               ;   in Loop: Header=BB28_9 Depth=2
	s_wait_xcnt 0x0
	s_or_b32 exec_lo, exec_lo, s17
	s_wait_loadcnt 0x0
	ds_store_b32 v3, v27
	s_wait_dscnt 0x0
	s_barrier_signal -1
	s_barrier_wait -1
	ds_load_b128 v[26:29], v25
	ds_load_2addr_b32 v[42:43], v24 offset1:16
	ds_load_b128 v[30:33], v25 offset:512
	ds_load_2addr_b32 v[44:45], v24 offset0:32 offset1:48
	ds_load_2addr_b32 v[46:47], v24 offset0:64 offset1:80
	;; [unrolled: 1-line block ×3, first 2 shown]
	ds_load_b128 v[34:37], v25 offset:16
	ds_load_2addr_b32 v[50:51], v24 offset0:128 offset1:144
	ds_load_b128 v[38:41], v25 offset:528
	v_add_nc_u64_e32 v[18:19], s[8:9], v[18:19]
	v_add_nc_u64_e32 v[20:21], s[14:15], v[20:21]
	s_add_co_i32 s16, s16, 8
	s_delay_alu instid0(SALU_CYCLE_1)
	s_cmp_lt_i32 s16, s5
	s_wait_dscnt 0x7
	v_pk_fma_f32 v[22:23], v[42:43], v[26:27], v[22:23] op_sel_hi:[1,0,1]
	s_wait_dscnt 0x6
	v_pk_fma_f32 v[16:17], v[42:43], v[30:31], v[16:17] op_sel_hi:[1,0,1]
	ds_load_2addr_b32 v[42:43], v24 offset0:160 offset1:176
	s_wait_dscnt 0x6
	v_pk_fma_f32 v[22:23], v[44:45], v[26:27], v[22:23] op_sel:[0,1,0]
	v_pk_fma_f32 v[16:17], v[44:45], v[30:31], v[16:17] op_sel:[0,1,0]
	ds_load_2addr_b32 v[26:27], v24 offset0:192 offset1:208
	v_dual_mov_b32 v30, v29 :: v_dual_mov_b32 v44, v33
	s_wait_dscnt 0x6
	v_pk_fma_f32 v[22:23], v[46:47], v[28:29], v[22:23] op_sel_hi:[1,0,1]
	v_pk_fma_f32 v[16:17], v[46:47], v[32:33], v[16:17] op_sel_hi:[1,0,1]
	ds_load_2addr_b32 v[28:29], v24 offset0:224 offset1:240
	s_wait_dscnt 0x3
	v_mov_b32_e32 v32, v41
	s_wait_dscnt 0x0
	v_pk_fma_f32 v[22:23], v[48:49], v[30:31], v[22:23] op_sel_hi:[1,0,1]
	v_pk_fma_f32 v[16:17], v[48:49], v[44:45], v[16:17] op_sel_hi:[1,0,1]
	v_mov_b32_e32 v30, v37
	s_barrier_signal -1
	s_barrier_wait -1
	v_pk_fma_f32 v[22:23], v[50:51], v[34:35], v[22:23] op_sel_hi:[1,0,1]
	v_pk_fma_f32 v[16:17], v[50:51], v[38:39], v[16:17] op_sel_hi:[1,0,1]
	s_delay_alu instid0(VALU_DEP_2) | instskip(NEXT) | instid1(VALU_DEP_2)
	v_pk_fma_f32 v[22:23], v[42:43], v[34:35], v[22:23] op_sel:[0,1,0]
	v_pk_fma_f32 v[16:17], v[42:43], v[38:39], v[16:17] op_sel:[0,1,0]
	s_delay_alu instid0(VALU_DEP_2) | instskip(NEXT) | instid1(VALU_DEP_2)
	v_pk_fma_f32 v[22:23], v[26:27], v[36:37], v[22:23] op_sel_hi:[1,0,1]
	v_pk_fma_f32 v[16:17], v[26:27], v[40:41], v[16:17] op_sel_hi:[1,0,1]
	s_delay_alu instid0(VALU_DEP_2) | instskip(NEXT) | instid1(VALU_DEP_2)
	v_pk_fma_f32 v[22:23], v[28:29], v[30:31], v[22:23] op_sel_hi:[1,0,1]
	v_pk_fma_f32 v[16:17], v[28:29], v[32:33], v[16:17] op_sel_hi:[1,0,1]
	s_cbranch_scc0 .LBB28_13
.LBB28_9:                               ;   Parent Loop BB28_6 Depth=1
                                        ; =>  This Inner Loop Header: Depth=2
	v_add_nc_u32_e32 v26, s16, v2
	s_delay_alu instid0(VALU_DEP_1) | instskip(SKIP_2) | instid1(SALU_CYCLE_1)
	v_cmp_gt_i32_e32 vcc_lo, s5, v26
	v_mov_b32_e32 v26, 0
	s_and_b32 s18, s0, vcc_lo
	s_and_saveexec_b32 s17, s18
	s_cbranch_execz .LBB28_11
; %bb.10:                               ;   in Loop: Header=BB28_9 Depth=2
	global_load_b32 v26, v[18:19], off
.LBB28_11:                              ;   in Loop: Header=BB28_9 Depth=2
	s_wait_xcnt 0x0
	s_or_b32 exec_lo, exec_lo, s17
	v_add_nc_u32_e32 v27, s16, v0
	s_wait_loadcnt 0x0
	ds_store_b32 v1, v26
	v_cmp_gt_i32_e32 vcc_lo, s5, v27
	v_mov_b32_e32 v27, 0
	s_and_b32 s18, vcc_lo, s1
	s_delay_alu instid0(SALU_CYCLE_1)
	s_and_saveexec_b32 s17, s18
	s_cbranch_execz .LBB28_8
; %bb.12:                               ;   in Loop: Header=BB28_9 Depth=2
	global_load_b32 v27, v[20:21], off
	s_branch .LBB28_8
.LBB28_13:                              ;   in Loop: Header=BB28_6 Depth=1
	s_mul_u64 s[16:17], s[22:23], s[20:21]
	s_delay_alu instid0(SALU_CYCLE_1) | instskip(NEXT) | instid1(SALU_CYCLE_1)
	s_lshl_b64 s[16:17], s[16:17], 2
	s_add_nc_u64 s[16:17], s[12:13], s[16:17]
	s_delay_alu instid0(SALU_CYCLE_1)
	v_lshl_add_u64 v[18:19], v[6:7], 2, s[16:17]
	s_and_saveexec_b32 s18, s30
	s_cbranch_execz .LBB28_17
; %bb.14:                               ;   in Loop: Header=BB28_6 Depth=1
	v_mul_f32_e32 v22, s6, v22
	s_delay_alu instid0(VALU_DEP_2)
	v_lshl_add_u64 v[20:21], v[4:5], 2, v[18:19]
	s_and_b32 vcc_lo, exec_lo, s29
	s_cbranch_vccz .LBB28_28
; %bb.15:                               ;   in Loop: Header=BB28_6 Depth=1
	global_load_b32 v26, v[20:21], off
	s_wait_loadcnt 0x0
	v_fma_f32 v26, s7, v26, v22
	global_store_b32 v[20:21], v26, off
	s_cbranch_execnz .LBB28_17
.LBB28_16:                              ;   in Loop: Header=BB28_6 Depth=1
	global_store_b32 v[20:21], v22, off
.LBB28_17:                              ;   in Loop: Header=BB28_6 Depth=1
	s_wait_xcnt 0x0
	s_or_b32 exec_lo, exec_lo, s18
	s_and_saveexec_b32 s18, s31
	s_cbranch_execz .LBB28_21
; %bb.18:                               ;   in Loop: Header=BB28_6 Depth=1
	v_mul_f32_e32 v20, s6, v23
	v_lshl_add_u64 v[18:19], v[10:11], 2, v[18:19]
	s_and_not1_b32 vcc_lo, exec_lo, s29
	s_cbranch_vccnz .LBB28_29
; %bb.19:                               ;   in Loop: Header=BB28_6 Depth=1
	global_load_b32 v21, v[18:19], off
	s_wait_loadcnt 0x0
	v_fma_f32 v21, s7, v21, v20
	global_store_b32 v[18:19], v21, off
	s_cbranch_execnz .LBB28_21
.LBB28_20:                              ;   in Loop: Header=BB28_6 Depth=1
	global_store_b32 v[18:19], v20, off
.LBB28_21:                              ;   in Loop: Header=BB28_6 Depth=1
	s_wait_xcnt 0x0
	s_or_b32 exec_lo, exec_lo, s18
	v_lshl_add_u64 v[18:19], v[8:9], 2, s[16:17]
	s_and_saveexec_b32 s16, s33
	s_cbranch_execz .LBB28_25
; %bb.22:                               ;   in Loop: Header=BB28_6 Depth=1
	v_mul_f32_e32 v16, s6, v16
	s_delay_alu instid0(VALU_DEP_2)
	v_lshl_add_u64 v[20:21], v[4:5], 2, v[18:19]
	s_and_not1_b32 vcc_lo, exec_lo, s29
	s_cbranch_vccnz .LBB28_30
; %bb.23:                               ;   in Loop: Header=BB28_6 Depth=1
	global_load_b32 v22, v[20:21], off
	s_wait_loadcnt 0x0
	v_fma_f32 v22, s7, v22, v16
	global_store_b32 v[20:21], v22, off
	s_cbranch_execnz .LBB28_25
.LBB28_24:                              ;   in Loop: Header=BB28_6 Depth=1
	global_store_b32 v[20:21], v16, off
.LBB28_25:                              ;   in Loop: Header=BB28_6 Depth=1
	s_wait_xcnt 0x0
	s_or_b32 exec_lo, exec_lo, s16
	s_and_saveexec_b32 s16, s4
	s_cbranch_execz .LBB28_5
; %bb.26:                               ;   in Loop: Header=BB28_6 Depth=1
	v_mul_f32_e32 v20, s6, v17
	v_lshl_add_u64 v[16:17], v[10:11], 2, v[18:19]
	s_and_not1_b32 vcc_lo, exec_lo, s29
	s_cbranch_vccnz .LBB28_31
; %bb.27:                               ;   in Loop: Header=BB28_6 Depth=1
	global_load_b32 v18, v[16:17], off
	s_wait_loadcnt 0x0
	v_fma_f32 v18, s7, v18, v20
	global_store_b32 v[16:17], v18, off
	s_cbranch_execnz .LBB28_5
	s_branch .LBB28_32
.LBB28_28:                              ;   in Loop: Header=BB28_6 Depth=1
	s_branch .LBB28_16
.LBB28_29:                              ;   in Loop: Header=BB28_6 Depth=1
	s_branch .LBB28_20
.LBB28_30:                              ;   in Loop: Header=BB28_6 Depth=1
	s_branch .LBB28_24
.LBB28_31:                              ;   in Loop: Header=BB28_6 Depth=1
.LBB28_32:                              ;   in Loop: Header=BB28_6 Depth=1
	global_store_b32 v[16:17], v20, off
	s_branch .LBB28_5
.LBB28_33:
	s_endpgm
	.section	.rodata,"a",@progbits
	.p2align	6, 0x0
	.amdhsa_kernel _ZL29rocblas_internal_gemmt_kernelIiLi16ELi32ELi8ELc78ELc84ELc76ELb0ELb0EffPKfPfEviT_T9_T10_S3_lS5_S3_lS4_T11_S3_li
		.amdhsa_group_segment_fixed_size 2048
		.amdhsa_private_segment_fixed_size 0
		.amdhsa_kernarg_size 100
		.amdhsa_user_sgpr_count 2
		.amdhsa_user_sgpr_dispatch_ptr 0
		.amdhsa_user_sgpr_queue_ptr 0
		.amdhsa_user_sgpr_kernarg_segment_ptr 1
		.amdhsa_user_sgpr_dispatch_id 0
		.amdhsa_user_sgpr_kernarg_preload_length 0
		.amdhsa_user_sgpr_kernarg_preload_offset 0
		.amdhsa_user_sgpr_private_segment_size 0
		.amdhsa_wavefront_size32 1
		.amdhsa_uses_dynamic_stack 0
		.amdhsa_enable_private_segment 0
		.amdhsa_system_sgpr_workgroup_id_x 1
		.amdhsa_system_sgpr_workgroup_id_y 1
		.amdhsa_system_sgpr_workgroup_id_z 1
		.amdhsa_system_sgpr_workgroup_info 0
		.amdhsa_system_vgpr_workitem_id 1
		.amdhsa_next_free_vgpr 52
		.amdhsa_next_free_sgpr 36
		.amdhsa_named_barrier_count 0
		.amdhsa_reserve_vcc 1
		.amdhsa_float_round_mode_32 0
		.amdhsa_float_round_mode_16_64 0
		.amdhsa_float_denorm_mode_32 3
		.amdhsa_float_denorm_mode_16_64 3
		.amdhsa_fp16_overflow 0
		.amdhsa_memory_ordered 1
		.amdhsa_forward_progress 1
		.amdhsa_inst_pref_size 13
		.amdhsa_round_robin_scheduling 0
		.amdhsa_exception_fp_ieee_invalid_op 0
		.amdhsa_exception_fp_denorm_src 0
		.amdhsa_exception_fp_ieee_div_zero 0
		.amdhsa_exception_fp_ieee_overflow 0
		.amdhsa_exception_fp_ieee_underflow 0
		.amdhsa_exception_fp_ieee_inexact 0
		.amdhsa_exception_int_div_zero 0
	.end_amdhsa_kernel
	.section	.text._ZL29rocblas_internal_gemmt_kernelIiLi16ELi32ELi8ELc78ELc84ELc76ELb0ELb0EffPKfPfEviT_T9_T10_S3_lS5_S3_lS4_T11_S3_li,"axG",@progbits,_ZL29rocblas_internal_gemmt_kernelIiLi16ELi32ELi8ELc78ELc84ELc76ELb0ELb0EffPKfPfEviT_T9_T10_S3_lS5_S3_lS4_T11_S3_li,comdat
.Lfunc_end28:
	.size	_ZL29rocblas_internal_gemmt_kernelIiLi16ELi32ELi8ELc78ELc84ELc76ELb0ELb0EffPKfPfEviT_T9_T10_S3_lS5_S3_lS4_T11_S3_li, .Lfunc_end28-_ZL29rocblas_internal_gemmt_kernelIiLi16ELi32ELi8ELc78ELc84ELc76ELb0ELb0EffPKfPfEviT_T9_T10_S3_lS5_S3_lS4_T11_S3_li
                                        ; -- End function
	.set _ZL29rocblas_internal_gemmt_kernelIiLi16ELi32ELi8ELc78ELc84ELc76ELb0ELb0EffPKfPfEviT_T9_T10_S3_lS5_S3_lS4_T11_S3_li.num_vgpr, 52
	.set _ZL29rocblas_internal_gemmt_kernelIiLi16ELi32ELi8ELc78ELc84ELc76ELb0ELb0EffPKfPfEviT_T9_T10_S3_lS5_S3_lS4_T11_S3_li.num_agpr, 0
	.set _ZL29rocblas_internal_gemmt_kernelIiLi16ELi32ELi8ELc78ELc84ELc76ELb0ELb0EffPKfPfEviT_T9_T10_S3_lS5_S3_lS4_T11_S3_li.numbered_sgpr, 36
	.set _ZL29rocblas_internal_gemmt_kernelIiLi16ELi32ELi8ELc78ELc84ELc76ELb0ELb0EffPKfPfEviT_T9_T10_S3_lS5_S3_lS4_T11_S3_li.num_named_barrier, 0
	.set _ZL29rocblas_internal_gemmt_kernelIiLi16ELi32ELi8ELc78ELc84ELc76ELb0ELb0EffPKfPfEviT_T9_T10_S3_lS5_S3_lS4_T11_S3_li.private_seg_size, 0
	.set _ZL29rocblas_internal_gemmt_kernelIiLi16ELi32ELi8ELc78ELc84ELc76ELb0ELb0EffPKfPfEviT_T9_T10_S3_lS5_S3_lS4_T11_S3_li.uses_vcc, 1
	.set _ZL29rocblas_internal_gemmt_kernelIiLi16ELi32ELi8ELc78ELc84ELc76ELb0ELb0EffPKfPfEviT_T9_T10_S3_lS5_S3_lS4_T11_S3_li.uses_flat_scratch, 0
	.set _ZL29rocblas_internal_gemmt_kernelIiLi16ELi32ELi8ELc78ELc84ELc76ELb0ELb0EffPKfPfEviT_T9_T10_S3_lS5_S3_lS4_T11_S3_li.has_dyn_sized_stack, 0
	.set _ZL29rocblas_internal_gemmt_kernelIiLi16ELi32ELi8ELc78ELc84ELc76ELb0ELb0EffPKfPfEviT_T9_T10_S3_lS5_S3_lS4_T11_S3_li.has_recursion, 0
	.set _ZL29rocblas_internal_gemmt_kernelIiLi16ELi32ELi8ELc78ELc84ELc76ELb0ELb0EffPKfPfEviT_T9_T10_S3_lS5_S3_lS4_T11_S3_li.has_indirect_call, 0
	.section	.AMDGPU.csdata,"",@progbits
; Kernel info:
; codeLenInByte = 1628
; TotalNumSgprs: 38
; NumVgprs: 52
; ScratchSize: 0
; MemoryBound: 0
; FloatMode: 240
; IeeeMode: 1
; LDSByteSize: 2048 bytes/workgroup (compile time only)
; SGPRBlocks: 0
; VGPRBlocks: 3
; NumSGPRsForWavesPerEU: 38
; NumVGPRsForWavesPerEU: 52
; NamedBarCnt: 0
; Occupancy: 16
; WaveLimiterHint : 0
; COMPUTE_PGM_RSRC2:SCRATCH_EN: 0
; COMPUTE_PGM_RSRC2:USER_SGPR: 2
; COMPUTE_PGM_RSRC2:TRAP_HANDLER: 0
; COMPUTE_PGM_RSRC2:TGID_X_EN: 1
; COMPUTE_PGM_RSRC2:TGID_Y_EN: 1
; COMPUTE_PGM_RSRC2:TGID_Z_EN: 1
; COMPUTE_PGM_RSRC2:TIDIG_COMP_CNT: 1
	.section	.text._ZL29rocblas_internal_gemmt_kernelIiLi16ELi32ELi8ELc78ELc67ELc76ELb0ELb0EffPKfPfEviT_T9_T10_S3_lS5_S3_lS4_T11_S3_li,"axG",@progbits,_ZL29rocblas_internal_gemmt_kernelIiLi16ELi32ELi8ELc78ELc67ELc76ELb0ELb0EffPKfPfEviT_T9_T10_S3_lS5_S3_lS4_T11_S3_li,comdat
	.globl	_ZL29rocblas_internal_gemmt_kernelIiLi16ELi32ELi8ELc78ELc67ELc76ELb0ELb0EffPKfPfEviT_T9_T10_S3_lS5_S3_lS4_T11_S3_li ; -- Begin function _ZL29rocblas_internal_gemmt_kernelIiLi16ELi32ELi8ELc78ELc67ELc76ELb0ELb0EffPKfPfEviT_T9_T10_S3_lS5_S3_lS4_T11_S3_li
	.p2align	8
	.type	_ZL29rocblas_internal_gemmt_kernelIiLi16ELi32ELi8ELc78ELc67ELc76ELb0ELb0EffPKfPfEviT_T9_T10_S3_lS5_S3_lS4_T11_S3_li,@function
_ZL29rocblas_internal_gemmt_kernelIiLi16ELi32ELi8ELc78ELc67ELc76ELb0ELb0EffPKfPfEviT_T9_T10_S3_lS5_S3_lS4_T11_S3_li: ; @_ZL29rocblas_internal_gemmt_kernelIiLi16ELi32ELi8ELc78ELc67ELc76ELb0ELb0EffPKfPfEviT_T9_T10_S3_lS5_S3_lS4_T11_S3_li
; %bb.0:
	s_clause 0x1
	s_load_b32 s7, s[0:1], 0x40
	s_load_b96 s[4:6], s[0:1], 0x0
	s_wait_kmcnt 0x0
	s_cmp_neq_f32 s7, 1.0
	s_cselect_b32 s2, -1, 0
	s_delay_alu instid0(SALU_CYCLE_1)
	s_and_b32 vcc_lo, exec_lo, s2
	s_cbranch_vccnz .LBB29_2
; %bb.1:
	s_cmp_lg_u32 s5, 0
	s_cselect_b32 s2, -1, 0
	s_cmp_neq_f32 s6, 0
	s_cselect_b32 s3, -1, 0
	s_delay_alu instid0(SALU_CYCLE_1)
	s_and_b32 s2, s2, s3
.LBB29_2:
	s_delay_alu instid0(SALU_CYCLE_1)
	s_and_not1_b32 vcc_lo, exec_lo, s2
	s_cbranch_vccnz .LBB29_33
; %bb.3:
	s_load_b32 s28, s[0:1], 0x60
	s_bfe_u32 s2, ttmp6, 0x40014
	s_lshr_b32 s3, ttmp7, 16
	s_add_co_i32 s2, s2, 1
	s_bfe_u32 s9, ttmp6, 0x40008
	s_mul_i32 s8, s3, s2
	s_getreg_b32 s2, hwreg(HW_REG_IB_STS2, 6, 4)
	s_add_co_i32 s9, s9, s8
	s_cmp_eq_u32 s2, 0
	s_mov_b32 s21, 0
	s_cselect_b32 s20, s3, s9
	s_wait_kmcnt 0x0
	s_cmp_ge_u32 s20, s28
	s_cbranch_scc1 .LBB29_33
; %bb.4:
	s_clause 0x2
	s_load_b96 s[16:18], s[0:1], 0x10
	s_load_b32 s24, s[0:1], 0x30
	s_load_b96 s[12:14], s[0:1], 0x48
	v_and_b32_e32 v5, 0x3ff, v0
	v_bfe_u32 v10, v0, 10, 10
	s_clause 0x2
	s_load_b128 s[8:11], s[0:1], 0x20
	s_load_b64 s[26:27], s[0:1], 0x38
	s_load_b64 s[22:23], s[0:1], 0x58
	s_wait_xcnt 0x0
	s_bfe_u32 s1, ttmp6, 0x4000c
	s_bfe_u32 s29, ttmp6, 0x40010
	s_and_b32 s3, ttmp7, 0xffff
	s_add_co_i32 s1, s1, 1
	s_add_co_i32 s29, s29, 1
	v_lshl_add_u32 v1, v10, 4, v5
	s_and_b32 s0, ttmp6, 15
	s_mul_i32 s1, ttmp9, s1
	s_mul_i32 s29, s3, s29
	s_bfe_u32 s30, ttmp6, 0x40004
	s_add_co_i32 s0, s0, s1
	s_add_co_i32 s30, s30, s29
	v_dual_lshrrev_b32 v6, 3, v1 :: v_dual_bitop2_b32 v4, 31, v1 bitop3:0x40
	s_wait_kmcnt 0x0
	s_ashr_i32 s19, s18, 31
	s_ashr_i32 s25, s24, 31
	;; [unrolled: 1-line block ×3, first 2 shown]
	s_cmp_eq_u32 s2, 0
	v_dual_lshrrev_b32 v2, 5, v1 :: v_dual_bitop2_b32 v0, 7, v0 bitop3:0x40
	s_cselect_b32 s0, ttmp9, s0
	s_cselect_b32 s1, s3, s30
	s_lshl_b32 s2, s0, 5
	s_delay_alu instid0(SALU_CYCLE_1) | instskip(SKIP_1) | instid1(SALU_CYCLE_1)
	v_dual_mov_b32 v3, 0 :: v_dual_bitop2_b32 v12, s2, v4 bitop3:0x54
	s_lshl_b32 s0, s1, 5
	v_dual_lshlrev_b32 v7, 2, v0 :: v_dual_add_nc_u32 v16, s0, v10
	s_delay_alu instid0(VALU_DEP_2) | instskip(SKIP_2) | instid1(VALU_DEP_4)
	v_dual_mov_b32 v1, v3 :: v_dual_add_nc_u32 v14, s0, v6
	v_mul_u64_e32 v[18:19], s[18:19], v[2:3]
	v_lshl_add_u32 v25, v10, 5, 0x400
	v_dual_add_nc_u32 v22, 16, v16 :: v_dual_ashrrev_i32 v17, 31, v16
	s_delay_alu instid0(VALU_DEP_4) | instskip(SKIP_2) | instid1(VALU_DEP_4)
	v_mul_u64_e32 v[20:21], s[24:25], v[0:1]
	v_lshlrev_b32_e32 v3, 2, v4
	v_lshl_or_b32 v4, v6, 5, v7
	v_ashrrev_i32_e32 v23, 31, v22
	v_mul_u64_e32 v[6:7], s[14:15], v[16:17]
	v_ashrrev_i32_e32 v15, 31, v14
	v_lshl_or_b32 v1, v2, 7, v3
	v_add_nc_u32_e32 v3, 0x400, v4
	v_mul_u64_e32 v[8:9], s[14:15], v[22:23]
	v_dual_add_nc_u32 v4, s2, v5 :: v_dual_lshlrev_b32 v24, 2, v5
	v_cmp_gt_i32_e64 s0, s4, v12
	v_cmp_gt_i32_e64 s1, s4, v14
	v_lshlrev_b64_e32 v[14:15], 2, v[14:15]
	s_delay_alu instid0(VALU_DEP_4)
	v_add_nc_u32_e32 v10, 16, v4
	v_ashrrev_i32_e32 v13, 31, v12
	s_cmp_neq_f32 s6, 0
	v_cmp_le_i32_e32 vcc_lo, v16, v4
	v_cmp_gt_i32_e64 s2, s4, v4
	v_ashrrev_i32_e32 v11, 31, v10
	v_lshlrev_b64_e32 v[12:13], 2, v[12:13]
	s_cselect_b32 s34, -1, 0
	s_cmp_gt_i32 s5, 0
	v_cmp_le_i32_e64 s3, v16, v10
	v_cmp_gt_i32_e64 s4, s4, v10
	s_cselect_b32 s35, -1, 0
	s_cmp_neq_f32 s7, 0
	v_ashrrev_i32_e32 v5, 31, v4
	v_lshl_add_u64 v[12:13], v[18:19], 2, v[12:13]
	s_cselect_b32 s29, -1, 0
	s_and_b32 s30, vcc_lo, s2
	v_lshl_add_u64 v[14:15], v[20:21], 2, v[14:15]
	s_and_b32 s31, s3, s4
	v_cmp_le_i32_e32 vcc_lo, v22, v4
	v_cmp_le_i32_e64 s3, v22, v10
	v_add_nc_u64_e32 v[12:13], s[16:17], v[12:13]
	v_add_nc_u64_e32 v[14:15], s[10:11], v[14:15]
	s_and_b32 s34, s34, s35
	s_and_b32 s33, vcc_lo, s2
	s_and_b32 s4, s3, s4
	s_lshl_b64 s[2:3], s[8:9], 2
	s_lshl_b64 s[8:9], s[18:19], 5
	;; [unrolled: 1-line block ×4, first 2 shown]
	s_branch .LBB29_6
.LBB29_5:                               ;   in Loop: Header=BB29_6 Depth=1
	s_wait_xcnt 0x0
	s_or_b32 exec_lo, exec_lo, s16
	s_add_co_i32 s20, s20, 0x10000
	s_delay_alu instid0(SALU_CYCLE_1)
	s_cmp_lt_u32 s20, s28
	s_cbranch_scc0 .LBB29_33
.LBB29_6:                               ; =>This Loop Header: Depth=1
                                        ;     Child Loop BB29_9 Depth 2
	v_dual_mov_b32 v23, 0 :: v_dual_mov_b32 v22, 0
	v_dual_mov_b32 v17, 0 :: v_dual_mov_b32 v16, 0
	s_and_not1_b32 vcc_lo, exec_lo, s34
	s_cbranch_vccnz .LBB29_13
; %bb.7:                                ;   in Loop: Header=BB29_6 Depth=1
	v_mad_nc_u64_u32 v[18:19], s2, s20, v[12:13]
	v_mad_nc_u64_u32 v[20:21], s10, s20, v[14:15]
	v_mov_b32_e32 v16, 0
	s_mov_b32 s16, 0
	s_delay_alu instid0(VALU_DEP_1)
	v_dual_mov_b32 v17, v16 :: v_dual_mov_b32 v22, v16
	v_mov_b32_e32 v23, v16
	v_mad_u32 v19, s3, s20, v19
	v_mad_u32 v21, s11, s20, v21
	s_branch .LBB29_9
.LBB29_8:                               ;   in Loop: Header=BB29_9 Depth=2
	s_wait_xcnt 0x0
	s_or_b32 exec_lo, exec_lo, s17
	s_wait_loadcnt 0x0
	ds_store_b32 v3, v27
	s_wait_dscnt 0x0
	s_barrier_signal -1
	s_barrier_wait -1
	ds_load_b128 v[26:29], v25
	ds_load_2addr_b32 v[42:43], v24 offset1:16
	ds_load_b128 v[30:33], v25 offset:512
	ds_load_2addr_b32 v[44:45], v24 offset0:32 offset1:48
	ds_load_2addr_b32 v[46:47], v24 offset0:64 offset1:80
	;; [unrolled: 1-line block ×3, first 2 shown]
	ds_load_b128 v[34:37], v25 offset:16
	ds_load_2addr_b32 v[50:51], v24 offset0:128 offset1:144
	ds_load_b128 v[38:41], v25 offset:528
	v_add_nc_u64_e32 v[18:19], s[8:9], v[18:19]
	v_add_nc_u64_e32 v[20:21], s[14:15], v[20:21]
	s_add_co_i32 s16, s16, 8
	s_delay_alu instid0(SALU_CYCLE_1)
	s_cmp_lt_i32 s16, s5
	s_wait_dscnt 0x7
	v_pk_fma_f32 v[22:23], v[42:43], v[26:27], v[22:23] op_sel_hi:[1,0,1]
	s_wait_dscnt 0x6
	v_pk_fma_f32 v[16:17], v[42:43], v[30:31], v[16:17] op_sel_hi:[1,0,1]
	ds_load_2addr_b32 v[42:43], v24 offset0:160 offset1:176
	s_wait_dscnt 0x6
	v_pk_fma_f32 v[22:23], v[44:45], v[26:27], v[22:23] op_sel:[0,1,0]
	v_pk_fma_f32 v[16:17], v[44:45], v[30:31], v[16:17] op_sel:[0,1,0]
	ds_load_2addr_b32 v[26:27], v24 offset0:192 offset1:208
	v_dual_mov_b32 v30, v29 :: v_dual_mov_b32 v44, v33
	s_wait_dscnt 0x6
	v_pk_fma_f32 v[22:23], v[46:47], v[28:29], v[22:23] op_sel_hi:[1,0,1]
	v_pk_fma_f32 v[16:17], v[46:47], v[32:33], v[16:17] op_sel_hi:[1,0,1]
	ds_load_2addr_b32 v[28:29], v24 offset0:224 offset1:240
	s_wait_dscnt 0x3
	v_mov_b32_e32 v32, v41
	s_wait_dscnt 0x0
	v_pk_fma_f32 v[22:23], v[48:49], v[30:31], v[22:23] op_sel_hi:[1,0,1]
	v_pk_fma_f32 v[16:17], v[48:49], v[44:45], v[16:17] op_sel_hi:[1,0,1]
	v_mov_b32_e32 v30, v37
	s_barrier_signal -1
	s_barrier_wait -1
	v_pk_fma_f32 v[22:23], v[50:51], v[34:35], v[22:23] op_sel_hi:[1,0,1]
	v_pk_fma_f32 v[16:17], v[50:51], v[38:39], v[16:17] op_sel_hi:[1,0,1]
	s_delay_alu instid0(VALU_DEP_2) | instskip(NEXT) | instid1(VALU_DEP_2)
	v_pk_fma_f32 v[22:23], v[42:43], v[34:35], v[22:23] op_sel:[0,1,0]
	v_pk_fma_f32 v[16:17], v[42:43], v[38:39], v[16:17] op_sel:[0,1,0]
	s_delay_alu instid0(VALU_DEP_2) | instskip(NEXT) | instid1(VALU_DEP_2)
	v_pk_fma_f32 v[22:23], v[26:27], v[36:37], v[22:23] op_sel_hi:[1,0,1]
	v_pk_fma_f32 v[16:17], v[26:27], v[40:41], v[16:17] op_sel_hi:[1,0,1]
	s_delay_alu instid0(VALU_DEP_2) | instskip(NEXT) | instid1(VALU_DEP_2)
	v_pk_fma_f32 v[22:23], v[28:29], v[30:31], v[22:23] op_sel_hi:[1,0,1]
	v_pk_fma_f32 v[16:17], v[28:29], v[32:33], v[16:17] op_sel_hi:[1,0,1]
	s_cbranch_scc0 .LBB29_13
.LBB29_9:                               ;   Parent Loop BB29_6 Depth=1
                                        ; =>  This Inner Loop Header: Depth=2
	v_add_nc_u32_e32 v26, s16, v2
	s_delay_alu instid0(VALU_DEP_1) | instskip(SKIP_2) | instid1(SALU_CYCLE_1)
	v_cmp_gt_i32_e32 vcc_lo, s5, v26
	v_mov_b32_e32 v26, 0
	s_and_b32 s18, s0, vcc_lo
	s_and_saveexec_b32 s17, s18
	s_cbranch_execz .LBB29_11
; %bb.10:                               ;   in Loop: Header=BB29_9 Depth=2
	global_load_b32 v26, v[18:19], off
.LBB29_11:                              ;   in Loop: Header=BB29_9 Depth=2
	s_wait_xcnt 0x0
	s_or_b32 exec_lo, exec_lo, s17
	v_add_nc_u32_e32 v27, s16, v0
	s_wait_loadcnt 0x0
	ds_store_b32 v1, v26
	v_cmp_gt_i32_e32 vcc_lo, s5, v27
	v_mov_b32_e32 v27, 0
	s_and_b32 s18, vcc_lo, s1
	s_delay_alu instid0(SALU_CYCLE_1)
	s_and_saveexec_b32 s17, s18
	s_cbranch_execz .LBB29_8
; %bb.12:                               ;   in Loop: Header=BB29_9 Depth=2
	global_load_b32 v27, v[20:21], off
	s_branch .LBB29_8
.LBB29_13:                              ;   in Loop: Header=BB29_6 Depth=1
	s_mul_u64 s[16:17], s[22:23], s[20:21]
	s_delay_alu instid0(SALU_CYCLE_1) | instskip(NEXT) | instid1(SALU_CYCLE_1)
	s_lshl_b64 s[16:17], s[16:17], 2
	s_add_nc_u64 s[16:17], s[12:13], s[16:17]
	s_delay_alu instid0(SALU_CYCLE_1)
	v_lshl_add_u64 v[18:19], v[6:7], 2, s[16:17]
	s_and_saveexec_b32 s18, s30
	s_cbranch_execz .LBB29_17
; %bb.14:                               ;   in Loop: Header=BB29_6 Depth=1
	v_mul_f32_e32 v22, s6, v22
	s_delay_alu instid0(VALU_DEP_2)
	v_lshl_add_u64 v[20:21], v[4:5], 2, v[18:19]
	s_and_b32 vcc_lo, exec_lo, s29
	s_cbranch_vccz .LBB29_28
; %bb.15:                               ;   in Loop: Header=BB29_6 Depth=1
	global_load_b32 v26, v[20:21], off
	s_wait_loadcnt 0x0
	v_fma_f32 v26, s7, v26, v22
	global_store_b32 v[20:21], v26, off
	s_cbranch_execnz .LBB29_17
.LBB29_16:                              ;   in Loop: Header=BB29_6 Depth=1
	global_store_b32 v[20:21], v22, off
.LBB29_17:                              ;   in Loop: Header=BB29_6 Depth=1
	s_wait_xcnt 0x0
	s_or_b32 exec_lo, exec_lo, s18
	s_and_saveexec_b32 s18, s31
	s_cbranch_execz .LBB29_21
; %bb.18:                               ;   in Loop: Header=BB29_6 Depth=1
	v_mul_f32_e32 v20, s6, v23
	v_lshl_add_u64 v[18:19], v[10:11], 2, v[18:19]
	s_and_not1_b32 vcc_lo, exec_lo, s29
	s_cbranch_vccnz .LBB29_29
; %bb.19:                               ;   in Loop: Header=BB29_6 Depth=1
	global_load_b32 v21, v[18:19], off
	s_wait_loadcnt 0x0
	v_fma_f32 v21, s7, v21, v20
	global_store_b32 v[18:19], v21, off
	s_cbranch_execnz .LBB29_21
.LBB29_20:                              ;   in Loop: Header=BB29_6 Depth=1
	global_store_b32 v[18:19], v20, off
.LBB29_21:                              ;   in Loop: Header=BB29_6 Depth=1
	s_wait_xcnt 0x0
	s_or_b32 exec_lo, exec_lo, s18
	v_lshl_add_u64 v[18:19], v[8:9], 2, s[16:17]
	s_and_saveexec_b32 s16, s33
	s_cbranch_execz .LBB29_25
; %bb.22:                               ;   in Loop: Header=BB29_6 Depth=1
	v_mul_f32_e32 v16, s6, v16
	s_delay_alu instid0(VALU_DEP_2)
	v_lshl_add_u64 v[20:21], v[4:5], 2, v[18:19]
	s_and_not1_b32 vcc_lo, exec_lo, s29
	s_cbranch_vccnz .LBB29_30
; %bb.23:                               ;   in Loop: Header=BB29_6 Depth=1
	global_load_b32 v22, v[20:21], off
	s_wait_loadcnt 0x0
	v_fma_f32 v22, s7, v22, v16
	global_store_b32 v[20:21], v22, off
	s_cbranch_execnz .LBB29_25
.LBB29_24:                              ;   in Loop: Header=BB29_6 Depth=1
	global_store_b32 v[20:21], v16, off
.LBB29_25:                              ;   in Loop: Header=BB29_6 Depth=1
	s_wait_xcnt 0x0
	s_or_b32 exec_lo, exec_lo, s16
	s_and_saveexec_b32 s16, s4
	s_cbranch_execz .LBB29_5
; %bb.26:                               ;   in Loop: Header=BB29_6 Depth=1
	v_mul_f32_e32 v20, s6, v17
	v_lshl_add_u64 v[16:17], v[10:11], 2, v[18:19]
	s_and_not1_b32 vcc_lo, exec_lo, s29
	s_cbranch_vccnz .LBB29_31
; %bb.27:                               ;   in Loop: Header=BB29_6 Depth=1
	global_load_b32 v18, v[16:17], off
	s_wait_loadcnt 0x0
	v_fma_f32 v18, s7, v18, v20
	global_store_b32 v[16:17], v18, off
	s_cbranch_execnz .LBB29_5
	s_branch .LBB29_32
.LBB29_28:                              ;   in Loop: Header=BB29_6 Depth=1
	s_branch .LBB29_16
.LBB29_29:                              ;   in Loop: Header=BB29_6 Depth=1
	s_branch .LBB29_20
.LBB29_30:                              ;   in Loop: Header=BB29_6 Depth=1
	s_branch .LBB29_24
.LBB29_31:                              ;   in Loop: Header=BB29_6 Depth=1
.LBB29_32:                              ;   in Loop: Header=BB29_6 Depth=1
	global_store_b32 v[16:17], v20, off
	s_branch .LBB29_5
.LBB29_33:
	s_endpgm
	.section	.rodata,"a",@progbits
	.p2align	6, 0x0
	.amdhsa_kernel _ZL29rocblas_internal_gemmt_kernelIiLi16ELi32ELi8ELc78ELc67ELc76ELb0ELb0EffPKfPfEviT_T9_T10_S3_lS5_S3_lS4_T11_S3_li
		.amdhsa_group_segment_fixed_size 2048
		.amdhsa_private_segment_fixed_size 0
		.amdhsa_kernarg_size 100
		.amdhsa_user_sgpr_count 2
		.amdhsa_user_sgpr_dispatch_ptr 0
		.amdhsa_user_sgpr_queue_ptr 0
		.amdhsa_user_sgpr_kernarg_segment_ptr 1
		.amdhsa_user_sgpr_dispatch_id 0
		.amdhsa_user_sgpr_kernarg_preload_length 0
		.amdhsa_user_sgpr_kernarg_preload_offset 0
		.amdhsa_user_sgpr_private_segment_size 0
		.amdhsa_wavefront_size32 1
		.amdhsa_uses_dynamic_stack 0
		.amdhsa_enable_private_segment 0
		.amdhsa_system_sgpr_workgroup_id_x 1
		.amdhsa_system_sgpr_workgroup_id_y 1
		.amdhsa_system_sgpr_workgroup_id_z 1
		.amdhsa_system_sgpr_workgroup_info 0
		.amdhsa_system_vgpr_workitem_id 1
		.amdhsa_next_free_vgpr 52
		.amdhsa_next_free_sgpr 36
		.amdhsa_named_barrier_count 0
		.amdhsa_reserve_vcc 1
		.amdhsa_float_round_mode_32 0
		.amdhsa_float_round_mode_16_64 0
		.amdhsa_float_denorm_mode_32 3
		.amdhsa_float_denorm_mode_16_64 3
		.amdhsa_fp16_overflow 0
		.amdhsa_memory_ordered 1
		.amdhsa_forward_progress 1
		.amdhsa_inst_pref_size 13
		.amdhsa_round_robin_scheduling 0
		.amdhsa_exception_fp_ieee_invalid_op 0
		.amdhsa_exception_fp_denorm_src 0
		.amdhsa_exception_fp_ieee_div_zero 0
		.amdhsa_exception_fp_ieee_overflow 0
		.amdhsa_exception_fp_ieee_underflow 0
		.amdhsa_exception_fp_ieee_inexact 0
		.amdhsa_exception_int_div_zero 0
	.end_amdhsa_kernel
	.section	.text._ZL29rocblas_internal_gemmt_kernelIiLi16ELi32ELi8ELc78ELc67ELc76ELb0ELb0EffPKfPfEviT_T9_T10_S3_lS5_S3_lS4_T11_S3_li,"axG",@progbits,_ZL29rocblas_internal_gemmt_kernelIiLi16ELi32ELi8ELc78ELc67ELc76ELb0ELb0EffPKfPfEviT_T9_T10_S3_lS5_S3_lS4_T11_S3_li,comdat
.Lfunc_end29:
	.size	_ZL29rocblas_internal_gemmt_kernelIiLi16ELi32ELi8ELc78ELc67ELc76ELb0ELb0EffPKfPfEviT_T9_T10_S3_lS5_S3_lS4_T11_S3_li, .Lfunc_end29-_ZL29rocblas_internal_gemmt_kernelIiLi16ELi32ELi8ELc78ELc67ELc76ELb0ELb0EffPKfPfEviT_T9_T10_S3_lS5_S3_lS4_T11_S3_li
                                        ; -- End function
	.set _ZL29rocblas_internal_gemmt_kernelIiLi16ELi32ELi8ELc78ELc67ELc76ELb0ELb0EffPKfPfEviT_T9_T10_S3_lS5_S3_lS4_T11_S3_li.num_vgpr, 52
	.set _ZL29rocblas_internal_gemmt_kernelIiLi16ELi32ELi8ELc78ELc67ELc76ELb0ELb0EffPKfPfEviT_T9_T10_S3_lS5_S3_lS4_T11_S3_li.num_agpr, 0
	.set _ZL29rocblas_internal_gemmt_kernelIiLi16ELi32ELi8ELc78ELc67ELc76ELb0ELb0EffPKfPfEviT_T9_T10_S3_lS5_S3_lS4_T11_S3_li.numbered_sgpr, 36
	.set _ZL29rocblas_internal_gemmt_kernelIiLi16ELi32ELi8ELc78ELc67ELc76ELb0ELb0EffPKfPfEviT_T9_T10_S3_lS5_S3_lS4_T11_S3_li.num_named_barrier, 0
	.set _ZL29rocblas_internal_gemmt_kernelIiLi16ELi32ELi8ELc78ELc67ELc76ELb0ELb0EffPKfPfEviT_T9_T10_S3_lS5_S3_lS4_T11_S3_li.private_seg_size, 0
	.set _ZL29rocblas_internal_gemmt_kernelIiLi16ELi32ELi8ELc78ELc67ELc76ELb0ELb0EffPKfPfEviT_T9_T10_S3_lS5_S3_lS4_T11_S3_li.uses_vcc, 1
	.set _ZL29rocblas_internal_gemmt_kernelIiLi16ELi32ELi8ELc78ELc67ELc76ELb0ELb0EffPKfPfEviT_T9_T10_S3_lS5_S3_lS4_T11_S3_li.uses_flat_scratch, 0
	.set _ZL29rocblas_internal_gemmt_kernelIiLi16ELi32ELi8ELc78ELc67ELc76ELb0ELb0EffPKfPfEviT_T9_T10_S3_lS5_S3_lS4_T11_S3_li.has_dyn_sized_stack, 0
	.set _ZL29rocblas_internal_gemmt_kernelIiLi16ELi32ELi8ELc78ELc67ELc76ELb0ELb0EffPKfPfEviT_T9_T10_S3_lS5_S3_lS4_T11_S3_li.has_recursion, 0
	.set _ZL29rocblas_internal_gemmt_kernelIiLi16ELi32ELi8ELc78ELc67ELc76ELb0ELb0EffPKfPfEviT_T9_T10_S3_lS5_S3_lS4_T11_S3_li.has_indirect_call, 0
	.section	.AMDGPU.csdata,"",@progbits
; Kernel info:
; codeLenInByte = 1628
; TotalNumSgprs: 38
; NumVgprs: 52
; ScratchSize: 0
; MemoryBound: 0
; FloatMode: 240
; IeeeMode: 1
; LDSByteSize: 2048 bytes/workgroup (compile time only)
; SGPRBlocks: 0
; VGPRBlocks: 3
; NumSGPRsForWavesPerEU: 38
; NumVGPRsForWavesPerEU: 52
; NamedBarCnt: 0
; Occupancy: 16
; WaveLimiterHint : 0
; COMPUTE_PGM_RSRC2:SCRATCH_EN: 0
; COMPUTE_PGM_RSRC2:USER_SGPR: 2
; COMPUTE_PGM_RSRC2:TRAP_HANDLER: 0
; COMPUTE_PGM_RSRC2:TGID_X_EN: 1
; COMPUTE_PGM_RSRC2:TGID_Y_EN: 1
; COMPUTE_PGM_RSRC2:TGID_Z_EN: 1
; COMPUTE_PGM_RSRC2:TIDIG_COMP_CNT: 1
	.section	.text._ZL29rocblas_internal_gemmt_kernelIiLi16ELi32ELi8ELc84ELc78ELc76ELb0ELb0EffPKfPfEviT_T9_T10_S3_lS5_S3_lS4_T11_S3_li,"axG",@progbits,_ZL29rocblas_internal_gemmt_kernelIiLi16ELi32ELi8ELc84ELc78ELc76ELb0ELb0EffPKfPfEviT_T9_T10_S3_lS5_S3_lS4_T11_S3_li,comdat
	.globl	_ZL29rocblas_internal_gemmt_kernelIiLi16ELi32ELi8ELc84ELc78ELc76ELb0ELb0EffPKfPfEviT_T9_T10_S3_lS5_S3_lS4_T11_S3_li ; -- Begin function _ZL29rocblas_internal_gemmt_kernelIiLi16ELi32ELi8ELc84ELc78ELc76ELb0ELb0EffPKfPfEviT_T9_T10_S3_lS5_S3_lS4_T11_S3_li
	.p2align	8
	.type	_ZL29rocblas_internal_gemmt_kernelIiLi16ELi32ELi8ELc84ELc78ELc76ELb0ELb0EffPKfPfEviT_T9_T10_S3_lS5_S3_lS4_T11_S3_li,@function
_ZL29rocblas_internal_gemmt_kernelIiLi16ELi32ELi8ELc84ELc78ELc76ELb0ELb0EffPKfPfEviT_T9_T10_S3_lS5_S3_lS4_T11_S3_li: ; @_ZL29rocblas_internal_gemmt_kernelIiLi16ELi32ELi8ELc84ELc78ELc76ELb0ELb0EffPKfPfEviT_T9_T10_S3_lS5_S3_lS4_T11_S3_li
; %bb.0:
	s_clause 0x1
	s_load_b32 s7, s[0:1], 0x40
	s_load_b96 s[4:6], s[0:1], 0x0
	s_wait_kmcnt 0x0
	s_cmp_neq_f32 s7, 1.0
	s_cselect_b32 s2, -1, 0
	s_delay_alu instid0(SALU_CYCLE_1)
	s_and_b32 vcc_lo, exec_lo, s2
	s_cbranch_vccnz .LBB30_2
; %bb.1:
	s_cmp_lg_u32 s5, 0
	s_cselect_b32 s2, -1, 0
	s_cmp_neq_f32 s6, 0
	s_cselect_b32 s3, -1, 0
	s_delay_alu instid0(SALU_CYCLE_1)
	s_and_b32 s2, s2, s3
.LBB30_2:
	s_delay_alu instid0(SALU_CYCLE_1)
	s_and_not1_b32 vcc_lo, exec_lo, s2
	s_cbranch_vccnz .LBB30_33
; %bb.3:
	s_load_b32 s15, s[0:1], 0x60
	s_bfe_u32 s2, ttmp6, 0x40014
	s_lshr_b32 s3, ttmp7, 16
	s_add_co_i32 s2, s2, 1
	s_bfe_u32 s8, ttmp6, 0x40008
	s_mul_i32 s2, s3, s2
	s_getreg_b32 s19, hwreg(HW_REG_IB_STS2, 6, 4)
	s_add_co_i32 s8, s8, s2
	s_cmp_eq_u32 s19, 0
	s_mov_b32 s21, 0
	s_cselect_b32 s20, s3, s8
	s_wait_kmcnt 0x0
	s_cmp_ge_u32 s20, s15
	s_cbranch_scc1 .LBB30_33
; %bb.4:
	s_clause 0x2
	s_load_b96 s[16:18], s[0:1], 0x10
	s_load_b32 s2, s[0:1], 0x30
	s_load_b96 s[12:14], s[0:1], 0x48
	v_and_b32_e32 v17, 0x3ff, v0
	v_bfe_u32 v18, v0, 10, 10
	s_clause 0x2
	s_load_b128 s[8:11], s[0:1], 0x20
	s_load_b64 s[24:25], s[0:1], 0x38
	s_load_b64 s[22:23], s[0:1], 0x58
	s_wait_xcnt 0x0
	s_bfe_u32 s1, ttmp6, 0x4000c
	s_bfe_u32 s3, ttmp6, 0x40010
	s_and_b32 s26, ttmp7, 0xffff
	s_add_co_i32 s28, s1, 1
	s_add_co_i32 s29, s3, 1
	v_and_b32_e32 v20, 7, v0
	v_lshl_add_u32 v0, v18, 4, v17
	s_and_b32 s0, ttmp6, 15
	s_mul_i32 s28, ttmp9, s28
	s_mul_i32 s29, s26, s29
	s_bfe_u32 s30, ttmp6, 0x40004
	s_add_co_i32 s0, s0, s28
	s_add_co_i32 s30, s30, s29
	v_dual_lshrrev_b32 v2, 3, v0 :: v_dual_bitop2_b32 v3, 31, v0 bitop3:0x40
	s_wait_kmcnt 0x0
	s_ashr_i32 s1, s18, 31
	s_ashr_i32 s3, s2, 31
	;; [unrolled: 1-line block ×3, first 2 shown]
	s_cmp_eq_u32 s19, 0
	v_lshrrev_b32_e32 v21, 5, v0
	s_cselect_b32 s0, ttmp9, s0
	s_cselect_b32 s19, s26, s30
	s_lshl_b32 s28, s0, 5
	s_lshl_b32 s19, s19, 5
	s_delay_alu instid0(SALU_CYCLE_1) | instskip(SKIP_3) | instid1(VALU_DEP_2)
	v_dual_add_nc_u32 v6, s19, v2 :: v_dual_bitop2_b32 v0, s28, v3 bitop3:0x54
	v_add_nc_u32_e32 v8, s19, v18
	s_mov_b32 s0, s18
	s_mov_b32 s26, s14
	v_dual_ashrrev_i32 v1, 31, v0 :: v_dual_ashrrev_i32 v7, 31, v6
	s_cmp_neq_f32 s6, 0
	v_lshl_add_u32 v25, v18, 5, 0x400
	v_lshlrev_b32_e32 v24, 2, v17
	s_delay_alu instid0(VALU_DEP_3)
	v_mul_u64_e32 v[10:11], s[0:1], v[0:1]
	v_mul_u64_e32 v[12:13], s[2:3], v[6:7]
	v_dual_lshlrev_b32 v1, 2, v3 :: v_dual_add_nc_u32 v14, 16, v8
	v_ashrrev_i32_e32 v9, 31, v8
	v_lshlrev_b32_e32 v16, 2, v20
	v_cmp_gt_i32_e64 s0, s4, v0
	s_delay_alu instid0(VALU_DEP_4) | instskip(SKIP_1) | instid1(VALU_DEP_4)
	v_lshl_or_b32 v22, v21, 7, v1
	v_dual_ashrrev_i32 v15, 31, v14 :: v_dual_add_nc_u32 v0, s28, v17
	v_lshl_or_b32 v1, v2, 5, v16
	v_mul_u64_e32 v[2:3], s[26:27], v[8:9]
	s_cselect_b32 s29, -1, 0
	s_delay_alu instid0(VALU_DEP_3)
	v_mul_u64_e32 v[4:5], s[26:27], v[14:15]
	s_cmp_gt_i32 s5, 0
	v_cmp_gt_i32_e64 s1, s4, v6
	v_cmp_le_i32_e32 vcc_lo, v8, v0
	v_cmp_gt_i32_e64 s2, s4, v0
	v_dual_mov_b32 v9, 0 :: v_dual_add_nc_u32 v6, 16, v0
	s_cselect_b32 s30, -1, 0
	s_cmp_neq_f32 s7, 0
	v_add_nc_u32_e32 v23, 0x400, v1
	s_delay_alu instid0(VALU_DEP_2)
	v_cmp_gt_i32_e64 s3, s4, v6
	v_mov_b32_e32 v17, v9
	s_cselect_b32 s14, -1, 0
	s_and_b32 s18, vcc_lo, s2
	v_cmp_le_i32_e32 vcc_lo, v8, v6
	v_lshlrev_b32_e32 v8, 2, v21
	v_cmp_le_i32_e64 s4, v14, v0
	v_dual_ashrrev_i32 v1, 31, v0 :: v_dual_ashrrev_i32 v7, 31, v6
	s_and_b32 s19, vcc_lo, s3
	v_lshl_add_u64 v[8:9], v[10:11], 2, v[8:9]
	v_lshl_add_u64 v[10:11], v[12:13], 2, v[16:17]
	v_cmp_le_i32_e32 vcc_lo, v14, v6
	s_and_b32 s4, s4, s2
	s_delay_alu instid0(VALU_DEP_3) | instskip(NEXT) | instid1(VALU_DEP_3)
	v_add_nc_u64_e32 v[8:9], s[16:17], v[8:9]
	v_add_nc_u64_e32 v[10:11], s[10:11], v[10:11]
	s_and_b32 s16, s29, s30
	s_and_b32 s17, vcc_lo, s3
	s_lshl_b64 s[2:3], s[8:9], 2
	s_lshl_b64 s[8:9], s[24:25], 2
	s_branch .LBB30_6
.LBB30_5:                               ;   in Loop: Header=BB30_6 Depth=1
	s_wait_xcnt 0x0
	s_or_b32 exec_lo, exec_lo, s10
	s_add_co_i32 s20, s20, 0x10000
	s_delay_alu instid0(SALU_CYCLE_1)
	s_cmp_lt_u32 s20, s15
	s_cbranch_scc0 .LBB30_33
.LBB30_6:                               ; =>This Loop Header: Depth=1
                                        ;     Child Loop BB30_9 Depth 2
	v_dual_mov_b32 v19, 0 :: v_dual_mov_b32 v18, 0
	v_dual_mov_b32 v13, 0 :: v_dual_mov_b32 v12, 0
	s_and_not1_b32 vcc_lo, exec_lo, s16
	s_cbranch_vccnz .LBB30_13
; %bb.7:                                ;   in Loop: Header=BB30_6 Depth=1
	v_mad_nc_u64_u32 v[14:15], s2, s20, v[8:9]
	v_mad_nc_u64_u32 v[16:17], s8, s20, v[10:11]
	v_mov_b32_e32 v12, 0
	s_mov_b32 s10, 0
	s_delay_alu instid0(VALU_DEP_1)
	v_dual_mov_b32 v13, v12 :: v_dual_mov_b32 v18, v12
	v_mov_b32_e32 v19, v12
	v_mad_u32 v15, s3, s20, v15
	v_mad_u32 v17, s9, s20, v17
	s_branch .LBB30_9
.LBB30_8:                               ;   in Loop: Header=BB30_9 Depth=2
	s_wait_xcnt 0x0
	s_or_b32 exec_lo, exec_lo, s11
	s_wait_loadcnt 0x0
	ds_store_b32 v23, v27
	s_wait_dscnt 0x0
	s_barrier_signal -1
	s_barrier_wait -1
	ds_load_b128 v[26:29], v25
	ds_load_2addr_b32 v[42:43], v24 offset1:16
	ds_load_b128 v[30:33], v25 offset:512
	ds_load_2addr_b32 v[44:45], v24 offset0:32 offset1:48
	ds_load_2addr_b32 v[46:47], v24 offset0:64 offset1:80
	;; [unrolled: 1-line block ×3, first 2 shown]
	ds_load_b128 v[34:37], v25 offset:16
	ds_load_2addr_b32 v[50:51], v24 offset0:128 offset1:144
	ds_load_b128 v[38:41], v25 offset:528
	v_add_nc_u64_e32 v[14:15], 32, v[14:15]
	v_add_nc_u64_e32 v[16:17], 32, v[16:17]
	s_add_co_i32 s10, s10, 8
	s_delay_alu instid0(SALU_CYCLE_1)
	s_cmp_lt_i32 s10, s5
	s_wait_dscnt 0x7
	v_pk_fma_f32 v[18:19], v[42:43], v[26:27], v[18:19] op_sel_hi:[1,0,1]
	s_wait_dscnt 0x6
	v_pk_fma_f32 v[12:13], v[42:43], v[30:31], v[12:13] op_sel_hi:[1,0,1]
	ds_load_2addr_b32 v[42:43], v24 offset0:160 offset1:176
	s_wait_dscnt 0x6
	v_pk_fma_f32 v[18:19], v[44:45], v[26:27], v[18:19] op_sel:[0,1,0]
	v_pk_fma_f32 v[12:13], v[44:45], v[30:31], v[12:13] op_sel:[0,1,0]
	ds_load_2addr_b32 v[26:27], v24 offset0:192 offset1:208
	v_dual_mov_b32 v30, v29 :: v_dual_mov_b32 v44, v33
	s_wait_dscnt 0x6
	v_pk_fma_f32 v[18:19], v[46:47], v[28:29], v[18:19] op_sel_hi:[1,0,1]
	v_pk_fma_f32 v[12:13], v[46:47], v[32:33], v[12:13] op_sel_hi:[1,0,1]
	ds_load_2addr_b32 v[28:29], v24 offset0:224 offset1:240
	s_wait_dscnt 0x3
	v_mov_b32_e32 v32, v41
	s_wait_dscnt 0x0
	v_pk_fma_f32 v[18:19], v[48:49], v[30:31], v[18:19] op_sel_hi:[1,0,1]
	v_pk_fma_f32 v[12:13], v[48:49], v[44:45], v[12:13] op_sel_hi:[1,0,1]
	v_mov_b32_e32 v30, v37
	s_barrier_signal -1
	s_barrier_wait -1
	v_pk_fma_f32 v[18:19], v[50:51], v[34:35], v[18:19] op_sel_hi:[1,0,1]
	v_pk_fma_f32 v[12:13], v[50:51], v[38:39], v[12:13] op_sel_hi:[1,0,1]
	s_delay_alu instid0(VALU_DEP_2) | instskip(NEXT) | instid1(VALU_DEP_2)
	v_pk_fma_f32 v[18:19], v[42:43], v[34:35], v[18:19] op_sel:[0,1,0]
	v_pk_fma_f32 v[12:13], v[42:43], v[38:39], v[12:13] op_sel:[0,1,0]
	s_delay_alu instid0(VALU_DEP_2) | instskip(NEXT) | instid1(VALU_DEP_2)
	v_pk_fma_f32 v[18:19], v[26:27], v[36:37], v[18:19] op_sel_hi:[1,0,1]
	v_pk_fma_f32 v[12:13], v[26:27], v[40:41], v[12:13] op_sel_hi:[1,0,1]
	s_delay_alu instid0(VALU_DEP_2) | instskip(NEXT) | instid1(VALU_DEP_2)
	v_pk_fma_f32 v[18:19], v[28:29], v[30:31], v[18:19] op_sel_hi:[1,0,1]
	v_pk_fma_f32 v[12:13], v[28:29], v[32:33], v[12:13] op_sel_hi:[1,0,1]
	s_cbranch_scc0 .LBB30_13
.LBB30_9:                               ;   Parent Loop BB30_6 Depth=1
                                        ; =>  This Inner Loop Header: Depth=2
	v_add_nc_u32_e32 v26, s10, v21
	s_delay_alu instid0(VALU_DEP_1) | instskip(SKIP_2) | instid1(SALU_CYCLE_1)
	v_cmp_gt_i32_e32 vcc_lo, s5, v26
	v_mov_b32_e32 v26, 0
	s_and_b32 s24, s0, vcc_lo
	s_and_saveexec_b32 s11, s24
	s_cbranch_execz .LBB30_11
; %bb.10:                               ;   in Loop: Header=BB30_9 Depth=2
	global_load_b32 v26, v[14:15], off
.LBB30_11:                              ;   in Loop: Header=BB30_9 Depth=2
	s_wait_xcnt 0x0
	s_or_b32 exec_lo, exec_lo, s11
	v_add_nc_u32_e32 v27, s10, v20
	s_wait_loadcnt 0x0
	ds_store_b32 v22, v26
	v_cmp_gt_i32_e32 vcc_lo, s5, v27
	v_mov_b32_e32 v27, 0
	s_and_b32 s24, vcc_lo, s1
	s_delay_alu instid0(SALU_CYCLE_1)
	s_and_saveexec_b32 s11, s24
	s_cbranch_execz .LBB30_8
; %bb.12:                               ;   in Loop: Header=BB30_9 Depth=2
	global_load_b32 v27, v[16:17], off
	s_branch .LBB30_8
.LBB30_13:                              ;   in Loop: Header=BB30_6 Depth=1
	s_mul_u64 s[10:11], s[22:23], s[20:21]
	s_delay_alu instid0(SALU_CYCLE_1) | instskip(NEXT) | instid1(SALU_CYCLE_1)
	s_lshl_b64 s[10:11], s[10:11], 2
	s_add_nc_u64 s[10:11], s[12:13], s[10:11]
	s_delay_alu instid0(SALU_CYCLE_1)
	v_lshl_add_u64 v[14:15], v[2:3], 2, s[10:11]
	s_and_saveexec_b32 s24, s18
	s_cbranch_execz .LBB30_17
; %bb.14:                               ;   in Loop: Header=BB30_6 Depth=1
	v_mul_f32_e32 v18, s6, v18
	s_delay_alu instid0(VALU_DEP_2)
	v_lshl_add_u64 v[16:17], v[0:1], 2, v[14:15]
	s_and_b32 vcc_lo, exec_lo, s14
	s_cbranch_vccz .LBB30_28
; %bb.15:                               ;   in Loop: Header=BB30_6 Depth=1
	global_load_b32 v26, v[16:17], off
	s_wait_loadcnt 0x0
	v_fma_f32 v26, s7, v26, v18
	global_store_b32 v[16:17], v26, off
	s_cbranch_execnz .LBB30_17
.LBB30_16:                              ;   in Loop: Header=BB30_6 Depth=1
	global_store_b32 v[16:17], v18, off
.LBB30_17:                              ;   in Loop: Header=BB30_6 Depth=1
	s_wait_xcnt 0x0
	s_or_b32 exec_lo, exec_lo, s24
	s_and_saveexec_b32 s24, s19
	s_cbranch_execz .LBB30_21
; %bb.18:                               ;   in Loop: Header=BB30_6 Depth=1
	v_mul_f32_e32 v16, s6, v19
	v_lshl_add_u64 v[14:15], v[6:7], 2, v[14:15]
	s_and_not1_b32 vcc_lo, exec_lo, s14
	s_cbranch_vccnz .LBB30_29
; %bb.19:                               ;   in Loop: Header=BB30_6 Depth=1
	global_load_b32 v17, v[14:15], off
	s_wait_loadcnt 0x0
	v_fma_f32 v17, s7, v17, v16
	global_store_b32 v[14:15], v17, off
	s_cbranch_execnz .LBB30_21
.LBB30_20:                              ;   in Loop: Header=BB30_6 Depth=1
	global_store_b32 v[14:15], v16, off
.LBB30_21:                              ;   in Loop: Header=BB30_6 Depth=1
	s_wait_xcnt 0x0
	s_or_b32 exec_lo, exec_lo, s24
	v_lshl_add_u64 v[14:15], v[4:5], 2, s[10:11]
	s_and_saveexec_b32 s10, s4
	s_cbranch_execz .LBB30_25
; %bb.22:                               ;   in Loop: Header=BB30_6 Depth=1
	v_mul_f32_e32 v12, s6, v12
	s_delay_alu instid0(VALU_DEP_2)
	v_lshl_add_u64 v[16:17], v[0:1], 2, v[14:15]
	s_and_not1_b32 vcc_lo, exec_lo, s14
	s_cbranch_vccnz .LBB30_30
; %bb.23:                               ;   in Loop: Header=BB30_6 Depth=1
	global_load_b32 v18, v[16:17], off
	s_wait_loadcnt 0x0
	v_fma_f32 v18, s7, v18, v12
	global_store_b32 v[16:17], v18, off
	s_cbranch_execnz .LBB30_25
.LBB30_24:                              ;   in Loop: Header=BB30_6 Depth=1
	global_store_b32 v[16:17], v12, off
.LBB30_25:                              ;   in Loop: Header=BB30_6 Depth=1
	s_wait_xcnt 0x0
	s_or_b32 exec_lo, exec_lo, s10
	s_and_saveexec_b32 s10, s17
	s_cbranch_execz .LBB30_5
; %bb.26:                               ;   in Loop: Header=BB30_6 Depth=1
	v_mul_f32_e32 v16, s6, v13
	v_lshl_add_u64 v[12:13], v[6:7], 2, v[14:15]
	s_and_not1_b32 vcc_lo, exec_lo, s14
	s_cbranch_vccnz .LBB30_31
; %bb.27:                               ;   in Loop: Header=BB30_6 Depth=1
	global_load_b32 v14, v[12:13], off
	s_wait_loadcnt 0x0
	v_fma_f32 v14, s7, v14, v16
	global_store_b32 v[12:13], v14, off
	s_cbranch_execnz .LBB30_5
	s_branch .LBB30_32
.LBB30_28:                              ;   in Loop: Header=BB30_6 Depth=1
	s_branch .LBB30_16
.LBB30_29:                              ;   in Loop: Header=BB30_6 Depth=1
	s_branch .LBB30_20
.LBB30_30:                              ;   in Loop: Header=BB30_6 Depth=1
	s_branch .LBB30_24
.LBB30_31:                              ;   in Loop: Header=BB30_6 Depth=1
.LBB30_32:                              ;   in Loop: Header=BB30_6 Depth=1
	global_store_b32 v[12:13], v16, off
	s_branch .LBB30_5
.LBB30_33:
	s_endpgm
	.section	.rodata,"a",@progbits
	.p2align	6, 0x0
	.amdhsa_kernel _ZL29rocblas_internal_gemmt_kernelIiLi16ELi32ELi8ELc84ELc78ELc76ELb0ELb0EffPKfPfEviT_T9_T10_S3_lS5_S3_lS4_T11_S3_li
		.amdhsa_group_segment_fixed_size 2048
		.amdhsa_private_segment_fixed_size 0
		.amdhsa_kernarg_size 100
		.amdhsa_user_sgpr_count 2
		.amdhsa_user_sgpr_dispatch_ptr 0
		.amdhsa_user_sgpr_queue_ptr 0
		.amdhsa_user_sgpr_kernarg_segment_ptr 1
		.amdhsa_user_sgpr_dispatch_id 0
		.amdhsa_user_sgpr_kernarg_preload_length 0
		.amdhsa_user_sgpr_kernarg_preload_offset 0
		.amdhsa_user_sgpr_private_segment_size 0
		.amdhsa_wavefront_size32 1
		.amdhsa_uses_dynamic_stack 0
		.amdhsa_enable_private_segment 0
		.amdhsa_system_sgpr_workgroup_id_x 1
		.amdhsa_system_sgpr_workgroup_id_y 1
		.amdhsa_system_sgpr_workgroup_id_z 1
		.amdhsa_system_sgpr_workgroup_info 0
		.amdhsa_system_vgpr_workitem_id 1
		.amdhsa_next_free_vgpr 52
		.amdhsa_next_free_sgpr 31
		.amdhsa_named_barrier_count 0
		.amdhsa_reserve_vcc 1
		.amdhsa_float_round_mode_32 0
		.amdhsa_float_round_mode_16_64 0
		.amdhsa_float_denorm_mode_32 3
		.amdhsa_float_denorm_mode_16_64 3
		.amdhsa_fp16_overflow 0
		.amdhsa_memory_ordered 1
		.amdhsa_forward_progress 1
		.amdhsa_inst_pref_size 13
		.amdhsa_round_robin_scheduling 0
		.amdhsa_exception_fp_ieee_invalid_op 0
		.amdhsa_exception_fp_denorm_src 0
		.amdhsa_exception_fp_ieee_div_zero 0
		.amdhsa_exception_fp_ieee_overflow 0
		.amdhsa_exception_fp_ieee_underflow 0
		.amdhsa_exception_fp_ieee_inexact 0
		.amdhsa_exception_int_div_zero 0
	.end_amdhsa_kernel
	.section	.text._ZL29rocblas_internal_gemmt_kernelIiLi16ELi32ELi8ELc84ELc78ELc76ELb0ELb0EffPKfPfEviT_T9_T10_S3_lS5_S3_lS4_T11_S3_li,"axG",@progbits,_ZL29rocblas_internal_gemmt_kernelIiLi16ELi32ELi8ELc84ELc78ELc76ELb0ELb0EffPKfPfEviT_T9_T10_S3_lS5_S3_lS4_T11_S3_li,comdat
.Lfunc_end30:
	.size	_ZL29rocblas_internal_gemmt_kernelIiLi16ELi32ELi8ELc84ELc78ELc76ELb0ELb0EffPKfPfEviT_T9_T10_S3_lS5_S3_lS4_T11_S3_li, .Lfunc_end30-_ZL29rocblas_internal_gemmt_kernelIiLi16ELi32ELi8ELc84ELc78ELc76ELb0ELb0EffPKfPfEviT_T9_T10_S3_lS5_S3_lS4_T11_S3_li
                                        ; -- End function
	.set _ZL29rocblas_internal_gemmt_kernelIiLi16ELi32ELi8ELc84ELc78ELc76ELb0ELb0EffPKfPfEviT_T9_T10_S3_lS5_S3_lS4_T11_S3_li.num_vgpr, 52
	.set _ZL29rocblas_internal_gemmt_kernelIiLi16ELi32ELi8ELc84ELc78ELc76ELb0ELb0EffPKfPfEviT_T9_T10_S3_lS5_S3_lS4_T11_S3_li.num_agpr, 0
	.set _ZL29rocblas_internal_gemmt_kernelIiLi16ELi32ELi8ELc84ELc78ELc76ELb0ELb0EffPKfPfEviT_T9_T10_S3_lS5_S3_lS4_T11_S3_li.numbered_sgpr, 31
	.set _ZL29rocblas_internal_gemmt_kernelIiLi16ELi32ELi8ELc84ELc78ELc76ELb0ELb0EffPKfPfEviT_T9_T10_S3_lS5_S3_lS4_T11_S3_li.num_named_barrier, 0
	.set _ZL29rocblas_internal_gemmt_kernelIiLi16ELi32ELi8ELc84ELc78ELc76ELb0ELb0EffPKfPfEviT_T9_T10_S3_lS5_S3_lS4_T11_S3_li.private_seg_size, 0
	.set _ZL29rocblas_internal_gemmt_kernelIiLi16ELi32ELi8ELc84ELc78ELc76ELb0ELb0EffPKfPfEviT_T9_T10_S3_lS5_S3_lS4_T11_S3_li.uses_vcc, 1
	.set _ZL29rocblas_internal_gemmt_kernelIiLi16ELi32ELi8ELc84ELc78ELc76ELb0ELb0EffPKfPfEviT_T9_T10_S3_lS5_S3_lS4_T11_S3_li.uses_flat_scratch, 0
	.set _ZL29rocblas_internal_gemmt_kernelIiLi16ELi32ELi8ELc84ELc78ELc76ELb0ELb0EffPKfPfEviT_T9_T10_S3_lS5_S3_lS4_T11_S3_li.has_dyn_sized_stack, 0
	.set _ZL29rocblas_internal_gemmt_kernelIiLi16ELi32ELi8ELc84ELc78ELc76ELb0ELb0EffPKfPfEviT_T9_T10_S3_lS5_S3_lS4_T11_S3_li.has_recursion, 0
	.set _ZL29rocblas_internal_gemmt_kernelIiLi16ELi32ELi8ELc84ELc78ELc76ELb0ELb0EffPKfPfEviT_T9_T10_S3_lS5_S3_lS4_T11_S3_li.has_indirect_call, 0
	.section	.AMDGPU.csdata,"",@progbits
; Kernel info:
; codeLenInByte = 1628
; TotalNumSgprs: 33
; NumVgprs: 52
; ScratchSize: 0
; MemoryBound: 0
; FloatMode: 240
; IeeeMode: 1
; LDSByteSize: 2048 bytes/workgroup (compile time only)
; SGPRBlocks: 0
; VGPRBlocks: 3
; NumSGPRsForWavesPerEU: 33
; NumVGPRsForWavesPerEU: 52
; NamedBarCnt: 0
; Occupancy: 16
; WaveLimiterHint : 0
; COMPUTE_PGM_RSRC2:SCRATCH_EN: 0
; COMPUTE_PGM_RSRC2:USER_SGPR: 2
; COMPUTE_PGM_RSRC2:TRAP_HANDLER: 0
; COMPUTE_PGM_RSRC2:TGID_X_EN: 1
; COMPUTE_PGM_RSRC2:TGID_Y_EN: 1
; COMPUTE_PGM_RSRC2:TGID_Z_EN: 1
; COMPUTE_PGM_RSRC2:TIDIG_COMP_CNT: 1
	.section	.text._ZL29rocblas_internal_gemmt_kernelIiLi16ELi32ELi8ELc84ELc84ELc76ELb0ELb0EffPKfPfEviT_T9_T10_S3_lS5_S3_lS4_T11_S3_li,"axG",@progbits,_ZL29rocblas_internal_gemmt_kernelIiLi16ELi32ELi8ELc84ELc84ELc76ELb0ELb0EffPKfPfEviT_T9_T10_S3_lS5_S3_lS4_T11_S3_li,comdat
	.globl	_ZL29rocblas_internal_gemmt_kernelIiLi16ELi32ELi8ELc84ELc84ELc76ELb0ELb0EffPKfPfEviT_T9_T10_S3_lS5_S3_lS4_T11_S3_li ; -- Begin function _ZL29rocblas_internal_gemmt_kernelIiLi16ELi32ELi8ELc84ELc84ELc76ELb0ELb0EffPKfPfEviT_T9_T10_S3_lS5_S3_lS4_T11_S3_li
	.p2align	8
	.type	_ZL29rocblas_internal_gemmt_kernelIiLi16ELi32ELi8ELc84ELc84ELc76ELb0ELb0EffPKfPfEviT_T9_T10_S3_lS5_S3_lS4_T11_S3_li,@function
_ZL29rocblas_internal_gemmt_kernelIiLi16ELi32ELi8ELc84ELc84ELc76ELb0ELb0EffPKfPfEviT_T9_T10_S3_lS5_S3_lS4_T11_S3_li: ; @_ZL29rocblas_internal_gemmt_kernelIiLi16ELi32ELi8ELc84ELc84ELc76ELb0ELb0EffPKfPfEviT_T9_T10_S3_lS5_S3_lS4_T11_S3_li
; %bb.0:
	s_clause 0x1
	s_load_b32 s7, s[0:1], 0x40
	s_load_b96 s[4:6], s[0:1], 0x0
	s_wait_kmcnt 0x0
	s_cmp_neq_f32 s7, 1.0
	s_cselect_b32 s2, -1, 0
	s_delay_alu instid0(SALU_CYCLE_1)
	s_and_b32 vcc_lo, exec_lo, s2
	s_cbranch_vccnz .LBB31_2
; %bb.1:
	s_cmp_lg_u32 s5, 0
	s_cselect_b32 s2, -1, 0
	s_cmp_neq_f32 s6, 0
	s_cselect_b32 s3, -1, 0
	s_delay_alu instid0(SALU_CYCLE_1)
	s_and_b32 s2, s2, s3
.LBB31_2:
	s_delay_alu instid0(SALU_CYCLE_1)
	s_and_not1_b32 vcc_lo, exec_lo, s2
	s_cbranch_vccnz .LBB31_33
; %bb.3:
	s_load_b32 s19, s[0:1], 0x60
	s_bfe_u32 s2, ttmp6, 0x40014
	s_lshr_b32 s3, ttmp7, 16
	s_add_co_i32 s2, s2, 1
	s_bfe_u32 s9, ttmp6, 0x40008
	s_mul_i32 s8, s3, s2
	s_getreg_b32 s2, hwreg(HW_REG_IB_STS2, 6, 4)
	s_add_co_i32 s9, s9, s8
	s_cmp_eq_u32 s2, 0
	s_mov_b32 s21, 0
	s_cselect_b32 s20, s3, s9
	s_wait_kmcnt 0x0
	s_cmp_ge_u32 s20, s19
	s_cbranch_scc1 .LBB31_33
; %bb.4:
	s_clause 0x2
	s_load_b96 s[16:18], s[0:1], 0x10
	s_load_b32 s24, s[0:1], 0x30
	s_load_b96 s[12:14], s[0:1], 0x48
	v_and_b32_e32 v8, 0x3ff, v0
	v_bfe_u32 v9, v0, 10, 10
	s_clause 0x2
	s_load_b128 s[8:11], s[0:1], 0x20
	s_load_b64 s[26:27], s[0:1], 0x38
	s_load_b64 s[22:23], s[0:1], 0x58
	s_wait_xcnt 0x0
	s_bfe_u32 s0, ttmp6, 0x4000c
	s_bfe_u32 s1, ttmp6, 0x40010
	s_and_b32 s28, ttmp7, 0xffff
	s_add_co_i32 s29, s0, 1
	s_add_co_i32 s30, s1, 1
	v_lshl_add_u32 v1, v9, 4, v8
	s_and_b32 s15, ttmp6, 15
	v_and_b32_e32 v0, 7, v0
	v_lshl_add_u32 v25, v9, 5, 0x400
	s_delay_alu instid0(VALU_DEP_3)
	v_dual_mov_b32 v11, 0 :: v_dual_bitop2_b32 v4, 31, v1 bitop3:0x40
	v_dual_lshrrev_b32 v5, 3, v1 :: v_dual_lshrrev_b32 v22, 5, v1
	v_lshlrev_b32_e32 v24, 2, v8
	s_wait_kmcnt 0x0
	s_ashr_i32 s1, s18, 31
	s_mov_b32 s0, s18
	s_mul_i32 s18, ttmp9, s29
	s_mul_i32 s29, s28, s30
	s_bfe_u32 s30, ttmp6, 0x40004
	s_ashr_i32 s25, s24, 31
	s_ashr_i32 s3, s14, 31
	s_add_co_i32 s15, s15, s18
	s_add_co_i32 s30, s30, s29
	s_cmp_eq_u32 s2, 0
	v_lshlrev_b32_e32 v10, 2, v22
	s_cselect_b32 s2, ttmp9, s15
	s_cselect_b32 s15, s28, s30
	s_lshl_b32 s18, s2, 5
	s_lshl_b32 s15, s15, 5
	s_delay_alu instid0(SALU_CYCLE_1) | instskip(SKIP_1) | instid1(VALU_DEP_2)
	v_dual_add_nc_u32 v12, s15, v5 :: v_dual_bitop2_b32 v2, s18, v4 bitop3:0x54
	v_dual_mov_b32 v1, v11 :: v_dual_add_nc_u32 v14, s15, v9
	v_dual_lshlrev_b32 v4, 2, v4 :: v_dual_ashrrev_i32 v3, 31, v2
	s_mov_b32 s2, s14
	s_delay_alu instid0(VALU_DEP_2) | instskip(NEXT) | instid1(VALU_DEP_3)
	v_mul_u64_e32 v[18:19], s[24:25], v[0:1]
	v_dual_add_nc_u32 v20, 16, v14 :: v_dual_ashrrev_i32 v15, 31, v14
	s_delay_alu instid0(VALU_DEP_3)
	v_mul_u64_e32 v[16:17], s[0:1], v[2:3]
	v_lshlrev_b32_e32 v3, 2, v0
	v_cmp_gt_i32_e64 s0, s4, v2
	v_add_nc_u32_e32 v2, s18, v8
	v_ashrrev_i32_e32 v21, 31, v20
	v_lshl_or_b32 v1, v22, 7, v4
	v_lshl_or_b32 v3, v5, 5, v3
	v_mul_u64_e32 v[4:5], s[2:3], v[14:15]
	v_add_nc_u32_e32 v8, 16, v2
	v_mul_u64_e32 v[6:7], s[2:3], v[20:21]
	v_ashrrev_i32_e32 v13, 31, v12
	v_cmp_gt_i32_e64 s1, s4, v12
	s_cmp_neq_f32 s6, 0
	v_cmp_le_i32_e32 vcc_lo, v14, v2
	v_cmp_gt_i32_e64 s2, s4, v2
	v_lshlrev_b64_e32 v[12:13], 2, v[12:13]
	s_cselect_b32 s14, -1, 0
	s_cmp_gt_i32 s5, 0
	v_cmp_le_i32_e64 s3, v14, v8
	v_cmp_gt_i32_e64 s4, s4, v8
	s_cselect_b32 s15, -1, 0
	s_cmp_neq_f32 s7, 0
	v_add_nc_u32_e32 v23, 0x400, v3
	v_dual_ashrrev_i32 v3, 31, v2 :: v_dual_ashrrev_i32 v9, 31, v8
	s_cselect_b32 s18, -1, 0
	s_and_b32 s28, vcc_lo, s2
	s_and_b32 s29, s3, s4
	v_cmp_le_i32_e32 vcc_lo, v20, v2
	v_lshl_add_u64 v[12:13], v[18:19], 2, v[12:13]
	v_cmp_le_i32_e64 s3, v20, v8
	v_lshl_add_u64 v[10:11], v[16:17], 2, v[10:11]
	s_and_b32 s30, vcc_lo, s2
	v_add_nc_u64_e32 v[12:13], s[10:11], v[12:13]
	s_and_b32 s4, s3, s4
	s_lshl_b64 s[2:3], s[8:9], 2
	v_add_nc_u64_e32 v[10:11], s[16:17], v[10:11]
	s_and_b32 s16, s14, s15
	s_lshl_b64 s[8:9], s[26:27], 2
	s_lshl_b64 s[10:11], s[24:25], 5
	s_branch .LBB31_6
.LBB31_5:                               ;   in Loop: Header=BB31_6 Depth=1
	s_wait_xcnt 0x0
	s_or_b32 exec_lo, exec_lo, s14
	s_add_co_i32 s20, s20, 0x10000
	s_delay_alu instid0(SALU_CYCLE_1)
	s_cmp_lt_u32 s20, s19
	s_cbranch_scc0 .LBB31_33
.LBB31_6:                               ; =>This Loop Header: Depth=1
                                        ;     Child Loop BB31_9 Depth 2
	v_dual_mov_b32 v21, 0 :: v_dual_mov_b32 v20, 0
	v_dual_mov_b32 v15, 0 :: v_dual_mov_b32 v14, 0
	s_and_not1_b32 vcc_lo, exec_lo, s16
	s_cbranch_vccnz .LBB31_13
; %bb.7:                                ;   in Loop: Header=BB31_6 Depth=1
	v_mad_nc_u64_u32 v[16:17], s2, s20, v[10:11]
	v_mad_nc_u64_u32 v[18:19], s8, s20, v[12:13]
	v_mov_b32_e32 v14, 0
	s_mov_b32 s14, 0
	s_delay_alu instid0(VALU_DEP_1)
	v_dual_mov_b32 v15, v14 :: v_dual_mov_b32 v20, v14
	v_mov_b32_e32 v21, v14
	v_mad_u32 v17, s3, s20, v17
	v_mad_u32 v19, s9, s20, v19
	s_branch .LBB31_9
.LBB31_8:                               ;   in Loop: Header=BB31_9 Depth=2
	s_wait_xcnt 0x0
	s_or_b32 exec_lo, exec_lo, s15
	s_wait_loadcnt 0x0
	ds_store_b32 v23, v27
	s_wait_dscnt 0x0
	s_barrier_signal -1
	s_barrier_wait -1
	ds_load_b128 v[26:29], v25
	ds_load_2addr_b32 v[42:43], v24 offset1:16
	ds_load_b128 v[30:33], v25 offset:512
	ds_load_2addr_b32 v[44:45], v24 offset0:32 offset1:48
	ds_load_2addr_b32 v[46:47], v24 offset0:64 offset1:80
	;; [unrolled: 1-line block ×3, first 2 shown]
	ds_load_b128 v[34:37], v25 offset:16
	ds_load_2addr_b32 v[50:51], v24 offset0:128 offset1:144
	ds_load_b128 v[38:41], v25 offset:528
	v_add_nc_u64_e32 v[16:17], 32, v[16:17]
	v_add_nc_u64_e32 v[18:19], s[10:11], v[18:19]
	s_add_co_i32 s14, s14, 8
	s_delay_alu instid0(SALU_CYCLE_1)
	s_cmp_lt_i32 s14, s5
	s_wait_dscnt 0x7
	v_pk_fma_f32 v[20:21], v[42:43], v[26:27], v[20:21] op_sel_hi:[1,0,1]
	s_wait_dscnt 0x6
	v_pk_fma_f32 v[14:15], v[42:43], v[30:31], v[14:15] op_sel_hi:[1,0,1]
	ds_load_2addr_b32 v[42:43], v24 offset0:160 offset1:176
	s_wait_dscnt 0x6
	v_pk_fma_f32 v[20:21], v[44:45], v[26:27], v[20:21] op_sel:[0,1,0]
	v_pk_fma_f32 v[14:15], v[44:45], v[30:31], v[14:15] op_sel:[0,1,0]
	ds_load_2addr_b32 v[26:27], v24 offset0:192 offset1:208
	v_dual_mov_b32 v30, v29 :: v_dual_mov_b32 v44, v33
	s_wait_dscnt 0x6
	v_pk_fma_f32 v[20:21], v[46:47], v[28:29], v[20:21] op_sel_hi:[1,0,1]
	v_pk_fma_f32 v[14:15], v[46:47], v[32:33], v[14:15] op_sel_hi:[1,0,1]
	ds_load_2addr_b32 v[28:29], v24 offset0:224 offset1:240
	s_wait_dscnt 0x3
	v_mov_b32_e32 v32, v41
	s_wait_dscnt 0x0
	v_pk_fma_f32 v[20:21], v[48:49], v[30:31], v[20:21] op_sel_hi:[1,0,1]
	v_pk_fma_f32 v[14:15], v[48:49], v[44:45], v[14:15] op_sel_hi:[1,0,1]
	v_mov_b32_e32 v30, v37
	s_barrier_signal -1
	s_barrier_wait -1
	v_pk_fma_f32 v[20:21], v[50:51], v[34:35], v[20:21] op_sel_hi:[1,0,1]
	v_pk_fma_f32 v[14:15], v[50:51], v[38:39], v[14:15] op_sel_hi:[1,0,1]
	s_delay_alu instid0(VALU_DEP_2) | instskip(NEXT) | instid1(VALU_DEP_2)
	v_pk_fma_f32 v[20:21], v[42:43], v[34:35], v[20:21] op_sel:[0,1,0]
	v_pk_fma_f32 v[14:15], v[42:43], v[38:39], v[14:15] op_sel:[0,1,0]
	s_delay_alu instid0(VALU_DEP_2) | instskip(NEXT) | instid1(VALU_DEP_2)
	v_pk_fma_f32 v[20:21], v[26:27], v[36:37], v[20:21] op_sel_hi:[1,0,1]
	v_pk_fma_f32 v[14:15], v[26:27], v[40:41], v[14:15] op_sel_hi:[1,0,1]
	s_delay_alu instid0(VALU_DEP_2) | instskip(NEXT) | instid1(VALU_DEP_2)
	v_pk_fma_f32 v[20:21], v[28:29], v[30:31], v[20:21] op_sel_hi:[1,0,1]
	v_pk_fma_f32 v[14:15], v[28:29], v[32:33], v[14:15] op_sel_hi:[1,0,1]
	s_cbranch_scc0 .LBB31_13
.LBB31_9:                               ;   Parent Loop BB31_6 Depth=1
                                        ; =>  This Inner Loop Header: Depth=2
	v_add_nc_u32_e32 v26, s14, v22
	s_delay_alu instid0(VALU_DEP_1) | instskip(SKIP_2) | instid1(SALU_CYCLE_1)
	v_cmp_gt_i32_e32 vcc_lo, s5, v26
	v_mov_b32_e32 v26, 0
	s_and_b32 s17, s0, vcc_lo
	s_and_saveexec_b32 s15, s17
	s_cbranch_execz .LBB31_11
; %bb.10:                               ;   in Loop: Header=BB31_9 Depth=2
	global_load_b32 v26, v[16:17], off
.LBB31_11:                              ;   in Loop: Header=BB31_9 Depth=2
	s_wait_xcnt 0x0
	s_or_b32 exec_lo, exec_lo, s15
	v_add_nc_u32_e32 v27, s14, v0
	s_wait_loadcnt 0x0
	ds_store_b32 v1, v26
	v_cmp_gt_i32_e32 vcc_lo, s5, v27
	v_mov_b32_e32 v27, 0
	s_and_b32 s17, vcc_lo, s1
	s_delay_alu instid0(SALU_CYCLE_1)
	s_and_saveexec_b32 s15, s17
	s_cbranch_execz .LBB31_8
; %bb.12:                               ;   in Loop: Header=BB31_9 Depth=2
	global_load_b32 v27, v[18:19], off
	s_branch .LBB31_8
.LBB31_13:                              ;   in Loop: Header=BB31_6 Depth=1
	s_mul_u64 s[14:15], s[22:23], s[20:21]
	s_delay_alu instid0(SALU_CYCLE_1) | instskip(NEXT) | instid1(SALU_CYCLE_1)
	s_lshl_b64 s[14:15], s[14:15], 2
	s_add_nc_u64 s[14:15], s[12:13], s[14:15]
	s_delay_alu instid0(SALU_CYCLE_1)
	v_lshl_add_u64 v[16:17], v[4:5], 2, s[14:15]
	s_and_saveexec_b32 s17, s28
	s_cbranch_execz .LBB31_17
; %bb.14:                               ;   in Loop: Header=BB31_6 Depth=1
	v_mul_f32_e32 v20, s6, v20
	s_delay_alu instid0(VALU_DEP_2)
	v_lshl_add_u64 v[18:19], v[2:3], 2, v[16:17]
	s_and_b32 vcc_lo, exec_lo, s18
	s_cbranch_vccz .LBB31_28
; %bb.15:                               ;   in Loop: Header=BB31_6 Depth=1
	global_load_b32 v26, v[18:19], off
	s_wait_loadcnt 0x0
	v_fma_f32 v26, s7, v26, v20
	global_store_b32 v[18:19], v26, off
	s_cbranch_execnz .LBB31_17
.LBB31_16:                              ;   in Loop: Header=BB31_6 Depth=1
	global_store_b32 v[18:19], v20, off
.LBB31_17:                              ;   in Loop: Header=BB31_6 Depth=1
	s_wait_xcnt 0x0
	s_or_b32 exec_lo, exec_lo, s17
	s_and_saveexec_b32 s17, s29
	s_cbranch_execz .LBB31_21
; %bb.18:                               ;   in Loop: Header=BB31_6 Depth=1
	v_mul_f32_e32 v18, s6, v21
	v_lshl_add_u64 v[16:17], v[8:9], 2, v[16:17]
	s_and_not1_b32 vcc_lo, exec_lo, s18
	s_cbranch_vccnz .LBB31_29
; %bb.19:                               ;   in Loop: Header=BB31_6 Depth=1
	global_load_b32 v19, v[16:17], off
	s_wait_loadcnt 0x0
	v_fma_f32 v19, s7, v19, v18
	global_store_b32 v[16:17], v19, off
	s_cbranch_execnz .LBB31_21
.LBB31_20:                              ;   in Loop: Header=BB31_6 Depth=1
	global_store_b32 v[16:17], v18, off
.LBB31_21:                              ;   in Loop: Header=BB31_6 Depth=1
	s_wait_xcnt 0x0
	s_or_b32 exec_lo, exec_lo, s17
	v_lshl_add_u64 v[16:17], v[6:7], 2, s[14:15]
	s_and_saveexec_b32 s14, s30
	s_cbranch_execz .LBB31_25
; %bb.22:                               ;   in Loop: Header=BB31_6 Depth=1
	v_mul_f32_e32 v14, s6, v14
	s_delay_alu instid0(VALU_DEP_2)
	v_lshl_add_u64 v[18:19], v[2:3], 2, v[16:17]
	s_and_not1_b32 vcc_lo, exec_lo, s18
	s_cbranch_vccnz .LBB31_30
; %bb.23:                               ;   in Loop: Header=BB31_6 Depth=1
	global_load_b32 v20, v[18:19], off
	s_wait_loadcnt 0x0
	v_fma_f32 v20, s7, v20, v14
	global_store_b32 v[18:19], v20, off
	s_cbranch_execnz .LBB31_25
.LBB31_24:                              ;   in Loop: Header=BB31_6 Depth=1
	global_store_b32 v[18:19], v14, off
.LBB31_25:                              ;   in Loop: Header=BB31_6 Depth=1
	s_wait_xcnt 0x0
	s_or_b32 exec_lo, exec_lo, s14
	s_and_saveexec_b32 s14, s4
	s_cbranch_execz .LBB31_5
; %bb.26:                               ;   in Loop: Header=BB31_6 Depth=1
	v_mul_f32_e32 v18, s6, v15
	v_lshl_add_u64 v[14:15], v[8:9], 2, v[16:17]
	s_and_not1_b32 vcc_lo, exec_lo, s18
	s_cbranch_vccnz .LBB31_31
; %bb.27:                               ;   in Loop: Header=BB31_6 Depth=1
	global_load_b32 v16, v[14:15], off
	s_wait_loadcnt 0x0
	v_fma_f32 v16, s7, v16, v18
	global_store_b32 v[14:15], v16, off
	s_cbranch_execnz .LBB31_5
	s_branch .LBB31_32
.LBB31_28:                              ;   in Loop: Header=BB31_6 Depth=1
	s_branch .LBB31_16
.LBB31_29:                              ;   in Loop: Header=BB31_6 Depth=1
	s_branch .LBB31_20
.LBB31_30:                              ;   in Loop: Header=BB31_6 Depth=1
	s_branch .LBB31_24
.LBB31_31:                              ;   in Loop: Header=BB31_6 Depth=1
.LBB31_32:                              ;   in Loop: Header=BB31_6 Depth=1
	global_store_b32 v[14:15], v18, off
	s_branch .LBB31_5
.LBB31_33:
	s_endpgm
	.section	.rodata,"a",@progbits
	.p2align	6, 0x0
	.amdhsa_kernel _ZL29rocblas_internal_gemmt_kernelIiLi16ELi32ELi8ELc84ELc84ELc76ELb0ELb0EffPKfPfEviT_T9_T10_S3_lS5_S3_lS4_T11_S3_li
		.amdhsa_group_segment_fixed_size 2048
		.amdhsa_private_segment_fixed_size 0
		.amdhsa_kernarg_size 100
		.amdhsa_user_sgpr_count 2
		.amdhsa_user_sgpr_dispatch_ptr 0
		.amdhsa_user_sgpr_queue_ptr 0
		.amdhsa_user_sgpr_kernarg_segment_ptr 1
		.amdhsa_user_sgpr_dispatch_id 0
		.amdhsa_user_sgpr_kernarg_preload_length 0
		.amdhsa_user_sgpr_kernarg_preload_offset 0
		.amdhsa_user_sgpr_private_segment_size 0
		.amdhsa_wavefront_size32 1
		.amdhsa_uses_dynamic_stack 0
		.amdhsa_enable_private_segment 0
		.amdhsa_system_sgpr_workgroup_id_x 1
		.amdhsa_system_sgpr_workgroup_id_y 1
		.amdhsa_system_sgpr_workgroup_id_z 1
		.amdhsa_system_sgpr_workgroup_info 0
		.amdhsa_system_vgpr_workitem_id 1
		.amdhsa_next_free_vgpr 52
		.amdhsa_next_free_sgpr 31
		.amdhsa_named_barrier_count 0
		.amdhsa_reserve_vcc 1
		.amdhsa_float_round_mode_32 0
		.amdhsa_float_round_mode_16_64 0
		.amdhsa_float_denorm_mode_32 3
		.amdhsa_float_denorm_mode_16_64 3
		.amdhsa_fp16_overflow 0
		.amdhsa_memory_ordered 1
		.amdhsa_forward_progress 1
		.amdhsa_inst_pref_size 13
		.amdhsa_round_robin_scheduling 0
		.amdhsa_exception_fp_ieee_invalid_op 0
		.amdhsa_exception_fp_denorm_src 0
		.amdhsa_exception_fp_ieee_div_zero 0
		.amdhsa_exception_fp_ieee_overflow 0
		.amdhsa_exception_fp_ieee_underflow 0
		.amdhsa_exception_fp_ieee_inexact 0
		.amdhsa_exception_int_div_zero 0
	.end_amdhsa_kernel
	.section	.text._ZL29rocblas_internal_gemmt_kernelIiLi16ELi32ELi8ELc84ELc84ELc76ELb0ELb0EffPKfPfEviT_T9_T10_S3_lS5_S3_lS4_T11_S3_li,"axG",@progbits,_ZL29rocblas_internal_gemmt_kernelIiLi16ELi32ELi8ELc84ELc84ELc76ELb0ELb0EffPKfPfEviT_T9_T10_S3_lS5_S3_lS4_T11_S3_li,comdat
.Lfunc_end31:
	.size	_ZL29rocblas_internal_gemmt_kernelIiLi16ELi32ELi8ELc84ELc84ELc76ELb0ELb0EffPKfPfEviT_T9_T10_S3_lS5_S3_lS4_T11_S3_li, .Lfunc_end31-_ZL29rocblas_internal_gemmt_kernelIiLi16ELi32ELi8ELc84ELc84ELc76ELb0ELb0EffPKfPfEviT_T9_T10_S3_lS5_S3_lS4_T11_S3_li
                                        ; -- End function
	.set _ZL29rocblas_internal_gemmt_kernelIiLi16ELi32ELi8ELc84ELc84ELc76ELb0ELb0EffPKfPfEviT_T9_T10_S3_lS5_S3_lS4_T11_S3_li.num_vgpr, 52
	.set _ZL29rocblas_internal_gemmt_kernelIiLi16ELi32ELi8ELc84ELc84ELc76ELb0ELb0EffPKfPfEviT_T9_T10_S3_lS5_S3_lS4_T11_S3_li.num_agpr, 0
	.set _ZL29rocblas_internal_gemmt_kernelIiLi16ELi32ELi8ELc84ELc84ELc76ELb0ELb0EffPKfPfEviT_T9_T10_S3_lS5_S3_lS4_T11_S3_li.numbered_sgpr, 31
	.set _ZL29rocblas_internal_gemmt_kernelIiLi16ELi32ELi8ELc84ELc84ELc76ELb0ELb0EffPKfPfEviT_T9_T10_S3_lS5_S3_lS4_T11_S3_li.num_named_barrier, 0
	.set _ZL29rocblas_internal_gemmt_kernelIiLi16ELi32ELi8ELc84ELc84ELc76ELb0ELb0EffPKfPfEviT_T9_T10_S3_lS5_S3_lS4_T11_S3_li.private_seg_size, 0
	.set _ZL29rocblas_internal_gemmt_kernelIiLi16ELi32ELi8ELc84ELc84ELc76ELb0ELb0EffPKfPfEviT_T9_T10_S3_lS5_S3_lS4_T11_S3_li.uses_vcc, 1
	.set _ZL29rocblas_internal_gemmt_kernelIiLi16ELi32ELi8ELc84ELc84ELc76ELb0ELb0EffPKfPfEviT_T9_T10_S3_lS5_S3_lS4_T11_S3_li.uses_flat_scratch, 0
	.set _ZL29rocblas_internal_gemmt_kernelIiLi16ELi32ELi8ELc84ELc84ELc76ELb0ELb0EffPKfPfEviT_T9_T10_S3_lS5_S3_lS4_T11_S3_li.has_dyn_sized_stack, 0
	.set _ZL29rocblas_internal_gemmt_kernelIiLi16ELi32ELi8ELc84ELc84ELc76ELb0ELb0EffPKfPfEviT_T9_T10_S3_lS5_S3_lS4_T11_S3_li.has_recursion, 0
	.set _ZL29rocblas_internal_gemmt_kernelIiLi16ELi32ELi8ELc84ELc84ELc76ELb0ELb0EffPKfPfEviT_T9_T10_S3_lS5_S3_lS4_T11_S3_li.has_indirect_call, 0
	.section	.AMDGPU.csdata,"",@progbits
; Kernel info:
; codeLenInByte = 1632
; TotalNumSgprs: 33
; NumVgprs: 52
; ScratchSize: 0
; MemoryBound: 0
; FloatMode: 240
; IeeeMode: 1
; LDSByteSize: 2048 bytes/workgroup (compile time only)
; SGPRBlocks: 0
; VGPRBlocks: 3
; NumSGPRsForWavesPerEU: 33
; NumVGPRsForWavesPerEU: 52
; NamedBarCnt: 0
; Occupancy: 16
; WaveLimiterHint : 0
; COMPUTE_PGM_RSRC2:SCRATCH_EN: 0
; COMPUTE_PGM_RSRC2:USER_SGPR: 2
; COMPUTE_PGM_RSRC2:TRAP_HANDLER: 0
; COMPUTE_PGM_RSRC2:TGID_X_EN: 1
; COMPUTE_PGM_RSRC2:TGID_Y_EN: 1
; COMPUTE_PGM_RSRC2:TGID_Z_EN: 1
; COMPUTE_PGM_RSRC2:TIDIG_COMP_CNT: 1
	.section	.text._ZL29rocblas_internal_gemmt_kernelIiLi16ELi32ELi8ELc84ELc67ELc76ELb0ELb0EffPKfPfEviT_T9_T10_S3_lS5_S3_lS4_T11_S3_li,"axG",@progbits,_ZL29rocblas_internal_gemmt_kernelIiLi16ELi32ELi8ELc84ELc67ELc76ELb0ELb0EffPKfPfEviT_T9_T10_S3_lS5_S3_lS4_T11_S3_li,comdat
	.globl	_ZL29rocblas_internal_gemmt_kernelIiLi16ELi32ELi8ELc84ELc67ELc76ELb0ELb0EffPKfPfEviT_T9_T10_S3_lS5_S3_lS4_T11_S3_li ; -- Begin function _ZL29rocblas_internal_gemmt_kernelIiLi16ELi32ELi8ELc84ELc67ELc76ELb0ELb0EffPKfPfEviT_T9_T10_S3_lS5_S3_lS4_T11_S3_li
	.p2align	8
	.type	_ZL29rocblas_internal_gemmt_kernelIiLi16ELi32ELi8ELc84ELc67ELc76ELb0ELb0EffPKfPfEviT_T9_T10_S3_lS5_S3_lS4_T11_S3_li,@function
_ZL29rocblas_internal_gemmt_kernelIiLi16ELi32ELi8ELc84ELc67ELc76ELb0ELb0EffPKfPfEviT_T9_T10_S3_lS5_S3_lS4_T11_S3_li: ; @_ZL29rocblas_internal_gemmt_kernelIiLi16ELi32ELi8ELc84ELc67ELc76ELb0ELb0EffPKfPfEviT_T9_T10_S3_lS5_S3_lS4_T11_S3_li
; %bb.0:
	s_clause 0x1
	s_load_b32 s7, s[0:1], 0x40
	s_load_b96 s[4:6], s[0:1], 0x0
	s_wait_kmcnt 0x0
	s_cmp_neq_f32 s7, 1.0
	s_cselect_b32 s2, -1, 0
	s_delay_alu instid0(SALU_CYCLE_1)
	s_and_b32 vcc_lo, exec_lo, s2
	s_cbranch_vccnz .LBB32_2
; %bb.1:
	s_cmp_lg_u32 s5, 0
	s_cselect_b32 s2, -1, 0
	s_cmp_neq_f32 s6, 0
	s_cselect_b32 s3, -1, 0
	s_delay_alu instid0(SALU_CYCLE_1)
	s_and_b32 s2, s2, s3
.LBB32_2:
	s_delay_alu instid0(SALU_CYCLE_1)
	s_and_not1_b32 vcc_lo, exec_lo, s2
	s_cbranch_vccnz .LBB32_33
; %bb.3:
	s_load_b32 s19, s[0:1], 0x60
	s_bfe_u32 s2, ttmp6, 0x40014
	s_lshr_b32 s3, ttmp7, 16
	s_add_co_i32 s2, s2, 1
	s_bfe_u32 s9, ttmp6, 0x40008
	s_mul_i32 s8, s3, s2
	s_getreg_b32 s2, hwreg(HW_REG_IB_STS2, 6, 4)
	s_add_co_i32 s9, s9, s8
	s_cmp_eq_u32 s2, 0
	s_mov_b32 s21, 0
	s_cselect_b32 s20, s3, s9
	s_wait_kmcnt 0x0
	s_cmp_ge_u32 s20, s19
	s_cbranch_scc1 .LBB32_33
; %bb.4:
	s_clause 0x2
	s_load_b96 s[16:18], s[0:1], 0x10
	s_load_b32 s24, s[0:1], 0x30
	s_load_b96 s[12:14], s[0:1], 0x48
	v_and_b32_e32 v8, 0x3ff, v0
	v_bfe_u32 v9, v0, 10, 10
	s_clause 0x2
	s_load_b128 s[8:11], s[0:1], 0x20
	s_load_b64 s[26:27], s[0:1], 0x38
	s_load_b64 s[22:23], s[0:1], 0x58
	s_wait_xcnt 0x0
	s_bfe_u32 s0, ttmp6, 0x4000c
	s_bfe_u32 s1, ttmp6, 0x40010
	s_and_b32 s28, ttmp7, 0xffff
	s_add_co_i32 s29, s0, 1
	s_add_co_i32 s30, s1, 1
	v_lshl_add_u32 v1, v9, 4, v8
	s_and_b32 s15, ttmp6, 15
	v_and_b32_e32 v0, 7, v0
	v_lshl_add_u32 v25, v9, 5, 0x400
	s_delay_alu instid0(VALU_DEP_3)
	v_dual_mov_b32 v11, 0 :: v_dual_bitop2_b32 v4, 31, v1 bitop3:0x40
	v_dual_lshrrev_b32 v5, 3, v1 :: v_dual_lshrrev_b32 v22, 5, v1
	v_lshlrev_b32_e32 v24, 2, v8
	s_wait_kmcnt 0x0
	s_ashr_i32 s1, s18, 31
	s_mov_b32 s0, s18
	s_mul_i32 s18, ttmp9, s29
	s_mul_i32 s29, s28, s30
	s_bfe_u32 s30, ttmp6, 0x40004
	s_ashr_i32 s25, s24, 31
	s_ashr_i32 s3, s14, 31
	s_add_co_i32 s15, s15, s18
	s_add_co_i32 s30, s30, s29
	s_cmp_eq_u32 s2, 0
	v_lshlrev_b32_e32 v10, 2, v22
	s_cselect_b32 s2, ttmp9, s15
	s_cselect_b32 s15, s28, s30
	s_lshl_b32 s18, s2, 5
	s_lshl_b32 s15, s15, 5
	s_delay_alu instid0(SALU_CYCLE_1) | instskip(SKIP_1) | instid1(VALU_DEP_2)
	v_dual_add_nc_u32 v12, s15, v5 :: v_dual_bitop2_b32 v2, s18, v4 bitop3:0x54
	v_dual_mov_b32 v1, v11 :: v_dual_add_nc_u32 v14, s15, v9
	v_dual_lshlrev_b32 v4, 2, v4 :: v_dual_ashrrev_i32 v3, 31, v2
	s_mov_b32 s2, s14
	s_delay_alu instid0(VALU_DEP_2) | instskip(NEXT) | instid1(VALU_DEP_3)
	v_mul_u64_e32 v[18:19], s[24:25], v[0:1]
	v_dual_add_nc_u32 v20, 16, v14 :: v_dual_ashrrev_i32 v15, 31, v14
	s_delay_alu instid0(VALU_DEP_3)
	v_mul_u64_e32 v[16:17], s[0:1], v[2:3]
	v_lshlrev_b32_e32 v3, 2, v0
	v_cmp_gt_i32_e64 s0, s4, v2
	v_add_nc_u32_e32 v2, s18, v8
	v_ashrrev_i32_e32 v21, 31, v20
	v_lshl_or_b32 v1, v22, 7, v4
	v_lshl_or_b32 v3, v5, 5, v3
	v_mul_u64_e32 v[4:5], s[2:3], v[14:15]
	v_add_nc_u32_e32 v8, 16, v2
	v_mul_u64_e32 v[6:7], s[2:3], v[20:21]
	v_ashrrev_i32_e32 v13, 31, v12
	v_cmp_gt_i32_e64 s1, s4, v12
	s_cmp_neq_f32 s6, 0
	v_cmp_le_i32_e32 vcc_lo, v14, v2
	v_cmp_gt_i32_e64 s2, s4, v2
	v_lshlrev_b64_e32 v[12:13], 2, v[12:13]
	s_cselect_b32 s14, -1, 0
	s_cmp_gt_i32 s5, 0
	v_cmp_le_i32_e64 s3, v14, v8
	v_cmp_gt_i32_e64 s4, s4, v8
	s_cselect_b32 s15, -1, 0
	s_cmp_neq_f32 s7, 0
	v_add_nc_u32_e32 v23, 0x400, v3
	v_dual_ashrrev_i32 v3, 31, v2 :: v_dual_ashrrev_i32 v9, 31, v8
	s_cselect_b32 s18, -1, 0
	s_and_b32 s28, vcc_lo, s2
	s_and_b32 s29, s3, s4
	v_cmp_le_i32_e32 vcc_lo, v20, v2
	v_lshl_add_u64 v[12:13], v[18:19], 2, v[12:13]
	v_cmp_le_i32_e64 s3, v20, v8
	v_lshl_add_u64 v[10:11], v[16:17], 2, v[10:11]
	s_and_b32 s30, vcc_lo, s2
	v_add_nc_u64_e32 v[12:13], s[10:11], v[12:13]
	s_and_b32 s4, s3, s4
	s_lshl_b64 s[2:3], s[8:9], 2
	v_add_nc_u64_e32 v[10:11], s[16:17], v[10:11]
	s_and_b32 s16, s14, s15
	s_lshl_b64 s[8:9], s[26:27], 2
	s_lshl_b64 s[10:11], s[24:25], 5
	s_branch .LBB32_6
.LBB32_5:                               ;   in Loop: Header=BB32_6 Depth=1
	s_wait_xcnt 0x0
	s_or_b32 exec_lo, exec_lo, s14
	s_add_co_i32 s20, s20, 0x10000
	s_delay_alu instid0(SALU_CYCLE_1)
	s_cmp_lt_u32 s20, s19
	s_cbranch_scc0 .LBB32_33
.LBB32_6:                               ; =>This Loop Header: Depth=1
                                        ;     Child Loop BB32_9 Depth 2
	v_dual_mov_b32 v21, 0 :: v_dual_mov_b32 v20, 0
	v_dual_mov_b32 v15, 0 :: v_dual_mov_b32 v14, 0
	s_and_not1_b32 vcc_lo, exec_lo, s16
	s_cbranch_vccnz .LBB32_13
; %bb.7:                                ;   in Loop: Header=BB32_6 Depth=1
	v_mad_nc_u64_u32 v[16:17], s2, s20, v[10:11]
	v_mad_nc_u64_u32 v[18:19], s8, s20, v[12:13]
	v_mov_b32_e32 v14, 0
	s_mov_b32 s14, 0
	s_delay_alu instid0(VALU_DEP_1)
	v_dual_mov_b32 v15, v14 :: v_dual_mov_b32 v20, v14
	v_mov_b32_e32 v21, v14
	v_mad_u32 v17, s3, s20, v17
	v_mad_u32 v19, s9, s20, v19
	s_branch .LBB32_9
.LBB32_8:                               ;   in Loop: Header=BB32_9 Depth=2
	s_wait_xcnt 0x0
	s_or_b32 exec_lo, exec_lo, s15
	s_wait_loadcnt 0x0
	ds_store_b32 v23, v27
	s_wait_dscnt 0x0
	s_barrier_signal -1
	s_barrier_wait -1
	ds_load_b128 v[26:29], v25
	ds_load_2addr_b32 v[42:43], v24 offset1:16
	ds_load_b128 v[30:33], v25 offset:512
	ds_load_2addr_b32 v[44:45], v24 offset0:32 offset1:48
	ds_load_2addr_b32 v[46:47], v24 offset0:64 offset1:80
	ds_load_2addr_b32 v[48:49], v24 offset0:96 offset1:112
	ds_load_b128 v[34:37], v25 offset:16
	ds_load_2addr_b32 v[50:51], v24 offset0:128 offset1:144
	ds_load_b128 v[38:41], v25 offset:528
	v_add_nc_u64_e32 v[16:17], 32, v[16:17]
	v_add_nc_u64_e32 v[18:19], s[10:11], v[18:19]
	s_add_co_i32 s14, s14, 8
	s_delay_alu instid0(SALU_CYCLE_1)
	s_cmp_lt_i32 s14, s5
	s_wait_dscnt 0x7
	v_pk_fma_f32 v[20:21], v[42:43], v[26:27], v[20:21] op_sel_hi:[1,0,1]
	s_wait_dscnt 0x6
	v_pk_fma_f32 v[14:15], v[42:43], v[30:31], v[14:15] op_sel_hi:[1,0,1]
	ds_load_2addr_b32 v[42:43], v24 offset0:160 offset1:176
	s_wait_dscnt 0x6
	v_pk_fma_f32 v[20:21], v[44:45], v[26:27], v[20:21] op_sel:[0,1,0]
	v_pk_fma_f32 v[14:15], v[44:45], v[30:31], v[14:15] op_sel:[0,1,0]
	ds_load_2addr_b32 v[26:27], v24 offset0:192 offset1:208
	v_dual_mov_b32 v30, v29 :: v_dual_mov_b32 v44, v33
	s_wait_dscnt 0x6
	v_pk_fma_f32 v[20:21], v[46:47], v[28:29], v[20:21] op_sel_hi:[1,0,1]
	v_pk_fma_f32 v[14:15], v[46:47], v[32:33], v[14:15] op_sel_hi:[1,0,1]
	ds_load_2addr_b32 v[28:29], v24 offset0:224 offset1:240
	s_wait_dscnt 0x3
	v_mov_b32_e32 v32, v41
	s_wait_dscnt 0x0
	v_pk_fma_f32 v[20:21], v[48:49], v[30:31], v[20:21] op_sel_hi:[1,0,1]
	v_pk_fma_f32 v[14:15], v[48:49], v[44:45], v[14:15] op_sel_hi:[1,0,1]
	v_mov_b32_e32 v30, v37
	s_barrier_signal -1
	s_barrier_wait -1
	v_pk_fma_f32 v[20:21], v[50:51], v[34:35], v[20:21] op_sel_hi:[1,0,1]
	v_pk_fma_f32 v[14:15], v[50:51], v[38:39], v[14:15] op_sel_hi:[1,0,1]
	s_delay_alu instid0(VALU_DEP_2) | instskip(NEXT) | instid1(VALU_DEP_2)
	v_pk_fma_f32 v[20:21], v[42:43], v[34:35], v[20:21] op_sel:[0,1,0]
	v_pk_fma_f32 v[14:15], v[42:43], v[38:39], v[14:15] op_sel:[0,1,0]
	s_delay_alu instid0(VALU_DEP_2) | instskip(NEXT) | instid1(VALU_DEP_2)
	v_pk_fma_f32 v[20:21], v[26:27], v[36:37], v[20:21] op_sel_hi:[1,0,1]
	v_pk_fma_f32 v[14:15], v[26:27], v[40:41], v[14:15] op_sel_hi:[1,0,1]
	s_delay_alu instid0(VALU_DEP_2) | instskip(NEXT) | instid1(VALU_DEP_2)
	v_pk_fma_f32 v[20:21], v[28:29], v[30:31], v[20:21] op_sel_hi:[1,0,1]
	v_pk_fma_f32 v[14:15], v[28:29], v[32:33], v[14:15] op_sel_hi:[1,0,1]
	s_cbranch_scc0 .LBB32_13
.LBB32_9:                               ;   Parent Loop BB32_6 Depth=1
                                        ; =>  This Inner Loop Header: Depth=2
	v_add_nc_u32_e32 v26, s14, v22
	s_delay_alu instid0(VALU_DEP_1) | instskip(SKIP_2) | instid1(SALU_CYCLE_1)
	v_cmp_gt_i32_e32 vcc_lo, s5, v26
	v_mov_b32_e32 v26, 0
	s_and_b32 s17, s0, vcc_lo
	s_and_saveexec_b32 s15, s17
	s_cbranch_execz .LBB32_11
; %bb.10:                               ;   in Loop: Header=BB32_9 Depth=2
	global_load_b32 v26, v[16:17], off
.LBB32_11:                              ;   in Loop: Header=BB32_9 Depth=2
	s_wait_xcnt 0x0
	s_or_b32 exec_lo, exec_lo, s15
	v_add_nc_u32_e32 v27, s14, v0
	s_wait_loadcnt 0x0
	ds_store_b32 v1, v26
	v_cmp_gt_i32_e32 vcc_lo, s5, v27
	v_mov_b32_e32 v27, 0
	s_and_b32 s17, vcc_lo, s1
	s_delay_alu instid0(SALU_CYCLE_1)
	s_and_saveexec_b32 s15, s17
	s_cbranch_execz .LBB32_8
; %bb.12:                               ;   in Loop: Header=BB32_9 Depth=2
	global_load_b32 v27, v[18:19], off
	s_branch .LBB32_8
.LBB32_13:                              ;   in Loop: Header=BB32_6 Depth=1
	s_mul_u64 s[14:15], s[22:23], s[20:21]
	s_delay_alu instid0(SALU_CYCLE_1) | instskip(NEXT) | instid1(SALU_CYCLE_1)
	s_lshl_b64 s[14:15], s[14:15], 2
	s_add_nc_u64 s[14:15], s[12:13], s[14:15]
	s_delay_alu instid0(SALU_CYCLE_1)
	v_lshl_add_u64 v[16:17], v[4:5], 2, s[14:15]
	s_and_saveexec_b32 s17, s28
	s_cbranch_execz .LBB32_17
; %bb.14:                               ;   in Loop: Header=BB32_6 Depth=1
	v_mul_f32_e32 v20, s6, v20
	s_delay_alu instid0(VALU_DEP_2)
	v_lshl_add_u64 v[18:19], v[2:3], 2, v[16:17]
	s_and_b32 vcc_lo, exec_lo, s18
	s_cbranch_vccz .LBB32_28
; %bb.15:                               ;   in Loop: Header=BB32_6 Depth=1
	global_load_b32 v26, v[18:19], off
	s_wait_loadcnt 0x0
	v_fma_f32 v26, s7, v26, v20
	global_store_b32 v[18:19], v26, off
	s_cbranch_execnz .LBB32_17
.LBB32_16:                              ;   in Loop: Header=BB32_6 Depth=1
	global_store_b32 v[18:19], v20, off
.LBB32_17:                              ;   in Loop: Header=BB32_6 Depth=1
	s_wait_xcnt 0x0
	s_or_b32 exec_lo, exec_lo, s17
	s_and_saveexec_b32 s17, s29
	s_cbranch_execz .LBB32_21
; %bb.18:                               ;   in Loop: Header=BB32_6 Depth=1
	v_mul_f32_e32 v18, s6, v21
	v_lshl_add_u64 v[16:17], v[8:9], 2, v[16:17]
	s_and_not1_b32 vcc_lo, exec_lo, s18
	s_cbranch_vccnz .LBB32_29
; %bb.19:                               ;   in Loop: Header=BB32_6 Depth=1
	global_load_b32 v19, v[16:17], off
	s_wait_loadcnt 0x0
	v_fma_f32 v19, s7, v19, v18
	global_store_b32 v[16:17], v19, off
	s_cbranch_execnz .LBB32_21
.LBB32_20:                              ;   in Loop: Header=BB32_6 Depth=1
	global_store_b32 v[16:17], v18, off
.LBB32_21:                              ;   in Loop: Header=BB32_6 Depth=1
	s_wait_xcnt 0x0
	s_or_b32 exec_lo, exec_lo, s17
	v_lshl_add_u64 v[16:17], v[6:7], 2, s[14:15]
	s_and_saveexec_b32 s14, s30
	s_cbranch_execz .LBB32_25
; %bb.22:                               ;   in Loop: Header=BB32_6 Depth=1
	v_mul_f32_e32 v14, s6, v14
	s_delay_alu instid0(VALU_DEP_2)
	v_lshl_add_u64 v[18:19], v[2:3], 2, v[16:17]
	s_and_not1_b32 vcc_lo, exec_lo, s18
	s_cbranch_vccnz .LBB32_30
; %bb.23:                               ;   in Loop: Header=BB32_6 Depth=1
	global_load_b32 v20, v[18:19], off
	s_wait_loadcnt 0x0
	v_fma_f32 v20, s7, v20, v14
	global_store_b32 v[18:19], v20, off
	s_cbranch_execnz .LBB32_25
.LBB32_24:                              ;   in Loop: Header=BB32_6 Depth=1
	global_store_b32 v[18:19], v14, off
.LBB32_25:                              ;   in Loop: Header=BB32_6 Depth=1
	s_wait_xcnt 0x0
	s_or_b32 exec_lo, exec_lo, s14
	s_and_saveexec_b32 s14, s4
	s_cbranch_execz .LBB32_5
; %bb.26:                               ;   in Loop: Header=BB32_6 Depth=1
	v_mul_f32_e32 v18, s6, v15
	v_lshl_add_u64 v[14:15], v[8:9], 2, v[16:17]
	s_and_not1_b32 vcc_lo, exec_lo, s18
	s_cbranch_vccnz .LBB32_31
; %bb.27:                               ;   in Loop: Header=BB32_6 Depth=1
	global_load_b32 v16, v[14:15], off
	s_wait_loadcnt 0x0
	v_fma_f32 v16, s7, v16, v18
	global_store_b32 v[14:15], v16, off
	s_cbranch_execnz .LBB32_5
	s_branch .LBB32_32
.LBB32_28:                              ;   in Loop: Header=BB32_6 Depth=1
	s_branch .LBB32_16
.LBB32_29:                              ;   in Loop: Header=BB32_6 Depth=1
	s_branch .LBB32_20
.LBB32_30:                              ;   in Loop: Header=BB32_6 Depth=1
	s_branch .LBB32_24
.LBB32_31:                              ;   in Loop: Header=BB32_6 Depth=1
.LBB32_32:                              ;   in Loop: Header=BB32_6 Depth=1
	global_store_b32 v[14:15], v18, off
	s_branch .LBB32_5
.LBB32_33:
	s_endpgm
	.section	.rodata,"a",@progbits
	.p2align	6, 0x0
	.amdhsa_kernel _ZL29rocblas_internal_gemmt_kernelIiLi16ELi32ELi8ELc84ELc67ELc76ELb0ELb0EffPKfPfEviT_T9_T10_S3_lS5_S3_lS4_T11_S3_li
		.amdhsa_group_segment_fixed_size 2048
		.amdhsa_private_segment_fixed_size 0
		.amdhsa_kernarg_size 100
		.amdhsa_user_sgpr_count 2
		.amdhsa_user_sgpr_dispatch_ptr 0
		.amdhsa_user_sgpr_queue_ptr 0
		.amdhsa_user_sgpr_kernarg_segment_ptr 1
		.amdhsa_user_sgpr_dispatch_id 0
		.amdhsa_user_sgpr_kernarg_preload_length 0
		.amdhsa_user_sgpr_kernarg_preload_offset 0
		.amdhsa_user_sgpr_private_segment_size 0
		.amdhsa_wavefront_size32 1
		.amdhsa_uses_dynamic_stack 0
		.amdhsa_enable_private_segment 0
		.amdhsa_system_sgpr_workgroup_id_x 1
		.amdhsa_system_sgpr_workgroup_id_y 1
		.amdhsa_system_sgpr_workgroup_id_z 1
		.amdhsa_system_sgpr_workgroup_info 0
		.amdhsa_system_vgpr_workitem_id 1
		.amdhsa_next_free_vgpr 52
		.amdhsa_next_free_sgpr 31
		.amdhsa_named_barrier_count 0
		.amdhsa_reserve_vcc 1
		.amdhsa_float_round_mode_32 0
		.amdhsa_float_round_mode_16_64 0
		.amdhsa_float_denorm_mode_32 3
		.amdhsa_float_denorm_mode_16_64 3
		.amdhsa_fp16_overflow 0
		.amdhsa_memory_ordered 1
		.amdhsa_forward_progress 1
		.amdhsa_inst_pref_size 13
		.amdhsa_round_robin_scheduling 0
		.amdhsa_exception_fp_ieee_invalid_op 0
		.amdhsa_exception_fp_denorm_src 0
		.amdhsa_exception_fp_ieee_div_zero 0
		.amdhsa_exception_fp_ieee_overflow 0
		.amdhsa_exception_fp_ieee_underflow 0
		.amdhsa_exception_fp_ieee_inexact 0
		.amdhsa_exception_int_div_zero 0
	.end_amdhsa_kernel
	.section	.text._ZL29rocblas_internal_gemmt_kernelIiLi16ELi32ELi8ELc84ELc67ELc76ELb0ELb0EffPKfPfEviT_T9_T10_S3_lS5_S3_lS4_T11_S3_li,"axG",@progbits,_ZL29rocblas_internal_gemmt_kernelIiLi16ELi32ELi8ELc84ELc67ELc76ELb0ELb0EffPKfPfEviT_T9_T10_S3_lS5_S3_lS4_T11_S3_li,comdat
.Lfunc_end32:
	.size	_ZL29rocblas_internal_gemmt_kernelIiLi16ELi32ELi8ELc84ELc67ELc76ELb0ELb0EffPKfPfEviT_T9_T10_S3_lS5_S3_lS4_T11_S3_li, .Lfunc_end32-_ZL29rocblas_internal_gemmt_kernelIiLi16ELi32ELi8ELc84ELc67ELc76ELb0ELb0EffPKfPfEviT_T9_T10_S3_lS5_S3_lS4_T11_S3_li
                                        ; -- End function
	.set _ZL29rocblas_internal_gemmt_kernelIiLi16ELi32ELi8ELc84ELc67ELc76ELb0ELb0EffPKfPfEviT_T9_T10_S3_lS5_S3_lS4_T11_S3_li.num_vgpr, 52
	.set _ZL29rocblas_internal_gemmt_kernelIiLi16ELi32ELi8ELc84ELc67ELc76ELb0ELb0EffPKfPfEviT_T9_T10_S3_lS5_S3_lS4_T11_S3_li.num_agpr, 0
	.set _ZL29rocblas_internal_gemmt_kernelIiLi16ELi32ELi8ELc84ELc67ELc76ELb0ELb0EffPKfPfEviT_T9_T10_S3_lS5_S3_lS4_T11_S3_li.numbered_sgpr, 31
	.set _ZL29rocblas_internal_gemmt_kernelIiLi16ELi32ELi8ELc84ELc67ELc76ELb0ELb0EffPKfPfEviT_T9_T10_S3_lS5_S3_lS4_T11_S3_li.num_named_barrier, 0
	.set _ZL29rocblas_internal_gemmt_kernelIiLi16ELi32ELi8ELc84ELc67ELc76ELb0ELb0EffPKfPfEviT_T9_T10_S3_lS5_S3_lS4_T11_S3_li.private_seg_size, 0
	.set _ZL29rocblas_internal_gemmt_kernelIiLi16ELi32ELi8ELc84ELc67ELc76ELb0ELb0EffPKfPfEviT_T9_T10_S3_lS5_S3_lS4_T11_S3_li.uses_vcc, 1
	.set _ZL29rocblas_internal_gemmt_kernelIiLi16ELi32ELi8ELc84ELc67ELc76ELb0ELb0EffPKfPfEviT_T9_T10_S3_lS5_S3_lS4_T11_S3_li.uses_flat_scratch, 0
	.set _ZL29rocblas_internal_gemmt_kernelIiLi16ELi32ELi8ELc84ELc67ELc76ELb0ELb0EffPKfPfEviT_T9_T10_S3_lS5_S3_lS4_T11_S3_li.has_dyn_sized_stack, 0
	.set _ZL29rocblas_internal_gemmt_kernelIiLi16ELi32ELi8ELc84ELc67ELc76ELb0ELb0EffPKfPfEviT_T9_T10_S3_lS5_S3_lS4_T11_S3_li.has_recursion, 0
	.set _ZL29rocblas_internal_gemmt_kernelIiLi16ELi32ELi8ELc84ELc67ELc76ELb0ELb0EffPKfPfEviT_T9_T10_S3_lS5_S3_lS4_T11_S3_li.has_indirect_call, 0
	.section	.AMDGPU.csdata,"",@progbits
; Kernel info:
; codeLenInByte = 1632
; TotalNumSgprs: 33
; NumVgprs: 52
; ScratchSize: 0
; MemoryBound: 0
; FloatMode: 240
; IeeeMode: 1
; LDSByteSize: 2048 bytes/workgroup (compile time only)
; SGPRBlocks: 0
; VGPRBlocks: 3
; NumSGPRsForWavesPerEU: 33
; NumVGPRsForWavesPerEU: 52
; NamedBarCnt: 0
; Occupancy: 16
; WaveLimiterHint : 0
; COMPUTE_PGM_RSRC2:SCRATCH_EN: 0
; COMPUTE_PGM_RSRC2:USER_SGPR: 2
; COMPUTE_PGM_RSRC2:TRAP_HANDLER: 0
; COMPUTE_PGM_RSRC2:TGID_X_EN: 1
; COMPUTE_PGM_RSRC2:TGID_Y_EN: 1
; COMPUTE_PGM_RSRC2:TGID_Z_EN: 1
; COMPUTE_PGM_RSRC2:TIDIG_COMP_CNT: 1
	.section	.text._ZL29rocblas_internal_gemmt_kernelIiLi16ELi32ELi8ELc67ELc78ELc76ELb0ELb0EffPKfPfEviT_T9_T10_S3_lS5_S3_lS4_T11_S3_li,"axG",@progbits,_ZL29rocblas_internal_gemmt_kernelIiLi16ELi32ELi8ELc67ELc78ELc76ELb0ELb0EffPKfPfEviT_T9_T10_S3_lS5_S3_lS4_T11_S3_li,comdat
	.globl	_ZL29rocblas_internal_gemmt_kernelIiLi16ELi32ELi8ELc67ELc78ELc76ELb0ELb0EffPKfPfEviT_T9_T10_S3_lS5_S3_lS4_T11_S3_li ; -- Begin function _ZL29rocblas_internal_gemmt_kernelIiLi16ELi32ELi8ELc67ELc78ELc76ELb0ELb0EffPKfPfEviT_T9_T10_S3_lS5_S3_lS4_T11_S3_li
	.p2align	8
	.type	_ZL29rocblas_internal_gemmt_kernelIiLi16ELi32ELi8ELc67ELc78ELc76ELb0ELb0EffPKfPfEviT_T9_T10_S3_lS5_S3_lS4_T11_S3_li,@function
_ZL29rocblas_internal_gemmt_kernelIiLi16ELi32ELi8ELc67ELc78ELc76ELb0ELb0EffPKfPfEviT_T9_T10_S3_lS5_S3_lS4_T11_S3_li: ; @_ZL29rocblas_internal_gemmt_kernelIiLi16ELi32ELi8ELc67ELc78ELc76ELb0ELb0EffPKfPfEviT_T9_T10_S3_lS5_S3_lS4_T11_S3_li
; %bb.0:
	s_clause 0x1
	s_load_b32 s7, s[0:1], 0x40
	s_load_b96 s[4:6], s[0:1], 0x0
	s_wait_kmcnt 0x0
	s_cmp_neq_f32 s7, 1.0
	s_cselect_b32 s2, -1, 0
	s_delay_alu instid0(SALU_CYCLE_1)
	s_and_b32 vcc_lo, exec_lo, s2
	s_cbranch_vccnz .LBB33_2
; %bb.1:
	s_cmp_lg_u32 s5, 0
	s_cselect_b32 s2, -1, 0
	s_cmp_neq_f32 s6, 0
	s_cselect_b32 s3, -1, 0
	s_delay_alu instid0(SALU_CYCLE_1)
	s_and_b32 s2, s2, s3
.LBB33_2:
	s_delay_alu instid0(SALU_CYCLE_1)
	s_and_not1_b32 vcc_lo, exec_lo, s2
	s_cbranch_vccnz .LBB33_33
; %bb.3:
	s_load_b32 s15, s[0:1], 0x60
	s_bfe_u32 s2, ttmp6, 0x40014
	s_lshr_b32 s3, ttmp7, 16
	s_add_co_i32 s2, s2, 1
	s_bfe_u32 s8, ttmp6, 0x40008
	s_mul_i32 s2, s3, s2
	s_getreg_b32 s19, hwreg(HW_REG_IB_STS2, 6, 4)
	s_add_co_i32 s8, s8, s2
	s_cmp_eq_u32 s19, 0
	s_mov_b32 s21, 0
	s_cselect_b32 s20, s3, s8
	s_wait_kmcnt 0x0
	s_cmp_ge_u32 s20, s15
	s_cbranch_scc1 .LBB33_33
; %bb.4:
	s_clause 0x2
	s_load_b96 s[16:18], s[0:1], 0x10
	s_load_b32 s2, s[0:1], 0x30
	s_load_b96 s[12:14], s[0:1], 0x48
	v_and_b32_e32 v17, 0x3ff, v0
	v_bfe_u32 v18, v0, 10, 10
	s_clause 0x2
	s_load_b128 s[8:11], s[0:1], 0x20
	s_load_b64 s[24:25], s[0:1], 0x38
	s_load_b64 s[22:23], s[0:1], 0x58
	s_wait_xcnt 0x0
	s_bfe_u32 s1, ttmp6, 0x4000c
	s_bfe_u32 s3, ttmp6, 0x40010
	s_and_b32 s26, ttmp7, 0xffff
	s_add_co_i32 s28, s1, 1
	s_add_co_i32 s29, s3, 1
	v_and_b32_e32 v20, 7, v0
	v_lshl_add_u32 v0, v18, 4, v17
	s_and_b32 s0, ttmp6, 15
	s_mul_i32 s28, ttmp9, s28
	s_mul_i32 s29, s26, s29
	s_bfe_u32 s30, ttmp6, 0x40004
	s_add_co_i32 s0, s0, s28
	s_add_co_i32 s30, s30, s29
	v_dual_lshrrev_b32 v2, 3, v0 :: v_dual_bitop2_b32 v3, 31, v0 bitop3:0x40
	s_wait_kmcnt 0x0
	s_ashr_i32 s1, s18, 31
	s_ashr_i32 s3, s2, 31
	;; [unrolled: 1-line block ×3, first 2 shown]
	s_cmp_eq_u32 s19, 0
	v_lshrrev_b32_e32 v21, 5, v0
	s_cselect_b32 s0, ttmp9, s0
	s_cselect_b32 s19, s26, s30
	s_lshl_b32 s28, s0, 5
	s_lshl_b32 s19, s19, 5
	s_delay_alu instid0(SALU_CYCLE_1) | instskip(SKIP_3) | instid1(VALU_DEP_2)
	v_dual_add_nc_u32 v6, s19, v2 :: v_dual_bitop2_b32 v0, s28, v3 bitop3:0x54
	v_add_nc_u32_e32 v8, s19, v18
	s_mov_b32 s0, s18
	s_mov_b32 s26, s14
	v_dual_ashrrev_i32 v1, 31, v0 :: v_dual_ashrrev_i32 v7, 31, v6
	s_cmp_neq_f32 s6, 0
	v_lshl_add_u32 v25, v18, 5, 0x400
	v_lshlrev_b32_e32 v24, 2, v17
	s_delay_alu instid0(VALU_DEP_3)
	v_mul_u64_e32 v[10:11], s[0:1], v[0:1]
	v_mul_u64_e32 v[12:13], s[2:3], v[6:7]
	v_dual_lshlrev_b32 v1, 2, v3 :: v_dual_add_nc_u32 v14, 16, v8
	v_ashrrev_i32_e32 v9, 31, v8
	v_lshlrev_b32_e32 v16, 2, v20
	v_cmp_gt_i32_e64 s0, s4, v0
	s_delay_alu instid0(VALU_DEP_4) | instskip(SKIP_1) | instid1(VALU_DEP_4)
	v_lshl_or_b32 v22, v21, 7, v1
	v_dual_ashrrev_i32 v15, 31, v14 :: v_dual_add_nc_u32 v0, s28, v17
	v_lshl_or_b32 v1, v2, 5, v16
	v_mul_u64_e32 v[2:3], s[26:27], v[8:9]
	s_cselect_b32 s29, -1, 0
	s_delay_alu instid0(VALU_DEP_3)
	v_mul_u64_e32 v[4:5], s[26:27], v[14:15]
	s_cmp_gt_i32 s5, 0
	v_cmp_gt_i32_e64 s1, s4, v6
	v_cmp_le_i32_e32 vcc_lo, v8, v0
	v_cmp_gt_i32_e64 s2, s4, v0
	v_dual_mov_b32 v9, 0 :: v_dual_add_nc_u32 v6, 16, v0
	s_cselect_b32 s30, -1, 0
	s_cmp_neq_f32 s7, 0
	v_add_nc_u32_e32 v23, 0x400, v1
	s_delay_alu instid0(VALU_DEP_2)
	v_cmp_gt_i32_e64 s3, s4, v6
	v_mov_b32_e32 v17, v9
	s_cselect_b32 s14, -1, 0
	s_and_b32 s18, vcc_lo, s2
	v_cmp_le_i32_e32 vcc_lo, v8, v6
	v_lshlrev_b32_e32 v8, 2, v21
	v_cmp_le_i32_e64 s4, v14, v0
	v_dual_ashrrev_i32 v1, 31, v0 :: v_dual_ashrrev_i32 v7, 31, v6
	s_and_b32 s19, vcc_lo, s3
	v_lshl_add_u64 v[8:9], v[10:11], 2, v[8:9]
	v_lshl_add_u64 v[10:11], v[12:13], 2, v[16:17]
	v_cmp_le_i32_e32 vcc_lo, v14, v6
	s_and_b32 s4, s4, s2
	s_delay_alu instid0(VALU_DEP_3) | instskip(NEXT) | instid1(VALU_DEP_3)
	v_add_nc_u64_e32 v[8:9], s[16:17], v[8:9]
	v_add_nc_u64_e32 v[10:11], s[10:11], v[10:11]
	s_and_b32 s16, s29, s30
	s_and_b32 s17, vcc_lo, s3
	s_lshl_b64 s[2:3], s[8:9], 2
	s_lshl_b64 s[8:9], s[24:25], 2
	s_branch .LBB33_6
.LBB33_5:                               ;   in Loop: Header=BB33_6 Depth=1
	s_wait_xcnt 0x0
	s_or_b32 exec_lo, exec_lo, s10
	s_add_co_i32 s20, s20, 0x10000
	s_delay_alu instid0(SALU_CYCLE_1)
	s_cmp_lt_u32 s20, s15
	s_cbranch_scc0 .LBB33_33
.LBB33_6:                               ; =>This Loop Header: Depth=1
                                        ;     Child Loop BB33_9 Depth 2
	v_dual_mov_b32 v19, 0 :: v_dual_mov_b32 v18, 0
	v_dual_mov_b32 v13, 0 :: v_dual_mov_b32 v12, 0
	s_and_not1_b32 vcc_lo, exec_lo, s16
	s_cbranch_vccnz .LBB33_13
; %bb.7:                                ;   in Loop: Header=BB33_6 Depth=1
	v_mad_nc_u64_u32 v[14:15], s2, s20, v[8:9]
	v_mad_nc_u64_u32 v[16:17], s8, s20, v[10:11]
	v_mov_b32_e32 v12, 0
	s_mov_b32 s10, 0
	s_delay_alu instid0(VALU_DEP_1)
	v_dual_mov_b32 v13, v12 :: v_dual_mov_b32 v18, v12
	v_mov_b32_e32 v19, v12
	v_mad_u32 v15, s3, s20, v15
	v_mad_u32 v17, s9, s20, v17
	s_branch .LBB33_9
.LBB33_8:                               ;   in Loop: Header=BB33_9 Depth=2
	s_wait_xcnt 0x0
	s_or_b32 exec_lo, exec_lo, s11
	s_wait_loadcnt 0x0
	ds_store_b32 v23, v27
	s_wait_dscnt 0x0
	s_barrier_signal -1
	s_barrier_wait -1
	ds_load_b128 v[26:29], v25
	ds_load_2addr_b32 v[42:43], v24 offset1:16
	ds_load_b128 v[30:33], v25 offset:512
	ds_load_2addr_b32 v[44:45], v24 offset0:32 offset1:48
	ds_load_2addr_b32 v[46:47], v24 offset0:64 offset1:80
	;; [unrolled: 1-line block ×3, first 2 shown]
	ds_load_b128 v[34:37], v25 offset:16
	ds_load_2addr_b32 v[50:51], v24 offset0:128 offset1:144
	ds_load_b128 v[38:41], v25 offset:528
	v_add_nc_u64_e32 v[14:15], 32, v[14:15]
	v_add_nc_u64_e32 v[16:17], 32, v[16:17]
	s_add_co_i32 s10, s10, 8
	s_delay_alu instid0(SALU_CYCLE_1)
	s_cmp_lt_i32 s10, s5
	s_wait_dscnt 0x7
	v_pk_fma_f32 v[18:19], v[42:43], v[26:27], v[18:19] op_sel_hi:[1,0,1]
	s_wait_dscnt 0x6
	v_pk_fma_f32 v[12:13], v[42:43], v[30:31], v[12:13] op_sel_hi:[1,0,1]
	ds_load_2addr_b32 v[42:43], v24 offset0:160 offset1:176
	s_wait_dscnt 0x6
	v_pk_fma_f32 v[18:19], v[44:45], v[26:27], v[18:19] op_sel:[0,1,0]
	v_pk_fma_f32 v[12:13], v[44:45], v[30:31], v[12:13] op_sel:[0,1,0]
	ds_load_2addr_b32 v[26:27], v24 offset0:192 offset1:208
	v_dual_mov_b32 v30, v29 :: v_dual_mov_b32 v44, v33
	s_wait_dscnt 0x6
	v_pk_fma_f32 v[18:19], v[46:47], v[28:29], v[18:19] op_sel_hi:[1,0,1]
	v_pk_fma_f32 v[12:13], v[46:47], v[32:33], v[12:13] op_sel_hi:[1,0,1]
	ds_load_2addr_b32 v[28:29], v24 offset0:224 offset1:240
	s_wait_dscnt 0x3
	v_mov_b32_e32 v32, v41
	s_wait_dscnt 0x0
	v_pk_fma_f32 v[18:19], v[48:49], v[30:31], v[18:19] op_sel_hi:[1,0,1]
	v_pk_fma_f32 v[12:13], v[48:49], v[44:45], v[12:13] op_sel_hi:[1,0,1]
	v_mov_b32_e32 v30, v37
	s_barrier_signal -1
	s_barrier_wait -1
	v_pk_fma_f32 v[18:19], v[50:51], v[34:35], v[18:19] op_sel_hi:[1,0,1]
	v_pk_fma_f32 v[12:13], v[50:51], v[38:39], v[12:13] op_sel_hi:[1,0,1]
	s_delay_alu instid0(VALU_DEP_2) | instskip(NEXT) | instid1(VALU_DEP_2)
	v_pk_fma_f32 v[18:19], v[42:43], v[34:35], v[18:19] op_sel:[0,1,0]
	v_pk_fma_f32 v[12:13], v[42:43], v[38:39], v[12:13] op_sel:[0,1,0]
	s_delay_alu instid0(VALU_DEP_2) | instskip(NEXT) | instid1(VALU_DEP_2)
	v_pk_fma_f32 v[18:19], v[26:27], v[36:37], v[18:19] op_sel_hi:[1,0,1]
	v_pk_fma_f32 v[12:13], v[26:27], v[40:41], v[12:13] op_sel_hi:[1,0,1]
	s_delay_alu instid0(VALU_DEP_2) | instskip(NEXT) | instid1(VALU_DEP_2)
	v_pk_fma_f32 v[18:19], v[28:29], v[30:31], v[18:19] op_sel_hi:[1,0,1]
	v_pk_fma_f32 v[12:13], v[28:29], v[32:33], v[12:13] op_sel_hi:[1,0,1]
	s_cbranch_scc0 .LBB33_13
.LBB33_9:                               ;   Parent Loop BB33_6 Depth=1
                                        ; =>  This Inner Loop Header: Depth=2
	v_add_nc_u32_e32 v26, s10, v21
	s_delay_alu instid0(VALU_DEP_1) | instskip(SKIP_2) | instid1(SALU_CYCLE_1)
	v_cmp_gt_i32_e32 vcc_lo, s5, v26
	v_mov_b32_e32 v26, 0
	s_and_b32 s24, s0, vcc_lo
	s_and_saveexec_b32 s11, s24
	s_cbranch_execz .LBB33_11
; %bb.10:                               ;   in Loop: Header=BB33_9 Depth=2
	global_load_b32 v26, v[14:15], off
.LBB33_11:                              ;   in Loop: Header=BB33_9 Depth=2
	s_wait_xcnt 0x0
	s_or_b32 exec_lo, exec_lo, s11
	v_add_nc_u32_e32 v27, s10, v20
	s_wait_loadcnt 0x0
	ds_store_b32 v22, v26
	v_cmp_gt_i32_e32 vcc_lo, s5, v27
	v_mov_b32_e32 v27, 0
	s_and_b32 s24, vcc_lo, s1
	s_delay_alu instid0(SALU_CYCLE_1)
	s_and_saveexec_b32 s11, s24
	s_cbranch_execz .LBB33_8
; %bb.12:                               ;   in Loop: Header=BB33_9 Depth=2
	global_load_b32 v27, v[16:17], off
	s_branch .LBB33_8
.LBB33_13:                              ;   in Loop: Header=BB33_6 Depth=1
	s_mul_u64 s[10:11], s[22:23], s[20:21]
	s_delay_alu instid0(SALU_CYCLE_1) | instskip(NEXT) | instid1(SALU_CYCLE_1)
	s_lshl_b64 s[10:11], s[10:11], 2
	s_add_nc_u64 s[10:11], s[12:13], s[10:11]
	s_delay_alu instid0(SALU_CYCLE_1)
	v_lshl_add_u64 v[14:15], v[2:3], 2, s[10:11]
	s_and_saveexec_b32 s24, s18
	s_cbranch_execz .LBB33_17
; %bb.14:                               ;   in Loop: Header=BB33_6 Depth=1
	v_mul_f32_e32 v18, s6, v18
	s_delay_alu instid0(VALU_DEP_2)
	v_lshl_add_u64 v[16:17], v[0:1], 2, v[14:15]
	s_and_b32 vcc_lo, exec_lo, s14
	s_cbranch_vccz .LBB33_28
; %bb.15:                               ;   in Loop: Header=BB33_6 Depth=1
	global_load_b32 v26, v[16:17], off
	s_wait_loadcnt 0x0
	v_fma_f32 v26, s7, v26, v18
	global_store_b32 v[16:17], v26, off
	s_cbranch_execnz .LBB33_17
.LBB33_16:                              ;   in Loop: Header=BB33_6 Depth=1
	global_store_b32 v[16:17], v18, off
.LBB33_17:                              ;   in Loop: Header=BB33_6 Depth=1
	s_wait_xcnt 0x0
	s_or_b32 exec_lo, exec_lo, s24
	s_and_saveexec_b32 s24, s19
	s_cbranch_execz .LBB33_21
; %bb.18:                               ;   in Loop: Header=BB33_6 Depth=1
	v_mul_f32_e32 v16, s6, v19
	v_lshl_add_u64 v[14:15], v[6:7], 2, v[14:15]
	s_and_not1_b32 vcc_lo, exec_lo, s14
	s_cbranch_vccnz .LBB33_29
; %bb.19:                               ;   in Loop: Header=BB33_6 Depth=1
	global_load_b32 v17, v[14:15], off
	s_wait_loadcnt 0x0
	v_fma_f32 v17, s7, v17, v16
	global_store_b32 v[14:15], v17, off
	s_cbranch_execnz .LBB33_21
.LBB33_20:                              ;   in Loop: Header=BB33_6 Depth=1
	global_store_b32 v[14:15], v16, off
.LBB33_21:                              ;   in Loop: Header=BB33_6 Depth=1
	s_wait_xcnt 0x0
	s_or_b32 exec_lo, exec_lo, s24
	v_lshl_add_u64 v[14:15], v[4:5], 2, s[10:11]
	s_and_saveexec_b32 s10, s4
	s_cbranch_execz .LBB33_25
; %bb.22:                               ;   in Loop: Header=BB33_6 Depth=1
	v_mul_f32_e32 v12, s6, v12
	s_delay_alu instid0(VALU_DEP_2)
	v_lshl_add_u64 v[16:17], v[0:1], 2, v[14:15]
	s_and_not1_b32 vcc_lo, exec_lo, s14
	s_cbranch_vccnz .LBB33_30
; %bb.23:                               ;   in Loop: Header=BB33_6 Depth=1
	global_load_b32 v18, v[16:17], off
	s_wait_loadcnt 0x0
	v_fma_f32 v18, s7, v18, v12
	global_store_b32 v[16:17], v18, off
	s_cbranch_execnz .LBB33_25
.LBB33_24:                              ;   in Loop: Header=BB33_6 Depth=1
	global_store_b32 v[16:17], v12, off
.LBB33_25:                              ;   in Loop: Header=BB33_6 Depth=1
	s_wait_xcnt 0x0
	s_or_b32 exec_lo, exec_lo, s10
	s_and_saveexec_b32 s10, s17
	s_cbranch_execz .LBB33_5
; %bb.26:                               ;   in Loop: Header=BB33_6 Depth=1
	v_mul_f32_e32 v16, s6, v13
	v_lshl_add_u64 v[12:13], v[6:7], 2, v[14:15]
	s_and_not1_b32 vcc_lo, exec_lo, s14
	s_cbranch_vccnz .LBB33_31
; %bb.27:                               ;   in Loop: Header=BB33_6 Depth=1
	global_load_b32 v14, v[12:13], off
	s_wait_loadcnt 0x0
	v_fma_f32 v14, s7, v14, v16
	global_store_b32 v[12:13], v14, off
	s_cbranch_execnz .LBB33_5
	s_branch .LBB33_32
.LBB33_28:                              ;   in Loop: Header=BB33_6 Depth=1
	s_branch .LBB33_16
.LBB33_29:                              ;   in Loop: Header=BB33_6 Depth=1
	s_branch .LBB33_20
.LBB33_30:                              ;   in Loop: Header=BB33_6 Depth=1
	s_branch .LBB33_24
.LBB33_31:                              ;   in Loop: Header=BB33_6 Depth=1
.LBB33_32:                              ;   in Loop: Header=BB33_6 Depth=1
	global_store_b32 v[12:13], v16, off
	s_branch .LBB33_5
.LBB33_33:
	s_endpgm
	.section	.rodata,"a",@progbits
	.p2align	6, 0x0
	.amdhsa_kernel _ZL29rocblas_internal_gemmt_kernelIiLi16ELi32ELi8ELc67ELc78ELc76ELb0ELb0EffPKfPfEviT_T9_T10_S3_lS5_S3_lS4_T11_S3_li
		.amdhsa_group_segment_fixed_size 2048
		.amdhsa_private_segment_fixed_size 0
		.amdhsa_kernarg_size 100
		.amdhsa_user_sgpr_count 2
		.amdhsa_user_sgpr_dispatch_ptr 0
		.amdhsa_user_sgpr_queue_ptr 0
		.amdhsa_user_sgpr_kernarg_segment_ptr 1
		.amdhsa_user_sgpr_dispatch_id 0
		.amdhsa_user_sgpr_kernarg_preload_length 0
		.amdhsa_user_sgpr_kernarg_preload_offset 0
		.amdhsa_user_sgpr_private_segment_size 0
		.amdhsa_wavefront_size32 1
		.amdhsa_uses_dynamic_stack 0
		.amdhsa_enable_private_segment 0
		.amdhsa_system_sgpr_workgroup_id_x 1
		.amdhsa_system_sgpr_workgroup_id_y 1
		.amdhsa_system_sgpr_workgroup_id_z 1
		.amdhsa_system_sgpr_workgroup_info 0
		.amdhsa_system_vgpr_workitem_id 1
		.amdhsa_next_free_vgpr 52
		.amdhsa_next_free_sgpr 31
		.amdhsa_named_barrier_count 0
		.amdhsa_reserve_vcc 1
		.amdhsa_float_round_mode_32 0
		.amdhsa_float_round_mode_16_64 0
		.amdhsa_float_denorm_mode_32 3
		.amdhsa_float_denorm_mode_16_64 3
		.amdhsa_fp16_overflow 0
		.amdhsa_memory_ordered 1
		.amdhsa_forward_progress 1
		.amdhsa_inst_pref_size 13
		.amdhsa_round_robin_scheduling 0
		.amdhsa_exception_fp_ieee_invalid_op 0
		.amdhsa_exception_fp_denorm_src 0
		.amdhsa_exception_fp_ieee_div_zero 0
		.amdhsa_exception_fp_ieee_overflow 0
		.amdhsa_exception_fp_ieee_underflow 0
		.amdhsa_exception_fp_ieee_inexact 0
		.amdhsa_exception_int_div_zero 0
	.end_amdhsa_kernel
	.section	.text._ZL29rocblas_internal_gemmt_kernelIiLi16ELi32ELi8ELc67ELc78ELc76ELb0ELb0EffPKfPfEviT_T9_T10_S3_lS5_S3_lS4_T11_S3_li,"axG",@progbits,_ZL29rocblas_internal_gemmt_kernelIiLi16ELi32ELi8ELc67ELc78ELc76ELb0ELb0EffPKfPfEviT_T9_T10_S3_lS5_S3_lS4_T11_S3_li,comdat
.Lfunc_end33:
	.size	_ZL29rocblas_internal_gemmt_kernelIiLi16ELi32ELi8ELc67ELc78ELc76ELb0ELb0EffPKfPfEviT_T9_T10_S3_lS5_S3_lS4_T11_S3_li, .Lfunc_end33-_ZL29rocblas_internal_gemmt_kernelIiLi16ELi32ELi8ELc67ELc78ELc76ELb0ELb0EffPKfPfEviT_T9_T10_S3_lS5_S3_lS4_T11_S3_li
                                        ; -- End function
	.set _ZL29rocblas_internal_gemmt_kernelIiLi16ELi32ELi8ELc67ELc78ELc76ELb0ELb0EffPKfPfEviT_T9_T10_S3_lS5_S3_lS4_T11_S3_li.num_vgpr, 52
	.set _ZL29rocblas_internal_gemmt_kernelIiLi16ELi32ELi8ELc67ELc78ELc76ELb0ELb0EffPKfPfEviT_T9_T10_S3_lS5_S3_lS4_T11_S3_li.num_agpr, 0
	.set _ZL29rocblas_internal_gemmt_kernelIiLi16ELi32ELi8ELc67ELc78ELc76ELb0ELb0EffPKfPfEviT_T9_T10_S3_lS5_S3_lS4_T11_S3_li.numbered_sgpr, 31
	.set _ZL29rocblas_internal_gemmt_kernelIiLi16ELi32ELi8ELc67ELc78ELc76ELb0ELb0EffPKfPfEviT_T9_T10_S3_lS5_S3_lS4_T11_S3_li.num_named_barrier, 0
	.set _ZL29rocblas_internal_gemmt_kernelIiLi16ELi32ELi8ELc67ELc78ELc76ELb0ELb0EffPKfPfEviT_T9_T10_S3_lS5_S3_lS4_T11_S3_li.private_seg_size, 0
	.set _ZL29rocblas_internal_gemmt_kernelIiLi16ELi32ELi8ELc67ELc78ELc76ELb0ELb0EffPKfPfEviT_T9_T10_S3_lS5_S3_lS4_T11_S3_li.uses_vcc, 1
	.set _ZL29rocblas_internal_gemmt_kernelIiLi16ELi32ELi8ELc67ELc78ELc76ELb0ELb0EffPKfPfEviT_T9_T10_S3_lS5_S3_lS4_T11_S3_li.uses_flat_scratch, 0
	.set _ZL29rocblas_internal_gemmt_kernelIiLi16ELi32ELi8ELc67ELc78ELc76ELb0ELb0EffPKfPfEviT_T9_T10_S3_lS5_S3_lS4_T11_S3_li.has_dyn_sized_stack, 0
	.set _ZL29rocblas_internal_gemmt_kernelIiLi16ELi32ELi8ELc67ELc78ELc76ELb0ELb0EffPKfPfEviT_T9_T10_S3_lS5_S3_lS4_T11_S3_li.has_recursion, 0
	.set _ZL29rocblas_internal_gemmt_kernelIiLi16ELi32ELi8ELc67ELc78ELc76ELb0ELb0EffPKfPfEviT_T9_T10_S3_lS5_S3_lS4_T11_S3_li.has_indirect_call, 0
	.section	.AMDGPU.csdata,"",@progbits
; Kernel info:
; codeLenInByte = 1628
; TotalNumSgprs: 33
; NumVgprs: 52
; ScratchSize: 0
; MemoryBound: 0
; FloatMode: 240
; IeeeMode: 1
; LDSByteSize: 2048 bytes/workgroup (compile time only)
; SGPRBlocks: 0
; VGPRBlocks: 3
; NumSGPRsForWavesPerEU: 33
; NumVGPRsForWavesPerEU: 52
; NamedBarCnt: 0
; Occupancy: 16
; WaveLimiterHint : 0
; COMPUTE_PGM_RSRC2:SCRATCH_EN: 0
; COMPUTE_PGM_RSRC2:USER_SGPR: 2
; COMPUTE_PGM_RSRC2:TRAP_HANDLER: 0
; COMPUTE_PGM_RSRC2:TGID_X_EN: 1
; COMPUTE_PGM_RSRC2:TGID_Y_EN: 1
; COMPUTE_PGM_RSRC2:TGID_Z_EN: 1
; COMPUTE_PGM_RSRC2:TIDIG_COMP_CNT: 1
	.section	.text._ZL29rocblas_internal_gemmt_kernelIiLi16ELi32ELi8ELc67ELc84ELc76ELb0ELb0EffPKfPfEviT_T9_T10_S3_lS5_S3_lS4_T11_S3_li,"axG",@progbits,_ZL29rocblas_internal_gemmt_kernelIiLi16ELi32ELi8ELc67ELc84ELc76ELb0ELb0EffPKfPfEviT_T9_T10_S3_lS5_S3_lS4_T11_S3_li,comdat
	.globl	_ZL29rocblas_internal_gemmt_kernelIiLi16ELi32ELi8ELc67ELc84ELc76ELb0ELb0EffPKfPfEviT_T9_T10_S3_lS5_S3_lS4_T11_S3_li ; -- Begin function _ZL29rocblas_internal_gemmt_kernelIiLi16ELi32ELi8ELc67ELc84ELc76ELb0ELb0EffPKfPfEviT_T9_T10_S3_lS5_S3_lS4_T11_S3_li
	.p2align	8
	.type	_ZL29rocblas_internal_gemmt_kernelIiLi16ELi32ELi8ELc67ELc84ELc76ELb0ELb0EffPKfPfEviT_T9_T10_S3_lS5_S3_lS4_T11_S3_li,@function
_ZL29rocblas_internal_gemmt_kernelIiLi16ELi32ELi8ELc67ELc84ELc76ELb0ELb0EffPKfPfEviT_T9_T10_S3_lS5_S3_lS4_T11_S3_li: ; @_ZL29rocblas_internal_gemmt_kernelIiLi16ELi32ELi8ELc67ELc84ELc76ELb0ELb0EffPKfPfEviT_T9_T10_S3_lS5_S3_lS4_T11_S3_li
; %bb.0:
	s_clause 0x1
	s_load_b32 s7, s[0:1], 0x40
	s_load_b96 s[4:6], s[0:1], 0x0
	s_wait_kmcnt 0x0
	s_cmp_neq_f32 s7, 1.0
	s_cselect_b32 s2, -1, 0
	s_delay_alu instid0(SALU_CYCLE_1)
	s_and_b32 vcc_lo, exec_lo, s2
	s_cbranch_vccnz .LBB34_2
; %bb.1:
	s_cmp_lg_u32 s5, 0
	s_cselect_b32 s2, -1, 0
	s_cmp_neq_f32 s6, 0
	s_cselect_b32 s3, -1, 0
	s_delay_alu instid0(SALU_CYCLE_1)
	s_and_b32 s2, s2, s3
.LBB34_2:
	s_delay_alu instid0(SALU_CYCLE_1)
	s_and_not1_b32 vcc_lo, exec_lo, s2
	s_cbranch_vccnz .LBB34_33
; %bb.3:
	s_load_b32 s19, s[0:1], 0x60
	s_bfe_u32 s2, ttmp6, 0x40014
	s_lshr_b32 s3, ttmp7, 16
	s_add_co_i32 s2, s2, 1
	s_bfe_u32 s9, ttmp6, 0x40008
	s_mul_i32 s8, s3, s2
	s_getreg_b32 s2, hwreg(HW_REG_IB_STS2, 6, 4)
	s_add_co_i32 s9, s9, s8
	s_cmp_eq_u32 s2, 0
	s_mov_b32 s21, 0
	s_cselect_b32 s20, s3, s9
	s_wait_kmcnt 0x0
	s_cmp_ge_u32 s20, s19
	s_cbranch_scc1 .LBB34_33
; %bb.4:
	s_clause 0x2
	s_load_b96 s[16:18], s[0:1], 0x10
	s_load_b32 s24, s[0:1], 0x30
	s_load_b96 s[12:14], s[0:1], 0x48
	v_and_b32_e32 v8, 0x3ff, v0
	v_bfe_u32 v9, v0, 10, 10
	s_clause 0x2
	s_load_b128 s[8:11], s[0:1], 0x20
	s_load_b64 s[26:27], s[0:1], 0x38
	s_load_b64 s[22:23], s[0:1], 0x58
	s_wait_xcnt 0x0
	s_bfe_u32 s0, ttmp6, 0x4000c
	s_bfe_u32 s1, ttmp6, 0x40010
	s_and_b32 s28, ttmp7, 0xffff
	s_add_co_i32 s29, s0, 1
	s_add_co_i32 s30, s1, 1
	v_lshl_add_u32 v1, v9, 4, v8
	s_and_b32 s15, ttmp6, 15
	v_and_b32_e32 v0, 7, v0
	v_lshl_add_u32 v25, v9, 5, 0x400
	s_delay_alu instid0(VALU_DEP_3)
	v_dual_mov_b32 v11, 0 :: v_dual_bitop2_b32 v4, 31, v1 bitop3:0x40
	v_dual_lshrrev_b32 v5, 3, v1 :: v_dual_lshrrev_b32 v22, 5, v1
	v_lshlrev_b32_e32 v24, 2, v8
	s_wait_kmcnt 0x0
	s_ashr_i32 s1, s18, 31
	s_mov_b32 s0, s18
	s_mul_i32 s18, ttmp9, s29
	s_mul_i32 s29, s28, s30
	s_bfe_u32 s30, ttmp6, 0x40004
	s_ashr_i32 s25, s24, 31
	s_ashr_i32 s3, s14, 31
	s_add_co_i32 s15, s15, s18
	s_add_co_i32 s30, s30, s29
	s_cmp_eq_u32 s2, 0
	v_lshlrev_b32_e32 v10, 2, v22
	s_cselect_b32 s2, ttmp9, s15
	s_cselect_b32 s15, s28, s30
	s_lshl_b32 s18, s2, 5
	s_lshl_b32 s15, s15, 5
	s_delay_alu instid0(SALU_CYCLE_1) | instskip(SKIP_1) | instid1(VALU_DEP_2)
	v_dual_add_nc_u32 v12, s15, v5 :: v_dual_bitop2_b32 v2, s18, v4 bitop3:0x54
	v_dual_mov_b32 v1, v11 :: v_dual_add_nc_u32 v14, s15, v9
	v_dual_lshlrev_b32 v4, 2, v4 :: v_dual_ashrrev_i32 v3, 31, v2
	s_mov_b32 s2, s14
	s_delay_alu instid0(VALU_DEP_2) | instskip(NEXT) | instid1(VALU_DEP_3)
	v_mul_u64_e32 v[18:19], s[24:25], v[0:1]
	v_dual_add_nc_u32 v20, 16, v14 :: v_dual_ashrrev_i32 v15, 31, v14
	s_delay_alu instid0(VALU_DEP_3)
	v_mul_u64_e32 v[16:17], s[0:1], v[2:3]
	v_lshlrev_b32_e32 v3, 2, v0
	v_cmp_gt_i32_e64 s0, s4, v2
	v_add_nc_u32_e32 v2, s18, v8
	v_ashrrev_i32_e32 v21, 31, v20
	v_lshl_or_b32 v1, v22, 7, v4
	v_lshl_or_b32 v3, v5, 5, v3
	v_mul_u64_e32 v[4:5], s[2:3], v[14:15]
	v_add_nc_u32_e32 v8, 16, v2
	v_mul_u64_e32 v[6:7], s[2:3], v[20:21]
	v_ashrrev_i32_e32 v13, 31, v12
	v_cmp_gt_i32_e64 s1, s4, v12
	s_cmp_neq_f32 s6, 0
	v_cmp_le_i32_e32 vcc_lo, v14, v2
	v_cmp_gt_i32_e64 s2, s4, v2
	v_lshlrev_b64_e32 v[12:13], 2, v[12:13]
	s_cselect_b32 s14, -1, 0
	s_cmp_gt_i32 s5, 0
	v_cmp_le_i32_e64 s3, v14, v8
	v_cmp_gt_i32_e64 s4, s4, v8
	s_cselect_b32 s15, -1, 0
	s_cmp_neq_f32 s7, 0
	v_add_nc_u32_e32 v23, 0x400, v3
	v_dual_ashrrev_i32 v3, 31, v2 :: v_dual_ashrrev_i32 v9, 31, v8
	s_cselect_b32 s18, -1, 0
	s_and_b32 s28, vcc_lo, s2
	s_and_b32 s29, s3, s4
	v_cmp_le_i32_e32 vcc_lo, v20, v2
	v_lshl_add_u64 v[12:13], v[18:19], 2, v[12:13]
	v_cmp_le_i32_e64 s3, v20, v8
	v_lshl_add_u64 v[10:11], v[16:17], 2, v[10:11]
	s_and_b32 s30, vcc_lo, s2
	v_add_nc_u64_e32 v[12:13], s[10:11], v[12:13]
	s_and_b32 s4, s3, s4
	s_lshl_b64 s[2:3], s[8:9], 2
	v_add_nc_u64_e32 v[10:11], s[16:17], v[10:11]
	s_and_b32 s16, s14, s15
	s_lshl_b64 s[8:9], s[26:27], 2
	s_lshl_b64 s[10:11], s[24:25], 5
	s_branch .LBB34_6
.LBB34_5:                               ;   in Loop: Header=BB34_6 Depth=1
	s_wait_xcnt 0x0
	s_or_b32 exec_lo, exec_lo, s14
	s_add_co_i32 s20, s20, 0x10000
	s_delay_alu instid0(SALU_CYCLE_1)
	s_cmp_lt_u32 s20, s19
	s_cbranch_scc0 .LBB34_33
.LBB34_6:                               ; =>This Loop Header: Depth=1
                                        ;     Child Loop BB34_9 Depth 2
	v_dual_mov_b32 v21, 0 :: v_dual_mov_b32 v20, 0
	v_dual_mov_b32 v15, 0 :: v_dual_mov_b32 v14, 0
	s_and_not1_b32 vcc_lo, exec_lo, s16
	s_cbranch_vccnz .LBB34_13
; %bb.7:                                ;   in Loop: Header=BB34_6 Depth=1
	v_mad_nc_u64_u32 v[16:17], s2, s20, v[10:11]
	v_mad_nc_u64_u32 v[18:19], s8, s20, v[12:13]
	v_mov_b32_e32 v14, 0
	s_mov_b32 s14, 0
	s_delay_alu instid0(VALU_DEP_1)
	v_dual_mov_b32 v15, v14 :: v_dual_mov_b32 v20, v14
	v_mov_b32_e32 v21, v14
	v_mad_u32 v17, s3, s20, v17
	v_mad_u32 v19, s9, s20, v19
	s_branch .LBB34_9
.LBB34_8:                               ;   in Loop: Header=BB34_9 Depth=2
	s_wait_xcnt 0x0
	s_or_b32 exec_lo, exec_lo, s15
	s_wait_loadcnt 0x0
	ds_store_b32 v23, v27
	s_wait_dscnt 0x0
	s_barrier_signal -1
	s_barrier_wait -1
	ds_load_b128 v[26:29], v25
	ds_load_2addr_b32 v[42:43], v24 offset1:16
	ds_load_b128 v[30:33], v25 offset:512
	ds_load_2addr_b32 v[44:45], v24 offset0:32 offset1:48
	ds_load_2addr_b32 v[46:47], v24 offset0:64 offset1:80
	;; [unrolled: 1-line block ×3, first 2 shown]
	ds_load_b128 v[34:37], v25 offset:16
	ds_load_2addr_b32 v[50:51], v24 offset0:128 offset1:144
	ds_load_b128 v[38:41], v25 offset:528
	v_add_nc_u64_e32 v[16:17], 32, v[16:17]
	v_add_nc_u64_e32 v[18:19], s[10:11], v[18:19]
	s_add_co_i32 s14, s14, 8
	s_delay_alu instid0(SALU_CYCLE_1)
	s_cmp_lt_i32 s14, s5
	s_wait_dscnt 0x7
	v_pk_fma_f32 v[20:21], v[42:43], v[26:27], v[20:21] op_sel_hi:[1,0,1]
	s_wait_dscnt 0x6
	v_pk_fma_f32 v[14:15], v[42:43], v[30:31], v[14:15] op_sel_hi:[1,0,1]
	ds_load_2addr_b32 v[42:43], v24 offset0:160 offset1:176
	s_wait_dscnt 0x6
	v_pk_fma_f32 v[20:21], v[44:45], v[26:27], v[20:21] op_sel:[0,1,0]
	v_pk_fma_f32 v[14:15], v[44:45], v[30:31], v[14:15] op_sel:[0,1,0]
	ds_load_2addr_b32 v[26:27], v24 offset0:192 offset1:208
	v_dual_mov_b32 v30, v29 :: v_dual_mov_b32 v44, v33
	s_wait_dscnt 0x6
	v_pk_fma_f32 v[20:21], v[46:47], v[28:29], v[20:21] op_sel_hi:[1,0,1]
	v_pk_fma_f32 v[14:15], v[46:47], v[32:33], v[14:15] op_sel_hi:[1,0,1]
	ds_load_2addr_b32 v[28:29], v24 offset0:224 offset1:240
	s_wait_dscnt 0x3
	v_mov_b32_e32 v32, v41
	s_wait_dscnt 0x0
	v_pk_fma_f32 v[20:21], v[48:49], v[30:31], v[20:21] op_sel_hi:[1,0,1]
	v_pk_fma_f32 v[14:15], v[48:49], v[44:45], v[14:15] op_sel_hi:[1,0,1]
	v_mov_b32_e32 v30, v37
	s_barrier_signal -1
	s_barrier_wait -1
	v_pk_fma_f32 v[20:21], v[50:51], v[34:35], v[20:21] op_sel_hi:[1,0,1]
	v_pk_fma_f32 v[14:15], v[50:51], v[38:39], v[14:15] op_sel_hi:[1,0,1]
	s_delay_alu instid0(VALU_DEP_2) | instskip(NEXT) | instid1(VALU_DEP_2)
	v_pk_fma_f32 v[20:21], v[42:43], v[34:35], v[20:21] op_sel:[0,1,0]
	v_pk_fma_f32 v[14:15], v[42:43], v[38:39], v[14:15] op_sel:[0,1,0]
	s_delay_alu instid0(VALU_DEP_2) | instskip(NEXT) | instid1(VALU_DEP_2)
	v_pk_fma_f32 v[20:21], v[26:27], v[36:37], v[20:21] op_sel_hi:[1,0,1]
	v_pk_fma_f32 v[14:15], v[26:27], v[40:41], v[14:15] op_sel_hi:[1,0,1]
	s_delay_alu instid0(VALU_DEP_2) | instskip(NEXT) | instid1(VALU_DEP_2)
	v_pk_fma_f32 v[20:21], v[28:29], v[30:31], v[20:21] op_sel_hi:[1,0,1]
	v_pk_fma_f32 v[14:15], v[28:29], v[32:33], v[14:15] op_sel_hi:[1,0,1]
	s_cbranch_scc0 .LBB34_13
.LBB34_9:                               ;   Parent Loop BB34_6 Depth=1
                                        ; =>  This Inner Loop Header: Depth=2
	v_add_nc_u32_e32 v26, s14, v22
	s_delay_alu instid0(VALU_DEP_1) | instskip(SKIP_2) | instid1(SALU_CYCLE_1)
	v_cmp_gt_i32_e32 vcc_lo, s5, v26
	v_mov_b32_e32 v26, 0
	s_and_b32 s17, s0, vcc_lo
	s_and_saveexec_b32 s15, s17
	s_cbranch_execz .LBB34_11
; %bb.10:                               ;   in Loop: Header=BB34_9 Depth=2
	global_load_b32 v26, v[16:17], off
.LBB34_11:                              ;   in Loop: Header=BB34_9 Depth=2
	s_wait_xcnt 0x0
	s_or_b32 exec_lo, exec_lo, s15
	v_add_nc_u32_e32 v27, s14, v0
	s_wait_loadcnt 0x0
	ds_store_b32 v1, v26
	v_cmp_gt_i32_e32 vcc_lo, s5, v27
	v_mov_b32_e32 v27, 0
	s_and_b32 s17, vcc_lo, s1
	s_delay_alu instid0(SALU_CYCLE_1)
	s_and_saveexec_b32 s15, s17
	s_cbranch_execz .LBB34_8
; %bb.12:                               ;   in Loop: Header=BB34_9 Depth=2
	global_load_b32 v27, v[18:19], off
	s_branch .LBB34_8
.LBB34_13:                              ;   in Loop: Header=BB34_6 Depth=1
	s_mul_u64 s[14:15], s[22:23], s[20:21]
	s_delay_alu instid0(SALU_CYCLE_1) | instskip(NEXT) | instid1(SALU_CYCLE_1)
	s_lshl_b64 s[14:15], s[14:15], 2
	s_add_nc_u64 s[14:15], s[12:13], s[14:15]
	s_delay_alu instid0(SALU_CYCLE_1)
	v_lshl_add_u64 v[16:17], v[4:5], 2, s[14:15]
	s_and_saveexec_b32 s17, s28
	s_cbranch_execz .LBB34_17
; %bb.14:                               ;   in Loop: Header=BB34_6 Depth=1
	v_mul_f32_e32 v20, s6, v20
	s_delay_alu instid0(VALU_DEP_2)
	v_lshl_add_u64 v[18:19], v[2:3], 2, v[16:17]
	s_and_b32 vcc_lo, exec_lo, s18
	s_cbranch_vccz .LBB34_28
; %bb.15:                               ;   in Loop: Header=BB34_6 Depth=1
	global_load_b32 v26, v[18:19], off
	s_wait_loadcnt 0x0
	v_fma_f32 v26, s7, v26, v20
	global_store_b32 v[18:19], v26, off
	s_cbranch_execnz .LBB34_17
.LBB34_16:                              ;   in Loop: Header=BB34_6 Depth=1
	global_store_b32 v[18:19], v20, off
.LBB34_17:                              ;   in Loop: Header=BB34_6 Depth=1
	s_wait_xcnt 0x0
	s_or_b32 exec_lo, exec_lo, s17
	s_and_saveexec_b32 s17, s29
	s_cbranch_execz .LBB34_21
; %bb.18:                               ;   in Loop: Header=BB34_6 Depth=1
	v_mul_f32_e32 v18, s6, v21
	v_lshl_add_u64 v[16:17], v[8:9], 2, v[16:17]
	s_and_not1_b32 vcc_lo, exec_lo, s18
	s_cbranch_vccnz .LBB34_29
; %bb.19:                               ;   in Loop: Header=BB34_6 Depth=1
	global_load_b32 v19, v[16:17], off
	s_wait_loadcnt 0x0
	v_fma_f32 v19, s7, v19, v18
	global_store_b32 v[16:17], v19, off
	s_cbranch_execnz .LBB34_21
.LBB34_20:                              ;   in Loop: Header=BB34_6 Depth=1
	global_store_b32 v[16:17], v18, off
.LBB34_21:                              ;   in Loop: Header=BB34_6 Depth=1
	s_wait_xcnt 0x0
	s_or_b32 exec_lo, exec_lo, s17
	v_lshl_add_u64 v[16:17], v[6:7], 2, s[14:15]
	s_and_saveexec_b32 s14, s30
	s_cbranch_execz .LBB34_25
; %bb.22:                               ;   in Loop: Header=BB34_6 Depth=1
	v_mul_f32_e32 v14, s6, v14
	s_delay_alu instid0(VALU_DEP_2)
	v_lshl_add_u64 v[18:19], v[2:3], 2, v[16:17]
	s_and_not1_b32 vcc_lo, exec_lo, s18
	s_cbranch_vccnz .LBB34_30
; %bb.23:                               ;   in Loop: Header=BB34_6 Depth=1
	global_load_b32 v20, v[18:19], off
	s_wait_loadcnt 0x0
	v_fma_f32 v20, s7, v20, v14
	global_store_b32 v[18:19], v20, off
	s_cbranch_execnz .LBB34_25
.LBB34_24:                              ;   in Loop: Header=BB34_6 Depth=1
	global_store_b32 v[18:19], v14, off
.LBB34_25:                              ;   in Loop: Header=BB34_6 Depth=1
	s_wait_xcnt 0x0
	s_or_b32 exec_lo, exec_lo, s14
	s_and_saveexec_b32 s14, s4
	s_cbranch_execz .LBB34_5
; %bb.26:                               ;   in Loop: Header=BB34_6 Depth=1
	v_mul_f32_e32 v18, s6, v15
	v_lshl_add_u64 v[14:15], v[8:9], 2, v[16:17]
	s_and_not1_b32 vcc_lo, exec_lo, s18
	s_cbranch_vccnz .LBB34_31
; %bb.27:                               ;   in Loop: Header=BB34_6 Depth=1
	global_load_b32 v16, v[14:15], off
	s_wait_loadcnt 0x0
	v_fma_f32 v16, s7, v16, v18
	global_store_b32 v[14:15], v16, off
	s_cbranch_execnz .LBB34_5
	s_branch .LBB34_32
.LBB34_28:                              ;   in Loop: Header=BB34_6 Depth=1
	s_branch .LBB34_16
.LBB34_29:                              ;   in Loop: Header=BB34_6 Depth=1
	s_branch .LBB34_20
.LBB34_30:                              ;   in Loop: Header=BB34_6 Depth=1
	s_branch .LBB34_24
.LBB34_31:                              ;   in Loop: Header=BB34_6 Depth=1
.LBB34_32:                              ;   in Loop: Header=BB34_6 Depth=1
	global_store_b32 v[14:15], v18, off
	s_branch .LBB34_5
.LBB34_33:
	s_endpgm
	.section	.rodata,"a",@progbits
	.p2align	6, 0x0
	.amdhsa_kernel _ZL29rocblas_internal_gemmt_kernelIiLi16ELi32ELi8ELc67ELc84ELc76ELb0ELb0EffPKfPfEviT_T9_T10_S3_lS5_S3_lS4_T11_S3_li
		.amdhsa_group_segment_fixed_size 2048
		.amdhsa_private_segment_fixed_size 0
		.amdhsa_kernarg_size 100
		.amdhsa_user_sgpr_count 2
		.amdhsa_user_sgpr_dispatch_ptr 0
		.amdhsa_user_sgpr_queue_ptr 0
		.amdhsa_user_sgpr_kernarg_segment_ptr 1
		.amdhsa_user_sgpr_dispatch_id 0
		.amdhsa_user_sgpr_kernarg_preload_length 0
		.amdhsa_user_sgpr_kernarg_preload_offset 0
		.amdhsa_user_sgpr_private_segment_size 0
		.amdhsa_wavefront_size32 1
		.amdhsa_uses_dynamic_stack 0
		.amdhsa_enable_private_segment 0
		.amdhsa_system_sgpr_workgroup_id_x 1
		.amdhsa_system_sgpr_workgroup_id_y 1
		.amdhsa_system_sgpr_workgroup_id_z 1
		.amdhsa_system_sgpr_workgroup_info 0
		.amdhsa_system_vgpr_workitem_id 1
		.amdhsa_next_free_vgpr 52
		.amdhsa_next_free_sgpr 31
		.amdhsa_named_barrier_count 0
		.amdhsa_reserve_vcc 1
		.amdhsa_float_round_mode_32 0
		.amdhsa_float_round_mode_16_64 0
		.amdhsa_float_denorm_mode_32 3
		.amdhsa_float_denorm_mode_16_64 3
		.amdhsa_fp16_overflow 0
		.amdhsa_memory_ordered 1
		.amdhsa_forward_progress 1
		.amdhsa_inst_pref_size 13
		.amdhsa_round_robin_scheduling 0
		.amdhsa_exception_fp_ieee_invalid_op 0
		.amdhsa_exception_fp_denorm_src 0
		.amdhsa_exception_fp_ieee_div_zero 0
		.amdhsa_exception_fp_ieee_overflow 0
		.amdhsa_exception_fp_ieee_underflow 0
		.amdhsa_exception_fp_ieee_inexact 0
		.amdhsa_exception_int_div_zero 0
	.end_amdhsa_kernel
	.section	.text._ZL29rocblas_internal_gemmt_kernelIiLi16ELi32ELi8ELc67ELc84ELc76ELb0ELb0EffPKfPfEviT_T9_T10_S3_lS5_S3_lS4_T11_S3_li,"axG",@progbits,_ZL29rocblas_internal_gemmt_kernelIiLi16ELi32ELi8ELc67ELc84ELc76ELb0ELb0EffPKfPfEviT_T9_T10_S3_lS5_S3_lS4_T11_S3_li,comdat
.Lfunc_end34:
	.size	_ZL29rocblas_internal_gemmt_kernelIiLi16ELi32ELi8ELc67ELc84ELc76ELb0ELb0EffPKfPfEviT_T9_T10_S3_lS5_S3_lS4_T11_S3_li, .Lfunc_end34-_ZL29rocblas_internal_gemmt_kernelIiLi16ELi32ELi8ELc67ELc84ELc76ELb0ELb0EffPKfPfEviT_T9_T10_S3_lS5_S3_lS4_T11_S3_li
                                        ; -- End function
	.set _ZL29rocblas_internal_gemmt_kernelIiLi16ELi32ELi8ELc67ELc84ELc76ELb0ELb0EffPKfPfEviT_T9_T10_S3_lS5_S3_lS4_T11_S3_li.num_vgpr, 52
	.set _ZL29rocblas_internal_gemmt_kernelIiLi16ELi32ELi8ELc67ELc84ELc76ELb0ELb0EffPKfPfEviT_T9_T10_S3_lS5_S3_lS4_T11_S3_li.num_agpr, 0
	.set _ZL29rocblas_internal_gemmt_kernelIiLi16ELi32ELi8ELc67ELc84ELc76ELb0ELb0EffPKfPfEviT_T9_T10_S3_lS5_S3_lS4_T11_S3_li.numbered_sgpr, 31
	.set _ZL29rocblas_internal_gemmt_kernelIiLi16ELi32ELi8ELc67ELc84ELc76ELb0ELb0EffPKfPfEviT_T9_T10_S3_lS5_S3_lS4_T11_S3_li.num_named_barrier, 0
	.set _ZL29rocblas_internal_gemmt_kernelIiLi16ELi32ELi8ELc67ELc84ELc76ELb0ELb0EffPKfPfEviT_T9_T10_S3_lS5_S3_lS4_T11_S3_li.private_seg_size, 0
	.set _ZL29rocblas_internal_gemmt_kernelIiLi16ELi32ELi8ELc67ELc84ELc76ELb0ELb0EffPKfPfEviT_T9_T10_S3_lS5_S3_lS4_T11_S3_li.uses_vcc, 1
	.set _ZL29rocblas_internal_gemmt_kernelIiLi16ELi32ELi8ELc67ELc84ELc76ELb0ELb0EffPKfPfEviT_T9_T10_S3_lS5_S3_lS4_T11_S3_li.uses_flat_scratch, 0
	.set _ZL29rocblas_internal_gemmt_kernelIiLi16ELi32ELi8ELc67ELc84ELc76ELb0ELb0EffPKfPfEviT_T9_T10_S3_lS5_S3_lS4_T11_S3_li.has_dyn_sized_stack, 0
	.set _ZL29rocblas_internal_gemmt_kernelIiLi16ELi32ELi8ELc67ELc84ELc76ELb0ELb0EffPKfPfEviT_T9_T10_S3_lS5_S3_lS4_T11_S3_li.has_recursion, 0
	.set _ZL29rocblas_internal_gemmt_kernelIiLi16ELi32ELi8ELc67ELc84ELc76ELb0ELb0EffPKfPfEviT_T9_T10_S3_lS5_S3_lS4_T11_S3_li.has_indirect_call, 0
	.section	.AMDGPU.csdata,"",@progbits
; Kernel info:
; codeLenInByte = 1632
; TotalNumSgprs: 33
; NumVgprs: 52
; ScratchSize: 0
; MemoryBound: 0
; FloatMode: 240
; IeeeMode: 1
; LDSByteSize: 2048 bytes/workgroup (compile time only)
; SGPRBlocks: 0
; VGPRBlocks: 3
; NumSGPRsForWavesPerEU: 33
; NumVGPRsForWavesPerEU: 52
; NamedBarCnt: 0
; Occupancy: 16
; WaveLimiterHint : 0
; COMPUTE_PGM_RSRC2:SCRATCH_EN: 0
; COMPUTE_PGM_RSRC2:USER_SGPR: 2
; COMPUTE_PGM_RSRC2:TRAP_HANDLER: 0
; COMPUTE_PGM_RSRC2:TGID_X_EN: 1
; COMPUTE_PGM_RSRC2:TGID_Y_EN: 1
; COMPUTE_PGM_RSRC2:TGID_Z_EN: 1
; COMPUTE_PGM_RSRC2:TIDIG_COMP_CNT: 1
	.section	.text._ZL29rocblas_internal_gemmt_kernelIiLi16ELi32ELi8ELc67ELc67ELc76ELb0ELb0EffPKfPfEviT_T9_T10_S3_lS5_S3_lS4_T11_S3_li,"axG",@progbits,_ZL29rocblas_internal_gemmt_kernelIiLi16ELi32ELi8ELc67ELc67ELc76ELb0ELb0EffPKfPfEviT_T9_T10_S3_lS5_S3_lS4_T11_S3_li,comdat
	.globl	_ZL29rocblas_internal_gemmt_kernelIiLi16ELi32ELi8ELc67ELc67ELc76ELb0ELb0EffPKfPfEviT_T9_T10_S3_lS5_S3_lS4_T11_S3_li ; -- Begin function _ZL29rocblas_internal_gemmt_kernelIiLi16ELi32ELi8ELc67ELc67ELc76ELb0ELb0EffPKfPfEviT_T9_T10_S3_lS5_S3_lS4_T11_S3_li
	.p2align	8
	.type	_ZL29rocblas_internal_gemmt_kernelIiLi16ELi32ELi8ELc67ELc67ELc76ELb0ELb0EffPKfPfEviT_T9_T10_S3_lS5_S3_lS4_T11_S3_li,@function
_ZL29rocblas_internal_gemmt_kernelIiLi16ELi32ELi8ELc67ELc67ELc76ELb0ELb0EffPKfPfEviT_T9_T10_S3_lS5_S3_lS4_T11_S3_li: ; @_ZL29rocblas_internal_gemmt_kernelIiLi16ELi32ELi8ELc67ELc67ELc76ELb0ELb0EffPKfPfEviT_T9_T10_S3_lS5_S3_lS4_T11_S3_li
; %bb.0:
	s_clause 0x1
	s_load_b32 s7, s[0:1], 0x40
	s_load_b96 s[4:6], s[0:1], 0x0
	s_wait_kmcnt 0x0
	s_cmp_neq_f32 s7, 1.0
	s_cselect_b32 s2, -1, 0
	s_delay_alu instid0(SALU_CYCLE_1)
	s_and_b32 vcc_lo, exec_lo, s2
	s_cbranch_vccnz .LBB35_2
; %bb.1:
	s_cmp_lg_u32 s5, 0
	s_cselect_b32 s2, -1, 0
	s_cmp_neq_f32 s6, 0
	s_cselect_b32 s3, -1, 0
	s_delay_alu instid0(SALU_CYCLE_1)
	s_and_b32 s2, s2, s3
.LBB35_2:
	s_delay_alu instid0(SALU_CYCLE_1)
	s_and_not1_b32 vcc_lo, exec_lo, s2
	s_cbranch_vccnz .LBB35_33
; %bb.3:
	s_load_b32 s19, s[0:1], 0x60
	s_bfe_u32 s2, ttmp6, 0x40014
	s_lshr_b32 s3, ttmp7, 16
	s_add_co_i32 s2, s2, 1
	s_bfe_u32 s9, ttmp6, 0x40008
	s_mul_i32 s8, s3, s2
	s_getreg_b32 s2, hwreg(HW_REG_IB_STS2, 6, 4)
	s_add_co_i32 s9, s9, s8
	s_cmp_eq_u32 s2, 0
	s_mov_b32 s21, 0
	s_cselect_b32 s20, s3, s9
	s_wait_kmcnt 0x0
	s_cmp_ge_u32 s20, s19
	s_cbranch_scc1 .LBB35_33
; %bb.4:
	s_clause 0x2
	s_load_b96 s[16:18], s[0:1], 0x10
	s_load_b32 s24, s[0:1], 0x30
	s_load_b96 s[12:14], s[0:1], 0x48
	v_and_b32_e32 v8, 0x3ff, v0
	v_bfe_u32 v9, v0, 10, 10
	s_clause 0x2
	s_load_b128 s[8:11], s[0:1], 0x20
	s_load_b64 s[26:27], s[0:1], 0x38
	s_load_b64 s[22:23], s[0:1], 0x58
	s_wait_xcnt 0x0
	s_bfe_u32 s0, ttmp6, 0x4000c
	s_bfe_u32 s1, ttmp6, 0x40010
	s_and_b32 s28, ttmp7, 0xffff
	s_add_co_i32 s29, s0, 1
	s_add_co_i32 s30, s1, 1
	v_lshl_add_u32 v1, v9, 4, v8
	s_and_b32 s15, ttmp6, 15
	v_and_b32_e32 v0, 7, v0
	v_lshl_add_u32 v25, v9, 5, 0x400
	s_delay_alu instid0(VALU_DEP_3)
	v_dual_mov_b32 v11, 0 :: v_dual_bitop2_b32 v4, 31, v1 bitop3:0x40
	v_dual_lshrrev_b32 v5, 3, v1 :: v_dual_lshrrev_b32 v22, 5, v1
	v_lshlrev_b32_e32 v24, 2, v8
	s_wait_kmcnt 0x0
	s_ashr_i32 s1, s18, 31
	s_mov_b32 s0, s18
	s_mul_i32 s18, ttmp9, s29
	s_mul_i32 s29, s28, s30
	s_bfe_u32 s30, ttmp6, 0x40004
	s_ashr_i32 s25, s24, 31
	s_ashr_i32 s3, s14, 31
	s_add_co_i32 s15, s15, s18
	s_add_co_i32 s30, s30, s29
	s_cmp_eq_u32 s2, 0
	v_lshlrev_b32_e32 v10, 2, v22
	s_cselect_b32 s2, ttmp9, s15
	s_cselect_b32 s15, s28, s30
	s_lshl_b32 s18, s2, 5
	s_lshl_b32 s15, s15, 5
	s_delay_alu instid0(SALU_CYCLE_1) | instskip(SKIP_1) | instid1(VALU_DEP_2)
	v_dual_add_nc_u32 v12, s15, v5 :: v_dual_bitop2_b32 v2, s18, v4 bitop3:0x54
	v_dual_mov_b32 v1, v11 :: v_dual_add_nc_u32 v14, s15, v9
	v_dual_lshlrev_b32 v4, 2, v4 :: v_dual_ashrrev_i32 v3, 31, v2
	s_mov_b32 s2, s14
	s_delay_alu instid0(VALU_DEP_2) | instskip(NEXT) | instid1(VALU_DEP_3)
	v_mul_u64_e32 v[18:19], s[24:25], v[0:1]
	v_dual_add_nc_u32 v20, 16, v14 :: v_dual_ashrrev_i32 v15, 31, v14
	s_delay_alu instid0(VALU_DEP_3)
	v_mul_u64_e32 v[16:17], s[0:1], v[2:3]
	v_lshlrev_b32_e32 v3, 2, v0
	v_cmp_gt_i32_e64 s0, s4, v2
	v_add_nc_u32_e32 v2, s18, v8
	v_ashrrev_i32_e32 v21, 31, v20
	v_lshl_or_b32 v1, v22, 7, v4
	v_lshl_or_b32 v3, v5, 5, v3
	v_mul_u64_e32 v[4:5], s[2:3], v[14:15]
	v_add_nc_u32_e32 v8, 16, v2
	v_mul_u64_e32 v[6:7], s[2:3], v[20:21]
	v_ashrrev_i32_e32 v13, 31, v12
	v_cmp_gt_i32_e64 s1, s4, v12
	s_cmp_neq_f32 s6, 0
	v_cmp_le_i32_e32 vcc_lo, v14, v2
	v_cmp_gt_i32_e64 s2, s4, v2
	v_lshlrev_b64_e32 v[12:13], 2, v[12:13]
	s_cselect_b32 s14, -1, 0
	s_cmp_gt_i32 s5, 0
	v_cmp_le_i32_e64 s3, v14, v8
	v_cmp_gt_i32_e64 s4, s4, v8
	s_cselect_b32 s15, -1, 0
	s_cmp_neq_f32 s7, 0
	v_add_nc_u32_e32 v23, 0x400, v3
	v_dual_ashrrev_i32 v3, 31, v2 :: v_dual_ashrrev_i32 v9, 31, v8
	s_cselect_b32 s18, -1, 0
	s_and_b32 s28, vcc_lo, s2
	s_and_b32 s29, s3, s4
	v_cmp_le_i32_e32 vcc_lo, v20, v2
	v_lshl_add_u64 v[12:13], v[18:19], 2, v[12:13]
	v_cmp_le_i32_e64 s3, v20, v8
	v_lshl_add_u64 v[10:11], v[16:17], 2, v[10:11]
	s_and_b32 s30, vcc_lo, s2
	v_add_nc_u64_e32 v[12:13], s[10:11], v[12:13]
	s_and_b32 s4, s3, s4
	s_lshl_b64 s[2:3], s[8:9], 2
	v_add_nc_u64_e32 v[10:11], s[16:17], v[10:11]
	s_and_b32 s16, s14, s15
	s_lshl_b64 s[8:9], s[26:27], 2
	s_lshl_b64 s[10:11], s[24:25], 5
	s_branch .LBB35_6
.LBB35_5:                               ;   in Loop: Header=BB35_6 Depth=1
	s_wait_xcnt 0x0
	s_or_b32 exec_lo, exec_lo, s14
	s_add_co_i32 s20, s20, 0x10000
	s_delay_alu instid0(SALU_CYCLE_1)
	s_cmp_lt_u32 s20, s19
	s_cbranch_scc0 .LBB35_33
.LBB35_6:                               ; =>This Loop Header: Depth=1
                                        ;     Child Loop BB35_9 Depth 2
	v_dual_mov_b32 v21, 0 :: v_dual_mov_b32 v20, 0
	v_dual_mov_b32 v15, 0 :: v_dual_mov_b32 v14, 0
	s_and_not1_b32 vcc_lo, exec_lo, s16
	s_cbranch_vccnz .LBB35_13
; %bb.7:                                ;   in Loop: Header=BB35_6 Depth=1
	v_mad_nc_u64_u32 v[16:17], s2, s20, v[10:11]
	v_mad_nc_u64_u32 v[18:19], s8, s20, v[12:13]
	v_mov_b32_e32 v14, 0
	s_mov_b32 s14, 0
	s_delay_alu instid0(VALU_DEP_1)
	v_dual_mov_b32 v15, v14 :: v_dual_mov_b32 v20, v14
	v_mov_b32_e32 v21, v14
	v_mad_u32 v17, s3, s20, v17
	v_mad_u32 v19, s9, s20, v19
	s_branch .LBB35_9
.LBB35_8:                               ;   in Loop: Header=BB35_9 Depth=2
	s_wait_xcnt 0x0
	s_or_b32 exec_lo, exec_lo, s15
	s_wait_loadcnt 0x0
	ds_store_b32 v23, v27
	s_wait_dscnt 0x0
	s_barrier_signal -1
	s_barrier_wait -1
	ds_load_b128 v[26:29], v25
	ds_load_2addr_b32 v[42:43], v24 offset1:16
	ds_load_b128 v[30:33], v25 offset:512
	ds_load_2addr_b32 v[44:45], v24 offset0:32 offset1:48
	ds_load_2addr_b32 v[46:47], v24 offset0:64 offset1:80
	;; [unrolled: 1-line block ×3, first 2 shown]
	ds_load_b128 v[34:37], v25 offset:16
	ds_load_2addr_b32 v[50:51], v24 offset0:128 offset1:144
	ds_load_b128 v[38:41], v25 offset:528
	v_add_nc_u64_e32 v[16:17], 32, v[16:17]
	v_add_nc_u64_e32 v[18:19], s[10:11], v[18:19]
	s_add_co_i32 s14, s14, 8
	s_delay_alu instid0(SALU_CYCLE_1)
	s_cmp_lt_i32 s14, s5
	s_wait_dscnt 0x7
	v_pk_fma_f32 v[20:21], v[42:43], v[26:27], v[20:21] op_sel_hi:[1,0,1]
	s_wait_dscnt 0x6
	v_pk_fma_f32 v[14:15], v[42:43], v[30:31], v[14:15] op_sel_hi:[1,0,1]
	ds_load_2addr_b32 v[42:43], v24 offset0:160 offset1:176
	s_wait_dscnt 0x6
	v_pk_fma_f32 v[20:21], v[44:45], v[26:27], v[20:21] op_sel:[0,1,0]
	v_pk_fma_f32 v[14:15], v[44:45], v[30:31], v[14:15] op_sel:[0,1,0]
	ds_load_2addr_b32 v[26:27], v24 offset0:192 offset1:208
	v_dual_mov_b32 v30, v29 :: v_dual_mov_b32 v44, v33
	s_wait_dscnt 0x6
	v_pk_fma_f32 v[20:21], v[46:47], v[28:29], v[20:21] op_sel_hi:[1,0,1]
	v_pk_fma_f32 v[14:15], v[46:47], v[32:33], v[14:15] op_sel_hi:[1,0,1]
	ds_load_2addr_b32 v[28:29], v24 offset0:224 offset1:240
	s_wait_dscnt 0x3
	v_mov_b32_e32 v32, v41
	s_wait_dscnt 0x0
	v_pk_fma_f32 v[20:21], v[48:49], v[30:31], v[20:21] op_sel_hi:[1,0,1]
	v_pk_fma_f32 v[14:15], v[48:49], v[44:45], v[14:15] op_sel_hi:[1,0,1]
	v_mov_b32_e32 v30, v37
	s_barrier_signal -1
	s_barrier_wait -1
	v_pk_fma_f32 v[20:21], v[50:51], v[34:35], v[20:21] op_sel_hi:[1,0,1]
	v_pk_fma_f32 v[14:15], v[50:51], v[38:39], v[14:15] op_sel_hi:[1,0,1]
	s_delay_alu instid0(VALU_DEP_2) | instskip(NEXT) | instid1(VALU_DEP_2)
	v_pk_fma_f32 v[20:21], v[42:43], v[34:35], v[20:21] op_sel:[0,1,0]
	v_pk_fma_f32 v[14:15], v[42:43], v[38:39], v[14:15] op_sel:[0,1,0]
	s_delay_alu instid0(VALU_DEP_2) | instskip(NEXT) | instid1(VALU_DEP_2)
	v_pk_fma_f32 v[20:21], v[26:27], v[36:37], v[20:21] op_sel_hi:[1,0,1]
	v_pk_fma_f32 v[14:15], v[26:27], v[40:41], v[14:15] op_sel_hi:[1,0,1]
	s_delay_alu instid0(VALU_DEP_2) | instskip(NEXT) | instid1(VALU_DEP_2)
	v_pk_fma_f32 v[20:21], v[28:29], v[30:31], v[20:21] op_sel_hi:[1,0,1]
	v_pk_fma_f32 v[14:15], v[28:29], v[32:33], v[14:15] op_sel_hi:[1,0,1]
	s_cbranch_scc0 .LBB35_13
.LBB35_9:                               ;   Parent Loop BB35_6 Depth=1
                                        ; =>  This Inner Loop Header: Depth=2
	v_add_nc_u32_e32 v26, s14, v22
	s_delay_alu instid0(VALU_DEP_1) | instskip(SKIP_2) | instid1(SALU_CYCLE_1)
	v_cmp_gt_i32_e32 vcc_lo, s5, v26
	v_mov_b32_e32 v26, 0
	s_and_b32 s17, s0, vcc_lo
	s_and_saveexec_b32 s15, s17
	s_cbranch_execz .LBB35_11
; %bb.10:                               ;   in Loop: Header=BB35_9 Depth=2
	global_load_b32 v26, v[16:17], off
.LBB35_11:                              ;   in Loop: Header=BB35_9 Depth=2
	s_wait_xcnt 0x0
	s_or_b32 exec_lo, exec_lo, s15
	v_add_nc_u32_e32 v27, s14, v0
	s_wait_loadcnt 0x0
	ds_store_b32 v1, v26
	v_cmp_gt_i32_e32 vcc_lo, s5, v27
	v_mov_b32_e32 v27, 0
	s_and_b32 s17, vcc_lo, s1
	s_delay_alu instid0(SALU_CYCLE_1)
	s_and_saveexec_b32 s15, s17
	s_cbranch_execz .LBB35_8
; %bb.12:                               ;   in Loop: Header=BB35_9 Depth=2
	global_load_b32 v27, v[18:19], off
	s_branch .LBB35_8
.LBB35_13:                              ;   in Loop: Header=BB35_6 Depth=1
	s_mul_u64 s[14:15], s[22:23], s[20:21]
	s_delay_alu instid0(SALU_CYCLE_1) | instskip(NEXT) | instid1(SALU_CYCLE_1)
	s_lshl_b64 s[14:15], s[14:15], 2
	s_add_nc_u64 s[14:15], s[12:13], s[14:15]
	s_delay_alu instid0(SALU_CYCLE_1)
	v_lshl_add_u64 v[16:17], v[4:5], 2, s[14:15]
	s_and_saveexec_b32 s17, s28
	s_cbranch_execz .LBB35_17
; %bb.14:                               ;   in Loop: Header=BB35_6 Depth=1
	v_mul_f32_e32 v20, s6, v20
	s_delay_alu instid0(VALU_DEP_2)
	v_lshl_add_u64 v[18:19], v[2:3], 2, v[16:17]
	s_and_b32 vcc_lo, exec_lo, s18
	s_cbranch_vccz .LBB35_28
; %bb.15:                               ;   in Loop: Header=BB35_6 Depth=1
	global_load_b32 v26, v[18:19], off
	s_wait_loadcnt 0x0
	v_fma_f32 v26, s7, v26, v20
	global_store_b32 v[18:19], v26, off
	s_cbranch_execnz .LBB35_17
.LBB35_16:                              ;   in Loop: Header=BB35_6 Depth=1
	global_store_b32 v[18:19], v20, off
.LBB35_17:                              ;   in Loop: Header=BB35_6 Depth=1
	s_wait_xcnt 0x0
	s_or_b32 exec_lo, exec_lo, s17
	s_and_saveexec_b32 s17, s29
	s_cbranch_execz .LBB35_21
; %bb.18:                               ;   in Loop: Header=BB35_6 Depth=1
	v_mul_f32_e32 v18, s6, v21
	v_lshl_add_u64 v[16:17], v[8:9], 2, v[16:17]
	s_and_not1_b32 vcc_lo, exec_lo, s18
	s_cbranch_vccnz .LBB35_29
; %bb.19:                               ;   in Loop: Header=BB35_6 Depth=1
	global_load_b32 v19, v[16:17], off
	s_wait_loadcnt 0x0
	v_fma_f32 v19, s7, v19, v18
	global_store_b32 v[16:17], v19, off
	s_cbranch_execnz .LBB35_21
.LBB35_20:                              ;   in Loop: Header=BB35_6 Depth=1
	global_store_b32 v[16:17], v18, off
.LBB35_21:                              ;   in Loop: Header=BB35_6 Depth=1
	s_wait_xcnt 0x0
	s_or_b32 exec_lo, exec_lo, s17
	v_lshl_add_u64 v[16:17], v[6:7], 2, s[14:15]
	s_and_saveexec_b32 s14, s30
	s_cbranch_execz .LBB35_25
; %bb.22:                               ;   in Loop: Header=BB35_6 Depth=1
	v_mul_f32_e32 v14, s6, v14
	s_delay_alu instid0(VALU_DEP_2)
	v_lshl_add_u64 v[18:19], v[2:3], 2, v[16:17]
	s_and_not1_b32 vcc_lo, exec_lo, s18
	s_cbranch_vccnz .LBB35_30
; %bb.23:                               ;   in Loop: Header=BB35_6 Depth=1
	global_load_b32 v20, v[18:19], off
	s_wait_loadcnt 0x0
	v_fma_f32 v20, s7, v20, v14
	global_store_b32 v[18:19], v20, off
	s_cbranch_execnz .LBB35_25
.LBB35_24:                              ;   in Loop: Header=BB35_6 Depth=1
	global_store_b32 v[18:19], v14, off
.LBB35_25:                              ;   in Loop: Header=BB35_6 Depth=1
	s_wait_xcnt 0x0
	s_or_b32 exec_lo, exec_lo, s14
	s_and_saveexec_b32 s14, s4
	s_cbranch_execz .LBB35_5
; %bb.26:                               ;   in Loop: Header=BB35_6 Depth=1
	v_mul_f32_e32 v18, s6, v15
	v_lshl_add_u64 v[14:15], v[8:9], 2, v[16:17]
	s_and_not1_b32 vcc_lo, exec_lo, s18
	s_cbranch_vccnz .LBB35_31
; %bb.27:                               ;   in Loop: Header=BB35_6 Depth=1
	global_load_b32 v16, v[14:15], off
	s_wait_loadcnt 0x0
	v_fma_f32 v16, s7, v16, v18
	global_store_b32 v[14:15], v16, off
	s_cbranch_execnz .LBB35_5
	s_branch .LBB35_32
.LBB35_28:                              ;   in Loop: Header=BB35_6 Depth=1
	s_branch .LBB35_16
.LBB35_29:                              ;   in Loop: Header=BB35_6 Depth=1
	s_branch .LBB35_20
.LBB35_30:                              ;   in Loop: Header=BB35_6 Depth=1
	s_branch .LBB35_24
.LBB35_31:                              ;   in Loop: Header=BB35_6 Depth=1
.LBB35_32:                              ;   in Loop: Header=BB35_6 Depth=1
	global_store_b32 v[14:15], v18, off
	s_branch .LBB35_5
.LBB35_33:
	s_endpgm
	.section	.rodata,"a",@progbits
	.p2align	6, 0x0
	.amdhsa_kernel _ZL29rocblas_internal_gemmt_kernelIiLi16ELi32ELi8ELc67ELc67ELc76ELb0ELb0EffPKfPfEviT_T9_T10_S3_lS5_S3_lS4_T11_S3_li
		.amdhsa_group_segment_fixed_size 2048
		.amdhsa_private_segment_fixed_size 0
		.amdhsa_kernarg_size 100
		.amdhsa_user_sgpr_count 2
		.amdhsa_user_sgpr_dispatch_ptr 0
		.amdhsa_user_sgpr_queue_ptr 0
		.amdhsa_user_sgpr_kernarg_segment_ptr 1
		.amdhsa_user_sgpr_dispatch_id 0
		.amdhsa_user_sgpr_kernarg_preload_length 0
		.amdhsa_user_sgpr_kernarg_preload_offset 0
		.amdhsa_user_sgpr_private_segment_size 0
		.amdhsa_wavefront_size32 1
		.amdhsa_uses_dynamic_stack 0
		.amdhsa_enable_private_segment 0
		.amdhsa_system_sgpr_workgroup_id_x 1
		.amdhsa_system_sgpr_workgroup_id_y 1
		.amdhsa_system_sgpr_workgroup_id_z 1
		.amdhsa_system_sgpr_workgroup_info 0
		.amdhsa_system_vgpr_workitem_id 1
		.amdhsa_next_free_vgpr 52
		.amdhsa_next_free_sgpr 31
		.amdhsa_named_barrier_count 0
		.amdhsa_reserve_vcc 1
		.amdhsa_float_round_mode_32 0
		.amdhsa_float_round_mode_16_64 0
		.amdhsa_float_denorm_mode_32 3
		.amdhsa_float_denorm_mode_16_64 3
		.amdhsa_fp16_overflow 0
		.amdhsa_memory_ordered 1
		.amdhsa_forward_progress 1
		.amdhsa_inst_pref_size 13
		.amdhsa_round_robin_scheduling 0
		.amdhsa_exception_fp_ieee_invalid_op 0
		.amdhsa_exception_fp_denorm_src 0
		.amdhsa_exception_fp_ieee_div_zero 0
		.amdhsa_exception_fp_ieee_overflow 0
		.amdhsa_exception_fp_ieee_underflow 0
		.amdhsa_exception_fp_ieee_inexact 0
		.amdhsa_exception_int_div_zero 0
	.end_amdhsa_kernel
	.section	.text._ZL29rocblas_internal_gemmt_kernelIiLi16ELi32ELi8ELc67ELc67ELc76ELb0ELb0EffPKfPfEviT_T9_T10_S3_lS5_S3_lS4_T11_S3_li,"axG",@progbits,_ZL29rocblas_internal_gemmt_kernelIiLi16ELi32ELi8ELc67ELc67ELc76ELb0ELb0EffPKfPfEviT_T9_T10_S3_lS5_S3_lS4_T11_S3_li,comdat
.Lfunc_end35:
	.size	_ZL29rocblas_internal_gemmt_kernelIiLi16ELi32ELi8ELc67ELc67ELc76ELb0ELb0EffPKfPfEviT_T9_T10_S3_lS5_S3_lS4_T11_S3_li, .Lfunc_end35-_ZL29rocblas_internal_gemmt_kernelIiLi16ELi32ELi8ELc67ELc67ELc76ELb0ELb0EffPKfPfEviT_T9_T10_S3_lS5_S3_lS4_T11_S3_li
                                        ; -- End function
	.set _ZL29rocblas_internal_gemmt_kernelIiLi16ELi32ELi8ELc67ELc67ELc76ELb0ELb0EffPKfPfEviT_T9_T10_S3_lS5_S3_lS4_T11_S3_li.num_vgpr, 52
	.set _ZL29rocblas_internal_gemmt_kernelIiLi16ELi32ELi8ELc67ELc67ELc76ELb0ELb0EffPKfPfEviT_T9_T10_S3_lS5_S3_lS4_T11_S3_li.num_agpr, 0
	.set _ZL29rocblas_internal_gemmt_kernelIiLi16ELi32ELi8ELc67ELc67ELc76ELb0ELb0EffPKfPfEviT_T9_T10_S3_lS5_S3_lS4_T11_S3_li.numbered_sgpr, 31
	.set _ZL29rocblas_internal_gemmt_kernelIiLi16ELi32ELi8ELc67ELc67ELc76ELb0ELb0EffPKfPfEviT_T9_T10_S3_lS5_S3_lS4_T11_S3_li.num_named_barrier, 0
	.set _ZL29rocblas_internal_gemmt_kernelIiLi16ELi32ELi8ELc67ELc67ELc76ELb0ELb0EffPKfPfEviT_T9_T10_S3_lS5_S3_lS4_T11_S3_li.private_seg_size, 0
	.set _ZL29rocblas_internal_gemmt_kernelIiLi16ELi32ELi8ELc67ELc67ELc76ELb0ELb0EffPKfPfEviT_T9_T10_S3_lS5_S3_lS4_T11_S3_li.uses_vcc, 1
	.set _ZL29rocblas_internal_gemmt_kernelIiLi16ELi32ELi8ELc67ELc67ELc76ELb0ELb0EffPKfPfEviT_T9_T10_S3_lS5_S3_lS4_T11_S3_li.uses_flat_scratch, 0
	.set _ZL29rocblas_internal_gemmt_kernelIiLi16ELi32ELi8ELc67ELc67ELc76ELb0ELb0EffPKfPfEviT_T9_T10_S3_lS5_S3_lS4_T11_S3_li.has_dyn_sized_stack, 0
	.set _ZL29rocblas_internal_gemmt_kernelIiLi16ELi32ELi8ELc67ELc67ELc76ELb0ELb0EffPKfPfEviT_T9_T10_S3_lS5_S3_lS4_T11_S3_li.has_recursion, 0
	.set _ZL29rocblas_internal_gemmt_kernelIiLi16ELi32ELi8ELc67ELc67ELc76ELb0ELb0EffPKfPfEviT_T9_T10_S3_lS5_S3_lS4_T11_S3_li.has_indirect_call, 0
	.section	.AMDGPU.csdata,"",@progbits
; Kernel info:
; codeLenInByte = 1632
; TotalNumSgprs: 33
; NumVgprs: 52
; ScratchSize: 0
; MemoryBound: 0
; FloatMode: 240
; IeeeMode: 1
; LDSByteSize: 2048 bytes/workgroup (compile time only)
; SGPRBlocks: 0
; VGPRBlocks: 3
; NumSGPRsForWavesPerEU: 33
; NumVGPRsForWavesPerEU: 52
; NamedBarCnt: 0
; Occupancy: 16
; WaveLimiterHint : 0
; COMPUTE_PGM_RSRC2:SCRATCH_EN: 0
; COMPUTE_PGM_RSRC2:USER_SGPR: 2
; COMPUTE_PGM_RSRC2:TRAP_HANDLER: 0
; COMPUTE_PGM_RSRC2:TGID_X_EN: 1
; COMPUTE_PGM_RSRC2:TGID_Y_EN: 1
; COMPUTE_PGM_RSRC2:TGID_Z_EN: 1
; COMPUTE_PGM_RSRC2:TIDIG_COMP_CNT: 1
	.section	.text._ZL29rocblas_internal_gemmt_kernelIiLi16ELi32ELi8ELc78ELc78ELc85ELb0ELb0EdPKdS1_PdEviT_T9_T10_S3_lS5_S3_lS4_T11_S3_li,"axG",@progbits,_ZL29rocblas_internal_gemmt_kernelIiLi16ELi32ELi8ELc78ELc78ELc85ELb0ELb0EdPKdS1_PdEviT_T9_T10_S3_lS5_S3_lS4_T11_S3_li,comdat
	.globl	_ZL29rocblas_internal_gemmt_kernelIiLi16ELi32ELi8ELc78ELc78ELc85ELb0ELb0EdPKdS1_PdEviT_T9_T10_S3_lS5_S3_lS4_T11_S3_li ; -- Begin function _ZL29rocblas_internal_gemmt_kernelIiLi16ELi32ELi8ELc78ELc78ELc85ELb0ELb0EdPKdS1_PdEviT_T9_T10_S3_lS5_S3_lS4_T11_S3_li
	.p2align	8
	.type	_ZL29rocblas_internal_gemmt_kernelIiLi16ELi32ELi8ELc78ELc78ELc85ELb0ELb0EdPKdS1_PdEviT_T9_T10_S3_lS5_S3_lS4_T11_S3_li,@function
_ZL29rocblas_internal_gemmt_kernelIiLi16ELi32ELi8ELc78ELc78ELc85ELb0ELb0EdPKdS1_PdEviT_T9_T10_S3_lS5_S3_lS4_T11_S3_li: ; @_ZL29rocblas_internal_gemmt_kernelIiLi16ELi32ELi8ELc78ELc78ELc85ELb0ELb0EdPKdS1_PdEviT_T9_T10_S3_lS5_S3_lS4_T11_S3_li
; %bb.0:
	s_load_b128 s[4:7], s[0:1], 0x38
	s_wait_kmcnt 0x0
	s_load_b64 s[20:21], s[6:7], 0x0
	s_load_b128 s[8:11], s[0:1], 0x8
	s_wait_xcnt 0x0
	s_load_b64 s[6:7], s[0:1], 0x0
	s_wait_kmcnt 0x0
	s_load_b64 s[22:23], s[8:9], 0x0
	v_cmp_neq_f64_e64 s2, s[20:21], 1.0
	s_and_b32 vcc_lo, exec_lo, s2
	s_cbranch_vccnz .LBB36_2
; %bb.1:
	s_wait_kmcnt 0x0
	v_cmp_neq_f64_e64 s2, s[22:23], 0
	s_cmp_lg_u32 s7, 0
	s_cselect_b32 s3, -1, 0
	s_delay_alu instid0(SALU_CYCLE_1)
	s_and_b32 s2, s3, s2
.LBB36_2:
	s_delay_alu instid0(SALU_CYCLE_1)
	s_and_not1_b32 vcc_lo, exec_lo, s2
	s_cbranch_vccnz .LBB36_33
; %bb.3:
	s_load_b32 s19, s[0:1], 0x60
	s_bfe_u32 s2, ttmp6, 0x40014
	s_lshr_b32 s3, ttmp7, 16
	s_add_co_i32 s2, s2, 1
	s_wait_xcnt 0x0
	s_bfe_u32 s8, ttmp6, 0x40008
	s_mul_i32 s2, s3, s2
	s_getreg_b32 s28, hwreg(HW_REG_IB_STS2, 6, 4)
	s_add_co_i32 s8, s8, s2
	s_cmp_eq_u32 s28, 0
	s_mov_b32 s9, 0
	s_cselect_b32 s8, s3, s8
	s_wait_kmcnt 0x0
	s_cmp_ge_u32 s8, s19
	s_cbranch_scc1 .LBB36_33
; %bb.4:
	s_clause 0x3
	s_load_b32 s26, s[0:1], 0x18
	s_load_b32 s2, s[0:1], 0x30
	s_load_b96 s[16:18], s[0:1], 0x48
	s_load_b128 s[12:15], s[0:1], 0x20
	v_and_b32_e32 v1, 0x3ff, v0
	v_bfe_u32 v21, v0, 10, 10
	s_load_b64 s[24:25], s[0:1], 0x58
	s_wait_xcnt 0x0
	s_bfe_u32 s1, ttmp6, 0x4000c
	s_bfe_u32 s3, ttmp6, 0x40010
	s_and_b32 s30, ttmp7, 0xffff
	s_add_co_i32 s1, s1, 1
	s_add_co_i32 s3, s3, 1
	v_lshl_add_u32 v3, v21, 4, v1
	s_and_b32 s0, ttmp6, 15
	s_mul_i32 s1, ttmp9, s1
	s_mul_i32 s31, s30, s3
	s_bfe_u32 s33, ttmp6, 0x40004
	s_add_co_i32 s0, s0, s1
	s_add_co_i32 s33, s33, s31
	v_dual_lshrrev_b32 v2, 5, v3 :: v_dual_lshrrev_b32 v4, 3, v3
	s_wait_kmcnt 0x0
	s_ashr_i32 s27, s26, 31
	s_ashr_i32 s3, s2, 31
	;; [unrolled: 1-line block ×3, first 2 shown]
	s_cmp_eq_u32 s28, 0
	v_and_b32_e32 v30, 7, v0
	s_cselect_b32 s1, s30, s33
	s_cselect_b32 s0, ttmp9, s0
	s_lshl_b32 s1, s1, 5
	s_delay_alu instid0(SALU_CYCLE_1) | instskip(SKIP_2) | instid1(VALU_DEP_2)
	v_dual_add_nc_u32 v8, s1, v4 :: v_dual_bitop2_b32 v5, 31, v3 bitop3:0x40
	s_lshl_b32 s30, s0, 5
	v_dual_mov_b32 v3, 0 :: v_dual_add_nc_u32 v12, s1, v21
	v_dual_lshlrev_b32 v20, 3, v30 :: v_dual_bitop2_b32 v10, s30, v5 bitop3:0x54
	s_delay_alu instid0(VALU_DEP_3) | instskip(NEXT) | instid1(VALU_DEP_3)
	v_ashrrev_i32_e32 v9, 31, v8
	v_mul_u64_e32 v[14:15], s[26:27], v[2:3]
	s_delay_alu instid0(VALU_DEP_4)
	v_add_nc_u32_e32 v18, 16, v12
	s_mov_b32 s28, s18
	v_cmp_neq_f64_e64 s31, s[22:23], 0
	v_mul_u64_e32 v[16:17], s[2:3], v[8:9]
	v_dual_lshlrev_b32 v9, 3, v5 :: v_dual_ashrrev_i32 v13, 31, v12
	v_ashrrev_i32_e32 v19, 31, v18
	v_lshl_or_b32 v11, v4, 6, v20
	v_cmp_neq_f64_e64 s18, s[20:21], 0
	v_add_nc_u32_e32 v0, s30, v1
	v_mul_u64_e32 v[4:5], s[28:29], v[12:13]
	v_mul_u64_e32 v[6:7], s[28:29], v[18:19]
	v_add_nc_u32_e32 v32, 0x800, v11
	v_ashrrev_i32_e32 v11, 31, v10
	v_cmp_gt_i32_e64 s0, s6, v10
	v_cmp_gt_i32_e64 s1, s6, v8
	v_dual_add_nc_u32 v8, 16, v0 :: v_dual_lshlrev_b32 v33, 3, v1
	s_delay_alu instid0(VALU_DEP_4)
	v_lshlrev_b64_e32 v[10:11], 3, v[10:11]
	v_lshl_add_u32 v34, v21, 6, 0x800
	v_mov_b32_e32 v21, v3
	v_cmp_gt_i32_e32 vcc_lo, s6, v12
	v_cmp_le_i32_e64 s2, v0, v12
	v_cmp_le_i32_e64 s3, v8, v12
	s_cmp_gt_i32 s7, 0
	v_lshl_or_b32 v31, v2, 8, v9
	s_cselect_b32 s33, -1, 0
	s_and_b32 s28, vcc_lo, s2
	s_and_b32 s29, vcc_lo, s3
	v_cmp_gt_i32_e32 vcc_lo, s6, v18
	v_cmp_le_i32_e64 s2, v0, v18
	v_lshl_add_u64 v[10:11], v[14:15], 3, v[10:11]
	v_cmp_le_i32_e64 s3, v8, v18
	v_ashrrev_i32_e32 v1, 31, v0
	v_ashrrev_i32_e32 v9, 31, v8
	v_lshl_add_u64 v[12:13], v[16:17], 3, v[20:21]
	v_add_nc_u64_e32 v[10:11], s[10:11], v[10:11]
	s_and_b32 s6, vcc_lo, s2
	s_and_b32 s30, vcc_lo, s3
	s_lshl_b64 s[2:3], s[12:13], 3
	v_add_nc_u64_e32 v[12:13], s[14:15], v[12:13]
	s_and_b32 s14, s31, s33
	s_lshl_b64 s[10:11], s[26:27], 6
	s_lshl_b64 s[4:5], s[4:5], 3
	s_branch .LBB36_6
.LBB36_5:                               ;   in Loop: Header=BB36_6 Depth=1
	s_wait_xcnt 0x0
	s_or_b32 exec_lo, exec_lo, s12
	s_add_co_i32 s8, s8, 0x10000
	s_delay_alu instid0(SALU_CYCLE_1)
	s_cmp_lt_u32 s8, s19
	s_cbranch_scc0 .LBB36_33
.LBB36_6:                               ; =>This Loop Header: Depth=1
                                        ;     Child Loop BB36_9 Depth 2
	v_mov_b64_e32 v[20:21], 0
	v_mov_b64_e32 v[18:19], 0
	;; [unrolled: 1-line block ×4, first 2 shown]
	s_and_not1_b32 vcc_lo, exec_lo, s14
	s_cbranch_vccnz .LBB36_13
; %bb.7:                                ;   in Loop: Header=BB36_6 Depth=1
	v_mad_nc_u64_u32 v[22:23], s2, s8, v[10:11]
	v_mad_nc_u64_u32 v[24:25], s4, s8, v[12:13]
	v_mov_b64_e32 v[14:15], 0
	v_mov_b64_e32 v[16:17], 0
	;; [unrolled: 1-line block ×4, first 2 shown]
	s_mov_b32 s12, 0
	v_mad_u32 v23, s3, s8, v23
	v_mad_u32 v25, s5, s8, v25
	s_branch .LBB36_9
.LBB36_8:                               ;   in Loop: Header=BB36_9 Depth=2
	s_wait_xcnt 0x0
	s_or_b32 exec_lo, exec_lo, s13
	s_wait_loadcnt 0x0
	ds_store_b64 v32, v[28:29]
	s_wait_dscnt 0x0
	s_barrier_signal -1
	s_barrier_wait -1
	ds_load_b128 v[26:29], v34
	ds_load_2addr_b64 v[36:39], v33 offset1:16
	ds_load_b128 v[40:43], v34 offset:1024
	ds_load_b128 v[44:47], v34 offset:16
	;; [unrolled: 1-line block ×3, first 2 shown]
	v_add_nc_u64_e32 v[22:23], s[10:11], v[22:23]
	v_add_nc_u64_e32 v[24:25], 64, v[24:25]
	s_add_co_i32 s12, s12, 8
	s_delay_alu instid0(SALU_CYCLE_1)
	s_cmp_lt_i32 s12, s7
	s_wait_dscnt 0x3
	v_fmac_f64_e32 v[20:21], v[36:37], v[26:27]
	v_fmac_f64_e32 v[18:19], v[38:39], v[26:27]
	s_wait_dscnt 0x2
	v_fmac_f64_e32 v[16:17], v[36:37], v[40:41]
	v_fmac_f64_e32 v[14:15], v[38:39], v[40:41]
	ds_load_2addr_b64 v[36:39], v33 offset0:32 offset1:48
	s_wait_dscnt 0x0
	v_fmac_f64_e32 v[20:21], v[36:37], v[28:29]
	v_fmac_f64_e32 v[18:19], v[38:39], v[28:29]
	v_fmac_f64_e32 v[16:17], v[36:37], v[42:43]
	v_fmac_f64_e32 v[14:15], v[38:39], v[42:43]
	ds_load_2addr_b64 v[26:29], v33 offset0:64 offset1:80
	s_wait_dscnt 0x0
	v_fmac_f64_e32 v[20:21], v[26:27], v[44:45]
	v_fmac_f64_e32 v[18:19], v[28:29], v[44:45]
	;; [unrolled: 6-line block ×3, first 2 shown]
	v_fmac_f64_e32 v[16:17], v[26:27], v[50:51]
	v_fmac_f64_e32 v[14:15], v[28:29], v[50:51]
	ds_load_b128 v[26:29], v34 offset:32
	ds_load_2addr_b64 v[36:39], v33 offset0:128 offset1:144
	ds_load_b128 v[40:43], v34 offset:1056
	ds_load_b128 v[44:47], v34 offset:48
	;; [unrolled: 1-line block ×3, first 2 shown]
	s_wait_dscnt 0x3
	v_fmac_f64_e32 v[20:21], v[36:37], v[26:27]
	v_fmac_f64_e32 v[18:19], v[38:39], v[26:27]
	s_wait_dscnt 0x2
	v_fmac_f64_e32 v[16:17], v[36:37], v[40:41]
	v_fmac_f64_e32 v[14:15], v[38:39], v[40:41]
	ds_load_2addr_b64 v[36:39], v33 offset0:160 offset1:176
	s_wait_dscnt 0x0
	v_fmac_f64_e32 v[20:21], v[36:37], v[28:29]
	v_fmac_f64_e32 v[18:19], v[38:39], v[28:29]
	;; [unrolled: 1-line block ×4, first 2 shown]
	ds_load_2addr_b64 v[26:29], v33 offset0:192 offset1:208
	s_wait_dscnt 0x0
	v_fmac_f64_e32 v[20:21], v[26:27], v[44:45]
	v_fmac_f64_e32 v[18:19], v[28:29], v[44:45]
	;; [unrolled: 1-line block ×4, first 2 shown]
	ds_load_2addr_b64 v[26:29], v33 offset0:224 offset1:240
	s_wait_dscnt 0x0
	s_barrier_signal -1
	s_barrier_wait -1
	v_fmac_f64_e32 v[20:21], v[26:27], v[46:47]
	v_fmac_f64_e32 v[18:19], v[28:29], v[46:47]
	;; [unrolled: 1-line block ×4, first 2 shown]
	s_cbranch_scc0 .LBB36_13
.LBB36_9:                               ;   Parent Loop BB36_6 Depth=1
                                        ; =>  This Inner Loop Header: Depth=2
	v_add_nc_u32_e32 v3, s12, v2
	v_mov_b64_e32 v[26:27], 0
	s_delay_alu instid0(VALU_DEP_2) | instskip(SKIP_1) | instid1(SALU_CYCLE_1)
	v_cmp_gt_i32_e32 vcc_lo, s7, v3
	s_and_b32 s15, s0, vcc_lo
	s_and_saveexec_b32 s13, s15
	s_cbranch_execz .LBB36_11
; %bb.10:                               ;   in Loop: Header=BB36_9 Depth=2
	global_load_b64 v[26:27], v[22:23], off
.LBB36_11:                              ;   in Loop: Header=BB36_9 Depth=2
	s_wait_xcnt 0x0
	s_or_b32 exec_lo, exec_lo, s13
	v_add_nc_u32_e32 v3, s12, v30
	v_mov_b64_e32 v[28:29], 0
	s_wait_loadcnt 0x0
	ds_store_b64 v31, v[26:27]
	v_cmp_gt_i32_e32 vcc_lo, s7, v3
	s_and_b32 s15, vcc_lo, s1
	s_delay_alu instid0(SALU_CYCLE_1)
	s_and_saveexec_b32 s13, s15
	s_cbranch_execz .LBB36_8
; %bb.12:                               ;   in Loop: Header=BB36_9 Depth=2
	global_load_b64 v[28:29], v[24:25], off
	s_branch .LBB36_8
.LBB36_13:                              ;   in Loop: Header=BB36_6 Depth=1
	s_mul_u64 s[12:13], s[24:25], s[8:9]
	s_delay_alu instid0(SALU_CYCLE_1) | instskip(NEXT) | instid1(SALU_CYCLE_1)
	s_lshl_b64 s[12:13], s[12:13], 3
	s_add_nc_u64 s[12:13], s[16:17], s[12:13]
	s_delay_alu instid0(SALU_CYCLE_1)
	v_lshl_add_u64 v[22:23], v[4:5], 3, s[12:13]
	s_and_saveexec_b32 s15, s28
	s_cbranch_execz .LBB36_17
; %bb.14:                               ;   in Loop: Header=BB36_6 Depth=1
	v_mul_f64_e32 v[20:21], s[22:23], v[20:21]
	s_delay_alu instid0(VALU_DEP_2)
	v_lshl_add_u64 v[24:25], v[0:1], 3, v[22:23]
	s_and_b32 vcc_lo, exec_lo, s18
	s_cbranch_vccz .LBB36_28
; %bb.15:                               ;   in Loop: Header=BB36_6 Depth=1
	global_load_b64 v[26:27], v[24:25], off
	s_wait_loadcnt 0x0
	v_fma_f64 v[26:27], s[20:21], v[26:27], v[20:21]
	global_store_b64 v[24:25], v[26:27], off
	s_cbranch_execnz .LBB36_17
.LBB36_16:                              ;   in Loop: Header=BB36_6 Depth=1
	global_store_b64 v[24:25], v[20:21], off
.LBB36_17:                              ;   in Loop: Header=BB36_6 Depth=1
	s_wait_xcnt 0x0
	s_or_b32 exec_lo, exec_lo, s15
	s_and_saveexec_b32 s15, s29
	s_cbranch_execz .LBB36_21
; %bb.18:                               ;   in Loop: Header=BB36_6 Depth=1
	s_delay_alu instid0(VALU_DEP_4)
	v_mul_f64_e32 v[18:19], s[22:23], v[18:19]
	v_lshl_add_u64 v[20:21], v[8:9], 3, v[22:23]
	s_and_not1_b32 vcc_lo, exec_lo, s18
	s_cbranch_vccnz .LBB36_29
; %bb.19:                               ;   in Loop: Header=BB36_6 Depth=1
	global_load_b64 v[22:23], v[20:21], off
	s_wait_loadcnt 0x0
	v_fma_f64 v[22:23], s[20:21], v[22:23], v[18:19]
	global_store_b64 v[20:21], v[22:23], off
	s_cbranch_execnz .LBB36_21
.LBB36_20:                              ;   in Loop: Header=BB36_6 Depth=1
	global_store_b64 v[20:21], v[18:19], off
.LBB36_21:                              ;   in Loop: Header=BB36_6 Depth=1
	s_wait_xcnt 0x0
	s_or_b32 exec_lo, exec_lo, s15
	v_lshl_add_u64 v[18:19], v[6:7], 3, s[12:13]
	s_and_saveexec_b32 s12, s6
	s_cbranch_execz .LBB36_25
; %bb.22:                               ;   in Loop: Header=BB36_6 Depth=1
	s_delay_alu instid0(VALU_DEP_4) | instskip(NEXT) | instid1(VALU_DEP_2)
	v_mul_f64_e32 v[16:17], s[22:23], v[16:17]
	v_lshl_add_u64 v[20:21], v[0:1], 3, v[18:19]
	s_and_not1_b32 vcc_lo, exec_lo, s18
	s_cbranch_vccnz .LBB36_30
; %bb.23:                               ;   in Loop: Header=BB36_6 Depth=1
	global_load_b64 v[22:23], v[20:21], off
	s_wait_loadcnt 0x0
	v_fma_f64 v[22:23], s[20:21], v[22:23], v[16:17]
	global_store_b64 v[20:21], v[22:23], off
	s_cbranch_execnz .LBB36_25
.LBB36_24:                              ;   in Loop: Header=BB36_6 Depth=1
	global_store_b64 v[20:21], v[16:17], off
.LBB36_25:                              ;   in Loop: Header=BB36_6 Depth=1
	s_wait_xcnt 0x0
	s_or_b32 exec_lo, exec_lo, s12
	s_and_saveexec_b32 s12, s30
	s_cbranch_execz .LBB36_5
; %bb.26:                               ;   in Loop: Header=BB36_6 Depth=1
	s_delay_alu instid0(VALU_DEP_3)
	v_mul_f64_e32 v[14:15], s[22:23], v[14:15]
	v_lshl_add_u64 v[16:17], v[8:9], 3, v[18:19]
	s_and_not1_b32 vcc_lo, exec_lo, s18
	s_cbranch_vccnz .LBB36_31
; %bb.27:                               ;   in Loop: Header=BB36_6 Depth=1
	global_load_b64 v[18:19], v[16:17], off
	s_wait_loadcnt 0x0
	v_fma_f64 v[18:19], s[20:21], v[18:19], v[14:15]
	global_store_b64 v[16:17], v[18:19], off
	s_cbranch_execnz .LBB36_5
	s_branch .LBB36_32
.LBB36_28:                              ;   in Loop: Header=BB36_6 Depth=1
	s_branch .LBB36_16
.LBB36_29:                              ;   in Loop: Header=BB36_6 Depth=1
	s_branch .LBB36_20
.LBB36_30:                              ;   in Loop: Header=BB36_6 Depth=1
	s_branch .LBB36_24
.LBB36_31:                              ;   in Loop: Header=BB36_6 Depth=1
.LBB36_32:                              ;   in Loop: Header=BB36_6 Depth=1
	global_store_b64 v[16:17], v[14:15], off
	s_branch .LBB36_5
.LBB36_33:
	s_endpgm
	.section	.rodata,"a",@progbits
	.p2align	6, 0x0
	.amdhsa_kernel _ZL29rocblas_internal_gemmt_kernelIiLi16ELi32ELi8ELc78ELc78ELc85ELb0ELb0EdPKdS1_PdEviT_T9_T10_S3_lS5_S3_lS4_T11_S3_li
		.amdhsa_group_segment_fixed_size 4096
		.amdhsa_private_segment_fixed_size 0
		.amdhsa_kernarg_size 100
		.amdhsa_user_sgpr_count 2
		.amdhsa_user_sgpr_dispatch_ptr 0
		.amdhsa_user_sgpr_queue_ptr 0
		.amdhsa_user_sgpr_kernarg_segment_ptr 1
		.amdhsa_user_sgpr_dispatch_id 0
		.amdhsa_user_sgpr_kernarg_preload_length 0
		.amdhsa_user_sgpr_kernarg_preload_offset 0
		.amdhsa_user_sgpr_private_segment_size 0
		.amdhsa_wavefront_size32 1
		.amdhsa_uses_dynamic_stack 0
		.amdhsa_enable_private_segment 0
		.amdhsa_system_sgpr_workgroup_id_x 1
		.amdhsa_system_sgpr_workgroup_id_y 1
		.amdhsa_system_sgpr_workgroup_id_z 1
		.amdhsa_system_sgpr_workgroup_info 0
		.amdhsa_system_vgpr_workitem_id 1
		.amdhsa_next_free_vgpr 52
		.amdhsa_next_free_sgpr 34
		.amdhsa_named_barrier_count 0
		.amdhsa_reserve_vcc 1
		.amdhsa_float_round_mode_32 0
		.amdhsa_float_round_mode_16_64 0
		.amdhsa_float_denorm_mode_32 3
		.amdhsa_float_denorm_mode_16_64 3
		.amdhsa_fp16_overflow 0
		.amdhsa_memory_ordered 1
		.amdhsa_forward_progress 1
		.amdhsa_inst_pref_size 13
		.amdhsa_round_robin_scheduling 0
		.amdhsa_exception_fp_ieee_invalid_op 0
		.amdhsa_exception_fp_denorm_src 0
		.amdhsa_exception_fp_ieee_div_zero 0
		.amdhsa_exception_fp_ieee_overflow 0
		.amdhsa_exception_fp_ieee_underflow 0
		.amdhsa_exception_fp_ieee_inexact 0
		.amdhsa_exception_int_div_zero 0
	.end_amdhsa_kernel
	.section	.text._ZL29rocblas_internal_gemmt_kernelIiLi16ELi32ELi8ELc78ELc78ELc85ELb0ELb0EdPKdS1_PdEviT_T9_T10_S3_lS5_S3_lS4_T11_S3_li,"axG",@progbits,_ZL29rocblas_internal_gemmt_kernelIiLi16ELi32ELi8ELc78ELc78ELc85ELb0ELb0EdPKdS1_PdEviT_T9_T10_S3_lS5_S3_lS4_T11_S3_li,comdat
.Lfunc_end36:
	.size	_ZL29rocblas_internal_gemmt_kernelIiLi16ELi32ELi8ELc78ELc78ELc85ELb0ELb0EdPKdS1_PdEviT_T9_T10_S3_lS5_S3_lS4_T11_S3_li, .Lfunc_end36-_ZL29rocblas_internal_gemmt_kernelIiLi16ELi32ELi8ELc78ELc78ELc85ELb0ELb0EdPKdS1_PdEviT_T9_T10_S3_lS5_S3_lS4_T11_S3_li
                                        ; -- End function
	.set _ZL29rocblas_internal_gemmt_kernelIiLi16ELi32ELi8ELc78ELc78ELc85ELb0ELb0EdPKdS1_PdEviT_T9_T10_S3_lS5_S3_lS4_T11_S3_li.num_vgpr, 52
	.set _ZL29rocblas_internal_gemmt_kernelIiLi16ELi32ELi8ELc78ELc78ELc85ELb0ELb0EdPKdS1_PdEviT_T9_T10_S3_lS5_S3_lS4_T11_S3_li.num_agpr, 0
	.set _ZL29rocblas_internal_gemmt_kernelIiLi16ELi32ELi8ELc78ELc78ELc85ELb0ELb0EdPKdS1_PdEviT_T9_T10_S3_lS5_S3_lS4_T11_S3_li.numbered_sgpr, 34
	.set _ZL29rocblas_internal_gemmt_kernelIiLi16ELi32ELi8ELc78ELc78ELc85ELb0ELb0EdPKdS1_PdEviT_T9_T10_S3_lS5_S3_lS4_T11_S3_li.num_named_barrier, 0
	.set _ZL29rocblas_internal_gemmt_kernelIiLi16ELi32ELi8ELc78ELc78ELc85ELb0ELb0EdPKdS1_PdEviT_T9_T10_S3_lS5_S3_lS4_T11_S3_li.private_seg_size, 0
	.set _ZL29rocblas_internal_gemmt_kernelIiLi16ELi32ELi8ELc78ELc78ELc85ELb0ELb0EdPKdS1_PdEviT_T9_T10_S3_lS5_S3_lS4_T11_S3_li.uses_vcc, 1
	.set _ZL29rocblas_internal_gemmt_kernelIiLi16ELi32ELi8ELc78ELc78ELc85ELb0ELb0EdPKdS1_PdEviT_T9_T10_S3_lS5_S3_lS4_T11_S3_li.uses_flat_scratch, 0
	.set _ZL29rocblas_internal_gemmt_kernelIiLi16ELi32ELi8ELc78ELc78ELc85ELb0ELb0EdPKdS1_PdEviT_T9_T10_S3_lS5_S3_lS4_T11_S3_li.has_dyn_sized_stack, 0
	.set _ZL29rocblas_internal_gemmt_kernelIiLi16ELi32ELi8ELc78ELc78ELc85ELb0ELb0EdPKdS1_PdEviT_T9_T10_S3_lS5_S3_lS4_T11_S3_li.has_recursion, 0
	.set _ZL29rocblas_internal_gemmt_kernelIiLi16ELi32ELi8ELc78ELc78ELc85ELb0ELb0EdPKdS1_PdEviT_T9_T10_S3_lS5_S3_lS4_T11_S3_li.has_indirect_call, 0
	.section	.AMDGPU.csdata,"",@progbits
; Kernel info:
; codeLenInByte = 1660
; TotalNumSgprs: 36
; NumVgprs: 52
; ScratchSize: 0
; MemoryBound: 0
; FloatMode: 240
; IeeeMode: 1
; LDSByteSize: 4096 bytes/workgroup (compile time only)
; SGPRBlocks: 0
; VGPRBlocks: 3
; NumSGPRsForWavesPerEU: 36
; NumVGPRsForWavesPerEU: 52
; NamedBarCnt: 0
; Occupancy: 16
; WaveLimiterHint : 0
; COMPUTE_PGM_RSRC2:SCRATCH_EN: 0
; COMPUTE_PGM_RSRC2:USER_SGPR: 2
; COMPUTE_PGM_RSRC2:TRAP_HANDLER: 0
; COMPUTE_PGM_RSRC2:TGID_X_EN: 1
; COMPUTE_PGM_RSRC2:TGID_Y_EN: 1
; COMPUTE_PGM_RSRC2:TGID_Z_EN: 1
; COMPUTE_PGM_RSRC2:TIDIG_COMP_CNT: 1
	.section	.text._ZL29rocblas_internal_gemmt_kernelIiLi16ELi32ELi8ELc78ELc84ELc85ELb0ELb0EdPKdS1_PdEviT_T9_T10_S3_lS5_S3_lS4_T11_S3_li,"axG",@progbits,_ZL29rocblas_internal_gemmt_kernelIiLi16ELi32ELi8ELc78ELc84ELc85ELb0ELb0EdPKdS1_PdEviT_T9_T10_S3_lS5_S3_lS4_T11_S3_li,comdat
	.globl	_ZL29rocblas_internal_gemmt_kernelIiLi16ELi32ELi8ELc78ELc84ELc85ELb0ELb0EdPKdS1_PdEviT_T9_T10_S3_lS5_S3_lS4_T11_S3_li ; -- Begin function _ZL29rocblas_internal_gemmt_kernelIiLi16ELi32ELi8ELc78ELc84ELc85ELb0ELb0EdPKdS1_PdEviT_T9_T10_S3_lS5_S3_lS4_T11_S3_li
	.p2align	8
	.type	_ZL29rocblas_internal_gemmt_kernelIiLi16ELi32ELi8ELc78ELc84ELc85ELb0ELb0EdPKdS1_PdEviT_T9_T10_S3_lS5_S3_lS4_T11_S3_li,@function
_ZL29rocblas_internal_gemmt_kernelIiLi16ELi32ELi8ELc78ELc84ELc85ELb0ELb0EdPKdS1_PdEviT_T9_T10_S3_lS5_S3_lS4_T11_S3_li: ; @_ZL29rocblas_internal_gemmt_kernelIiLi16ELi32ELi8ELc78ELc84ELc85ELb0ELb0EdPKdS1_PdEviT_T9_T10_S3_lS5_S3_lS4_T11_S3_li
; %bb.0:
	s_load_b128 s[4:7], s[0:1], 0x38
	s_wait_kmcnt 0x0
	s_load_b64 s[20:21], s[6:7], 0x0
	s_load_b128 s[8:11], s[0:1], 0x8
	s_wait_xcnt 0x0
	s_load_b64 s[6:7], s[0:1], 0x0
	s_wait_kmcnt 0x0
	s_load_b64 s[22:23], s[8:9], 0x0
	v_cmp_neq_f64_e64 s2, s[20:21], 1.0
	s_and_b32 vcc_lo, exec_lo, s2
	s_cbranch_vccnz .LBB37_2
; %bb.1:
	s_wait_kmcnt 0x0
	v_cmp_neq_f64_e64 s2, s[22:23], 0
	s_cmp_lg_u32 s7, 0
	s_cselect_b32 s3, -1, 0
	s_delay_alu instid0(SALU_CYCLE_1)
	s_and_b32 s2, s3, s2
.LBB37_2:
	s_delay_alu instid0(SALU_CYCLE_1)
	s_and_not1_b32 vcc_lo, exec_lo, s2
	s_cbranch_vccnz .LBB37_33
; %bb.3:
	s_load_b32 s19, s[0:1], 0x60
	s_bfe_u32 s2, ttmp6, 0x40014
	s_lshr_b32 s3, ttmp7, 16
	s_add_co_i32 s2, s2, 1
	s_wait_xcnt 0x0
	s_bfe_u32 s9, ttmp6, 0x40008
	s_mul_i32 s8, s3, s2
	s_getreg_b32 s2, hwreg(HW_REG_IB_STS2, 6, 4)
	s_add_co_i32 s9, s9, s8
	s_cmp_eq_u32 s2, 0
	s_cselect_b32 s8, s3, s9
	s_mov_b32 s9, 0
	s_wait_kmcnt 0x0
	s_cmp_ge_u32 s8, s19
	s_cbranch_scc1 .LBB37_33
; %bb.4:
	s_clause 0x4
	s_load_b32 s26, s[0:1], 0x18
	s_load_b32 s28, s[0:1], 0x30
	s_load_b96 s[16:18], s[0:1], 0x48
	s_load_b128 s[12:15], s[0:1], 0x20
	s_load_b64 s[24:25], s[0:1], 0x58
	s_wait_xcnt 0x0
	s_bfe_u32 s1, ttmp6, 0x4000c
	s_bfe_u32 s27, ttmp6, 0x40010
	v_and_b32_e32 v5, 0x3ff, v0
	v_bfe_u32 v11, v0, 10, 10
	s_and_b32 s3, ttmp7, 0xffff
	s_add_co_i32 s1, s1, 1
	s_add_co_i32 s33, s27, 1
	s_and_b32 s0, ttmp6, 15
	s_mul_i32 s1, ttmp9, s1
	v_lshl_add_u32 v1, v11, 4, v5
	s_add_co_i32 s0, s0, s1
	v_and_b32_e32 v0, 7, v0
	v_cmp_neq_f64_e64 s34, s[22:23], 0
	v_lshl_add_u32 v33, v11, 6, 0x800
	v_dual_lshrrev_b32 v4, 3, v1 :: v_dual_bitop2_b32 v6, 31, v1 bitop3:0x40
	s_wait_kmcnt 0x0
	s_ashr_i32 s27, s26, 31
	s_ashr_i32 s31, s18, 31
	s_mov_b32 s30, s18
	s_mul_i32 s18, s3, s33
	s_bfe_u32 s33, ttmp6, 0x40004
	s_ashr_i32 s29, s28, 31
	s_add_co_i32 s33, s33, s18
	s_cmp_eq_u32 s2, 0
	v_lshrrev_b32_e32 v2, 5, v1
	s_cselect_b32 s0, ttmp9, s0
	s_cselect_b32 s1, s3, s33
	s_lshl_b32 s2, s0, 5
	s_delay_alu instid0(SALU_CYCLE_1) | instskip(SKIP_2) | instid1(VALU_DEP_2)
	v_dual_mov_b32 v3, 0 :: v_dual_bitop2_b32 v12, s2, v6 bitop3:0x54
	s_lshl_b32 s0, s1, 5
	v_cmp_neq_f64_e64 s18, s[20:21], 0
	v_dual_mov_b32 v1, v3 :: v_dual_add_nc_u32 v14, s0, v4
	v_add_nc_u32_e32 v16, s0, v11
	v_mul_u64_e32 v[18:19], s[26:27], v[2:3]
	v_lshlrev_b32_e32 v3, 3, v6
	s_delay_alu instid0(VALU_DEP_4) | instskip(SKIP_4) | instid1(VALU_DEP_3)
	v_ashrrev_i32_e32 v15, 31, v14
	v_mul_u64_e32 v[20:21], s[28:29], v[0:1]
	v_dual_add_nc_u32 v22, 16, v16 :: v_dual_ashrrev_i32 v17, 31, v16
	v_lshlrev_b32_e32 v6, 3, v0
	v_lshl_or_b32 v1, v2, 8, v3
	v_dual_lshlrev_b32 v32, 3, v5 :: v_dual_ashrrev_i32 v23, 31, v22
	v_cmp_gt_i32_e64 s0, s6, v12
	s_delay_alu instid0(VALU_DEP_4)
	v_lshl_or_b32 v3, v4, 6, v6
	v_mul_u64_e32 v[6:7], s[30:31], v[16:17]
	v_add_nc_u32_e32 v4, s2, v5
	v_mul_u64_e32 v[8:9], s[30:31], v[22:23]
	v_cmp_gt_i32_e64 s1, s6, v14
	v_lshlrev_b64_e32 v[14:15], 3, v[14:15]
	v_cmp_gt_i32_e32 vcc_lo, s6, v16
	v_add_nc_u32_e32 v10, 16, v4
	v_ashrrev_i32_e32 v13, 31, v12
	v_cmp_le_i32_e64 s2, v4, v16
	s_cmp_gt_i32 s7, 0
	v_add_nc_u32_e32 v3, 0x800, v3
	v_ashrrev_i32_e32 v11, 31, v10
	v_lshlrev_b64_e32 v[12:13], 3, v[12:13]
	v_cmp_le_i32_e64 s3, v10, v16
	s_cselect_b32 s35, -1, 0
	s_and_b32 s30, vcc_lo, s2
	v_cmp_le_i32_e64 s2, v4, v22
	v_ashrrev_i32_e32 v5, 31, v4
	s_and_b32 s31, vcc_lo, s3
	v_cmp_gt_i32_e32 vcc_lo, s6, v22
	v_lshl_add_u64 v[12:13], v[18:19], 3, v[12:13]
	v_cmp_le_i32_e64 s3, v10, v22
	s_and_b32 s34, s34, s35
	v_lshl_add_u64 v[14:15], v[20:21], 3, v[14:15]
	s_and_b32 s6, vcc_lo, s2
	v_add_nc_u64_e32 v[12:13], s[10:11], v[12:13]
	s_and_b32 s33, vcc_lo, s3
	s_lshl_b64 s[2:3], s[12:13], 3
	v_add_nc_u64_e32 v[14:15], s[14:15], v[14:15]
	s_lshl_b64 s[10:11], s[26:27], 6
	s_lshl_b64 s[4:5], s[4:5], 3
	;; [unrolled: 1-line block ×3, first 2 shown]
	s_branch .LBB37_6
.LBB37_5:                               ;   in Loop: Header=BB37_6 Depth=1
	s_wait_xcnt 0x0
	s_or_b32 exec_lo, exec_lo, s14
	s_add_co_i32 s8, s8, 0x10000
	s_delay_alu instid0(SALU_CYCLE_1)
	s_cmp_lt_u32 s8, s19
	s_cbranch_scc0 .LBB37_33
.LBB37_6:                               ; =>This Loop Header: Depth=1
                                        ;     Child Loop BB37_9 Depth 2
	v_mov_b64_e32 v[22:23], 0
	v_mov_b64_e32 v[20:21], 0
	;; [unrolled: 1-line block ×4, first 2 shown]
	s_and_not1_b32 vcc_lo, exec_lo, s34
	s_cbranch_vccnz .LBB37_13
; %bb.7:                                ;   in Loop: Header=BB37_6 Depth=1
	v_mad_nc_u64_u32 v[24:25], s2, s8, v[12:13]
	v_mad_nc_u64_u32 v[26:27], s4, s8, v[14:15]
	v_mov_b64_e32 v[16:17], 0
	v_mov_b64_e32 v[18:19], 0
	;; [unrolled: 1-line block ×4, first 2 shown]
	s_mov_b32 s14, 0
	v_mad_u32 v25, s3, s8, v25
	v_mad_u32 v27, s5, s8, v27
	s_branch .LBB37_9
.LBB37_8:                               ;   in Loop: Header=BB37_9 Depth=2
	s_wait_xcnt 0x0
	s_or_b32 exec_lo, exec_lo, s15
	s_wait_loadcnt 0x0
	ds_store_b64 v3, v[30:31]
	s_wait_dscnt 0x0
	s_barrier_signal -1
	s_barrier_wait -1
	ds_load_b128 v[28:31], v33
	ds_load_2addr_b64 v[34:37], v32 offset1:16
	ds_load_b128 v[38:41], v33 offset:1024
	ds_load_b128 v[42:45], v33 offset:16
	;; [unrolled: 1-line block ×3, first 2 shown]
	v_add_nc_u64_e32 v[24:25], s[10:11], v[24:25]
	v_add_nc_u64_e32 v[26:27], s[12:13], v[26:27]
	s_add_co_i32 s14, s14, 8
	s_delay_alu instid0(SALU_CYCLE_1)
	s_cmp_lt_i32 s14, s7
	s_wait_dscnt 0x3
	v_fmac_f64_e32 v[22:23], v[34:35], v[28:29]
	v_fmac_f64_e32 v[20:21], v[36:37], v[28:29]
	s_wait_dscnt 0x2
	v_fmac_f64_e32 v[18:19], v[34:35], v[38:39]
	v_fmac_f64_e32 v[16:17], v[36:37], v[38:39]
	ds_load_2addr_b64 v[34:37], v32 offset0:32 offset1:48
	s_wait_dscnt 0x0
	v_fmac_f64_e32 v[22:23], v[34:35], v[30:31]
	v_fmac_f64_e32 v[20:21], v[36:37], v[30:31]
	v_fmac_f64_e32 v[18:19], v[34:35], v[40:41]
	v_fmac_f64_e32 v[16:17], v[36:37], v[40:41]
	ds_load_2addr_b64 v[28:31], v32 offset0:64 offset1:80
	s_wait_dscnt 0x0
	v_fmac_f64_e32 v[22:23], v[28:29], v[42:43]
	v_fmac_f64_e32 v[20:21], v[30:31], v[42:43]
	;; [unrolled: 6-line block ×3, first 2 shown]
	v_fmac_f64_e32 v[18:19], v[28:29], v[48:49]
	v_fmac_f64_e32 v[16:17], v[30:31], v[48:49]
	ds_load_b128 v[28:31], v33 offset:32
	ds_load_2addr_b64 v[34:37], v32 offset0:128 offset1:144
	ds_load_b128 v[38:41], v33 offset:1056
	ds_load_b128 v[42:45], v33 offset:48
	;; [unrolled: 1-line block ×3, first 2 shown]
	s_wait_dscnt 0x3
	v_fmac_f64_e32 v[22:23], v[34:35], v[28:29]
	v_fmac_f64_e32 v[20:21], v[36:37], v[28:29]
	s_wait_dscnt 0x2
	v_fmac_f64_e32 v[18:19], v[34:35], v[38:39]
	v_fmac_f64_e32 v[16:17], v[36:37], v[38:39]
	ds_load_2addr_b64 v[34:37], v32 offset0:160 offset1:176
	s_wait_dscnt 0x0
	v_fmac_f64_e32 v[22:23], v[34:35], v[30:31]
	v_fmac_f64_e32 v[20:21], v[36:37], v[30:31]
	;; [unrolled: 1-line block ×4, first 2 shown]
	ds_load_2addr_b64 v[28:31], v32 offset0:192 offset1:208
	s_wait_dscnt 0x0
	v_fmac_f64_e32 v[22:23], v[28:29], v[42:43]
	v_fmac_f64_e32 v[20:21], v[30:31], v[42:43]
	;; [unrolled: 1-line block ×4, first 2 shown]
	ds_load_2addr_b64 v[28:31], v32 offset0:224 offset1:240
	s_wait_dscnt 0x0
	s_barrier_signal -1
	s_barrier_wait -1
	v_fmac_f64_e32 v[22:23], v[28:29], v[44:45]
	v_fmac_f64_e32 v[20:21], v[30:31], v[44:45]
	;; [unrolled: 1-line block ×4, first 2 shown]
	s_cbranch_scc0 .LBB37_13
.LBB37_9:                               ;   Parent Loop BB37_6 Depth=1
                                        ; =>  This Inner Loop Header: Depth=2
	v_add_nc_u32_e32 v28, s14, v2
	s_delay_alu instid0(VALU_DEP_1) | instskip(SKIP_2) | instid1(SALU_CYCLE_1)
	v_cmp_gt_i32_e32 vcc_lo, s7, v28
	v_mov_b64_e32 v[28:29], 0
	s_and_b32 s26, s0, vcc_lo
	s_and_saveexec_b32 s15, s26
	s_cbranch_execz .LBB37_11
; %bb.10:                               ;   in Loop: Header=BB37_9 Depth=2
	global_load_b64 v[28:29], v[24:25], off
.LBB37_11:                              ;   in Loop: Header=BB37_9 Depth=2
	s_wait_xcnt 0x0
	s_or_b32 exec_lo, exec_lo, s15
	v_add_nc_u32_e32 v30, s14, v0
	s_wait_loadcnt 0x0
	ds_store_b64 v1, v[28:29]
	v_cmp_gt_i32_e32 vcc_lo, s7, v30
	v_mov_b64_e32 v[30:31], 0
	s_and_b32 s26, vcc_lo, s1
	s_delay_alu instid0(SALU_CYCLE_1)
	s_and_saveexec_b32 s15, s26
	s_cbranch_execz .LBB37_8
; %bb.12:                               ;   in Loop: Header=BB37_9 Depth=2
	global_load_b64 v[30:31], v[26:27], off
	s_branch .LBB37_8
.LBB37_13:                              ;   in Loop: Header=BB37_6 Depth=1
	s_mul_u64 s[14:15], s[24:25], s[8:9]
	s_delay_alu instid0(SALU_CYCLE_1) | instskip(NEXT) | instid1(SALU_CYCLE_1)
	s_lshl_b64 s[14:15], s[14:15], 3
	s_add_nc_u64 s[14:15], s[16:17], s[14:15]
	s_delay_alu instid0(SALU_CYCLE_1)
	v_lshl_add_u64 v[24:25], v[6:7], 3, s[14:15]
	s_and_saveexec_b32 s26, s30
	s_cbranch_execz .LBB37_17
; %bb.14:                               ;   in Loop: Header=BB37_6 Depth=1
	v_mul_f64_e32 v[22:23], s[22:23], v[22:23]
	s_delay_alu instid0(VALU_DEP_2)
	v_lshl_add_u64 v[26:27], v[4:5], 3, v[24:25]
	s_and_b32 vcc_lo, exec_lo, s18
	s_cbranch_vccz .LBB37_28
; %bb.15:                               ;   in Loop: Header=BB37_6 Depth=1
	global_load_b64 v[28:29], v[26:27], off
	s_wait_loadcnt 0x0
	v_fma_f64 v[28:29], s[20:21], v[28:29], v[22:23]
	global_store_b64 v[26:27], v[28:29], off
	s_cbranch_execnz .LBB37_17
.LBB37_16:                              ;   in Loop: Header=BB37_6 Depth=1
	global_store_b64 v[26:27], v[22:23], off
.LBB37_17:                              ;   in Loop: Header=BB37_6 Depth=1
	s_wait_xcnt 0x0
	s_or_b32 exec_lo, exec_lo, s26
	s_and_saveexec_b32 s26, s31
	s_cbranch_execz .LBB37_21
; %bb.18:                               ;   in Loop: Header=BB37_6 Depth=1
	s_delay_alu instid0(VALU_DEP_4)
	v_mul_f64_e32 v[20:21], s[22:23], v[20:21]
	v_lshl_add_u64 v[22:23], v[10:11], 3, v[24:25]
	s_and_not1_b32 vcc_lo, exec_lo, s18
	s_cbranch_vccnz .LBB37_29
; %bb.19:                               ;   in Loop: Header=BB37_6 Depth=1
	global_load_b64 v[24:25], v[22:23], off
	s_wait_loadcnt 0x0
	v_fma_f64 v[24:25], s[20:21], v[24:25], v[20:21]
	global_store_b64 v[22:23], v[24:25], off
	s_cbranch_execnz .LBB37_21
.LBB37_20:                              ;   in Loop: Header=BB37_6 Depth=1
	global_store_b64 v[22:23], v[20:21], off
.LBB37_21:                              ;   in Loop: Header=BB37_6 Depth=1
	s_wait_xcnt 0x0
	s_or_b32 exec_lo, exec_lo, s26
	v_lshl_add_u64 v[20:21], v[8:9], 3, s[14:15]
	s_and_saveexec_b32 s14, s6
	s_cbranch_execz .LBB37_25
; %bb.22:                               ;   in Loop: Header=BB37_6 Depth=1
	s_delay_alu instid0(VALU_DEP_4) | instskip(NEXT) | instid1(VALU_DEP_2)
	v_mul_f64_e32 v[18:19], s[22:23], v[18:19]
	v_lshl_add_u64 v[22:23], v[4:5], 3, v[20:21]
	s_and_not1_b32 vcc_lo, exec_lo, s18
	s_cbranch_vccnz .LBB37_30
; %bb.23:                               ;   in Loop: Header=BB37_6 Depth=1
	global_load_b64 v[24:25], v[22:23], off
	s_wait_loadcnt 0x0
	v_fma_f64 v[24:25], s[20:21], v[24:25], v[18:19]
	global_store_b64 v[22:23], v[24:25], off
	s_cbranch_execnz .LBB37_25
.LBB37_24:                              ;   in Loop: Header=BB37_6 Depth=1
	global_store_b64 v[22:23], v[18:19], off
.LBB37_25:                              ;   in Loop: Header=BB37_6 Depth=1
	s_wait_xcnt 0x0
	s_or_b32 exec_lo, exec_lo, s14
	s_and_saveexec_b32 s14, s33
	s_cbranch_execz .LBB37_5
; %bb.26:                               ;   in Loop: Header=BB37_6 Depth=1
	s_delay_alu instid0(VALU_DEP_3)
	v_mul_f64_e32 v[16:17], s[22:23], v[16:17]
	v_lshl_add_u64 v[18:19], v[10:11], 3, v[20:21]
	s_and_not1_b32 vcc_lo, exec_lo, s18
	s_cbranch_vccnz .LBB37_31
; %bb.27:                               ;   in Loop: Header=BB37_6 Depth=1
	global_load_b64 v[20:21], v[18:19], off
	s_wait_loadcnt 0x0
	v_fma_f64 v[20:21], s[20:21], v[20:21], v[16:17]
	global_store_b64 v[18:19], v[20:21], off
	s_cbranch_execnz .LBB37_5
	s_branch .LBB37_32
.LBB37_28:                              ;   in Loop: Header=BB37_6 Depth=1
	s_branch .LBB37_16
.LBB37_29:                              ;   in Loop: Header=BB37_6 Depth=1
	s_branch .LBB37_20
.LBB37_30:                              ;   in Loop: Header=BB37_6 Depth=1
	s_branch .LBB37_24
.LBB37_31:                              ;   in Loop: Header=BB37_6 Depth=1
.LBB37_32:                              ;   in Loop: Header=BB37_6 Depth=1
	global_store_b64 v[18:19], v[16:17], off
	s_branch .LBB37_5
.LBB37_33:
	s_endpgm
	.section	.rodata,"a",@progbits
	.p2align	6, 0x0
	.amdhsa_kernel _ZL29rocblas_internal_gemmt_kernelIiLi16ELi32ELi8ELc78ELc84ELc85ELb0ELb0EdPKdS1_PdEviT_T9_T10_S3_lS5_S3_lS4_T11_S3_li
		.amdhsa_group_segment_fixed_size 4096
		.amdhsa_private_segment_fixed_size 0
		.amdhsa_kernarg_size 100
		.amdhsa_user_sgpr_count 2
		.amdhsa_user_sgpr_dispatch_ptr 0
		.amdhsa_user_sgpr_queue_ptr 0
		.amdhsa_user_sgpr_kernarg_segment_ptr 1
		.amdhsa_user_sgpr_dispatch_id 0
		.amdhsa_user_sgpr_kernarg_preload_length 0
		.amdhsa_user_sgpr_kernarg_preload_offset 0
		.amdhsa_user_sgpr_private_segment_size 0
		.amdhsa_wavefront_size32 1
		.amdhsa_uses_dynamic_stack 0
		.amdhsa_enable_private_segment 0
		.amdhsa_system_sgpr_workgroup_id_x 1
		.amdhsa_system_sgpr_workgroup_id_y 1
		.amdhsa_system_sgpr_workgroup_id_z 1
		.amdhsa_system_sgpr_workgroup_info 0
		.amdhsa_system_vgpr_workitem_id 1
		.amdhsa_next_free_vgpr 50
		.amdhsa_next_free_sgpr 36
		.amdhsa_named_barrier_count 0
		.amdhsa_reserve_vcc 1
		.amdhsa_float_round_mode_32 0
		.amdhsa_float_round_mode_16_64 0
		.amdhsa_float_denorm_mode_32 3
		.amdhsa_float_denorm_mode_16_64 3
		.amdhsa_fp16_overflow 0
		.amdhsa_memory_ordered 1
		.amdhsa_forward_progress 1
		.amdhsa_inst_pref_size 13
		.amdhsa_round_robin_scheduling 0
		.amdhsa_exception_fp_ieee_invalid_op 0
		.amdhsa_exception_fp_denorm_src 0
		.amdhsa_exception_fp_ieee_div_zero 0
		.amdhsa_exception_fp_ieee_overflow 0
		.amdhsa_exception_fp_ieee_underflow 0
		.amdhsa_exception_fp_ieee_inexact 0
		.amdhsa_exception_int_div_zero 0
	.end_amdhsa_kernel
	.section	.text._ZL29rocblas_internal_gemmt_kernelIiLi16ELi32ELi8ELc78ELc84ELc85ELb0ELb0EdPKdS1_PdEviT_T9_T10_S3_lS5_S3_lS4_T11_S3_li,"axG",@progbits,_ZL29rocblas_internal_gemmt_kernelIiLi16ELi32ELi8ELc78ELc84ELc85ELb0ELb0EdPKdS1_PdEviT_T9_T10_S3_lS5_S3_lS4_T11_S3_li,comdat
.Lfunc_end37:
	.size	_ZL29rocblas_internal_gemmt_kernelIiLi16ELi32ELi8ELc78ELc84ELc85ELb0ELb0EdPKdS1_PdEviT_T9_T10_S3_lS5_S3_lS4_T11_S3_li, .Lfunc_end37-_ZL29rocblas_internal_gemmt_kernelIiLi16ELi32ELi8ELc78ELc84ELc85ELb0ELb0EdPKdS1_PdEviT_T9_T10_S3_lS5_S3_lS4_T11_S3_li
                                        ; -- End function
	.set _ZL29rocblas_internal_gemmt_kernelIiLi16ELi32ELi8ELc78ELc84ELc85ELb0ELb0EdPKdS1_PdEviT_T9_T10_S3_lS5_S3_lS4_T11_S3_li.num_vgpr, 50
	.set _ZL29rocblas_internal_gemmt_kernelIiLi16ELi32ELi8ELc78ELc84ELc85ELb0ELb0EdPKdS1_PdEviT_T9_T10_S3_lS5_S3_lS4_T11_S3_li.num_agpr, 0
	.set _ZL29rocblas_internal_gemmt_kernelIiLi16ELi32ELi8ELc78ELc84ELc85ELb0ELb0EdPKdS1_PdEviT_T9_T10_S3_lS5_S3_lS4_T11_S3_li.numbered_sgpr, 36
	.set _ZL29rocblas_internal_gemmt_kernelIiLi16ELi32ELi8ELc78ELc84ELc85ELb0ELb0EdPKdS1_PdEviT_T9_T10_S3_lS5_S3_lS4_T11_S3_li.num_named_barrier, 0
	.set _ZL29rocblas_internal_gemmt_kernelIiLi16ELi32ELi8ELc78ELc84ELc85ELb0ELb0EdPKdS1_PdEviT_T9_T10_S3_lS5_S3_lS4_T11_S3_li.private_seg_size, 0
	.set _ZL29rocblas_internal_gemmt_kernelIiLi16ELi32ELi8ELc78ELc84ELc85ELb0ELb0EdPKdS1_PdEviT_T9_T10_S3_lS5_S3_lS4_T11_S3_li.uses_vcc, 1
	.set _ZL29rocblas_internal_gemmt_kernelIiLi16ELi32ELi8ELc78ELc84ELc85ELb0ELb0EdPKdS1_PdEviT_T9_T10_S3_lS5_S3_lS4_T11_S3_li.uses_flat_scratch, 0
	.set _ZL29rocblas_internal_gemmt_kernelIiLi16ELi32ELi8ELc78ELc84ELc85ELb0ELb0EdPKdS1_PdEviT_T9_T10_S3_lS5_S3_lS4_T11_S3_li.has_dyn_sized_stack, 0
	.set _ZL29rocblas_internal_gemmt_kernelIiLi16ELi32ELi8ELc78ELc84ELc85ELb0ELb0EdPKdS1_PdEviT_T9_T10_S3_lS5_S3_lS4_T11_S3_li.has_recursion, 0
	.set _ZL29rocblas_internal_gemmt_kernelIiLi16ELi32ELi8ELc78ELc84ELc85ELb0ELb0EdPKdS1_PdEviT_T9_T10_S3_lS5_S3_lS4_T11_S3_li.has_indirect_call, 0
	.section	.AMDGPU.csdata,"",@progbits
; Kernel info:
; codeLenInByte = 1660
; TotalNumSgprs: 38
; NumVgprs: 50
; ScratchSize: 0
; MemoryBound: 0
; FloatMode: 240
; IeeeMode: 1
; LDSByteSize: 4096 bytes/workgroup (compile time only)
; SGPRBlocks: 0
; VGPRBlocks: 3
; NumSGPRsForWavesPerEU: 38
; NumVGPRsForWavesPerEU: 50
; NamedBarCnt: 0
; Occupancy: 16
; WaveLimiterHint : 0
; COMPUTE_PGM_RSRC2:SCRATCH_EN: 0
; COMPUTE_PGM_RSRC2:USER_SGPR: 2
; COMPUTE_PGM_RSRC2:TRAP_HANDLER: 0
; COMPUTE_PGM_RSRC2:TGID_X_EN: 1
; COMPUTE_PGM_RSRC2:TGID_Y_EN: 1
; COMPUTE_PGM_RSRC2:TGID_Z_EN: 1
; COMPUTE_PGM_RSRC2:TIDIG_COMP_CNT: 1
	.section	.text._ZL29rocblas_internal_gemmt_kernelIiLi16ELi32ELi8ELc78ELc67ELc85ELb0ELb0EdPKdS1_PdEviT_T9_T10_S3_lS5_S3_lS4_T11_S3_li,"axG",@progbits,_ZL29rocblas_internal_gemmt_kernelIiLi16ELi32ELi8ELc78ELc67ELc85ELb0ELb0EdPKdS1_PdEviT_T9_T10_S3_lS5_S3_lS4_T11_S3_li,comdat
	.globl	_ZL29rocblas_internal_gemmt_kernelIiLi16ELi32ELi8ELc78ELc67ELc85ELb0ELb0EdPKdS1_PdEviT_T9_T10_S3_lS5_S3_lS4_T11_S3_li ; -- Begin function _ZL29rocblas_internal_gemmt_kernelIiLi16ELi32ELi8ELc78ELc67ELc85ELb0ELb0EdPKdS1_PdEviT_T9_T10_S3_lS5_S3_lS4_T11_S3_li
	.p2align	8
	.type	_ZL29rocblas_internal_gemmt_kernelIiLi16ELi32ELi8ELc78ELc67ELc85ELb0ELb0EdPKdS1_PdEviT_T9_T10_S3_lS5_S3_lS4_T11_S3_li,@function
_ZL29rocblas_internal_gemmt_kernelIiLi16ELi32ELi8ELc78ELc67ELc85ELb0ELb0EdPKdS1_PdEviT_T9_T10_S3_lS5_S3_lS4_T11_S3_li: ; @_ZL29rocblas_internal_gemmt_kernelIiLi16ELi32ELi8ELc78ELc67ELc85ELb0ELb0EdPKdS1_PdEviT_T9_T10_S3_lS5_S3_lS4_T11_S3_li
; %bb.0:
	s_load_b128 s[4:7], s[0:1], 0x38
	s_wait_kmcnt 0x0
	s_load_b64 s[20:21], s[6:7], 0x0
	s_load_b128 s[8:11], s[0:1], 0x8
	s_wait_xcnt 0x0
	s_load_b64 s[6:7], s[0:1], 0x0
	s_wait_kmcnt 0x0
	s_load_b64 s[22:23], s[8:9], 0x0
	v_cmp_neq_f64_e64 s2, s[20:21], 1.0
	s_and_b32 vcc_lo, exec_lo, s2
	s_cbranch_vccnz .LBB38_2
; %bb.1:
	s_wait_kmcnt 0x0
	v_cmp_neq_f64_e64 s2, s[22:23], 0
	s_cmp_lg_u32 s7, 0
	s_cselect_b32 s3, -1, 0
	s_delay_alu instid0(SALU_CYCLE_1)
	s_and_b32 s2, s3, s2
.LBB38_2:
	s_delay_alu instid0(SALU_CYCLE_1)
	s_and_not1_b32 vcc_lo, exec_lo, s2
	s_cbranch_vccnz .LBB38_33
; %bb.3:
	s_load_b32 s19, s[0:1], 0x60
	s_bfe_u32 s2, ttmp6, 0x40014
	s_lshr_b32 s3, ttmp7, 16
	s_add_co_i32 s2, s2, 1
	s_wait_xcnt 0x0
	s_bfe_u32 s9, ttmp6, 0x40008
	s_mul_i32 s8, s3, s2
	s_getreg_b32 s2, hwreg(HW_REG_IB_STS2, 6, 4)
	s_add_co_i32 s9, s9, s8
	s_cmp_eq_u32 s2, 0
	s_cselect_b32 s8, s3, s9
	s_mov_b32 s9, 0
	s_wait_kmcnt 0x0
	s_cmp_ge_u32 s8, s19
	s_cbranch_scc1 .LBB38_33
; %bb.4:
	s_clause 0x4
	s_load_b32 s26, s[0:1], 0x18
	s_load_b32 s28, s[0:1], 0x30
	s_load_b96 s[16:18], s[0:1], 0x48
	s_load_b128 s[12:15], s[0:1], 0x20
	s_load_b64 s[24:25], s[0:1], 0x58
	s_wait_xcnt 0x0
	s_bfe_u32 s1, ttmp6, 0x4000c
	s_bfe_u32 s27, ttmp6, 0x40010
	v_and_b32_e32 v5, 0x3ff, v0
	v_bfe_u32 v11, v0, 10, 10
	s_and_b32 s3, ttmp7, 0xffff
	s_add_co_i32 s1, s1, 1
	s_add_co_i32 s33, s27, 1
	s_and_b32 s0, ttmp6, 15
	s_mul_i32 s1, ttmp9, s1
	v_lshl_add_u32 v1, v11, 4, v5
	s_add_co_i32 s0, s0, s1
	v_and_b32_e32 v0, 7, v0
	v_cmp_neq_f64_e64 s34, s[22:23], 0
	v_lshl_add_u32 v33, v11, 6, 0x800
	v_dual_lshrrev_b32 v4, 3, v1 :: v_dual_bitop2_b32 v6, 31, v1 bitop3:0x40
	s_wait_kmcnt 0x0
	s_ashr_i32 s27, s26, 31
	s_ashr_i32 s31, s18, 31
	s_mov_b32 s30, s18
	s_mul_i32 s18, s3, s33
	s_bfe_u32 s33, ttmp6, 0x40004
	s_ashr_i32 s29, s28, 31
	s_add_co_i32 s33, s33, s18
	s_cmp_eq_u32 s2, 0
	v_lshrrev_b32_e32 v2, 5, v1
	s_cselect_b32 s0, ttmp9, s0
	s_cselect_b32 s1, s3, s33
	s_lshl_b32 s2, s0, 5
	s_delay_alu instid0(SALU_CYCLE_1) | instskip(SKIP_2) | instid1(VALU_DEP_2)
	v_dual_mov_b32 v3, 0 :: v_dual_bitop2_b32 v12, s2, v6 bitop3:0x54
	s_lshl_b32 s0, s1, 5
	v_cmp_neq_f64_e64 s18, s[20:21], 0
	v_dual_mov_b32 v1, v3 :: v_dual_add_nc_u32 v14, s0, v4
	v_add_nc_u32_e32 v16, s0, v11
	v_mul_u64_e32 v[18:19], s[26:27], v[2:3]
	v_lshlrev_b32_e32 v3, 3, v6
	s_delay_alu instid0(VALU_DEP_4) | instskip(SKIP_4) | instid1(VALU_DEP_3)
	v_ashrrev_i32_e32 v15, 31, v14
	v_mul_u64_e32 v[20:21], s[28:29], v[0:1]
	v_dual_add_nc_u32 v22, 16, v16 :: v_dual_ashrrev_i32 v17, 31, v16
	v_lshlrev_b32_e32 v6, 3, v0
	v_lshl_or_b32 v1, v2, 8, v3
	v_dual_lshlrev_b32 v32, 3, v5 :: v_dual_ashrrev_i32 v23, 31, v22
	v_cmp_gt_i32_e64 s0, s6, v12
	s_delay_alu instid0(VALU_DEP_4)
	v_lshl_or_b32 v3, v4, 6, v6
	v_mul_u64_e32 v[6:7], s[30:31], v[16:17]
	v_add_nc_u32_e32 v4, s2, v5
	v_mul_u64_e32 v[8:9], s[30:31], v[22:23]
	v_cmp_gt_i32_e64 s1, s6, v14
	v_lshlrev_b64_e32 v[14:15], 3, v[14:15]
	v_cmp_gt_i32_e32 vcc_lo, s6, v16
	v_add_nc_u32_e32 v10, 16, v4
	v_ashrrev_i32_e32 v13, 31, v12
	v_cmp_le_i32_e64 s2, v4, v16
	s_cmp_gt_i32 s7, 0
	v_add_nc_u32_e32 v3, 0x800, v3
	v_ashrrev_i32_e32 v11, 31, v10
	v_lshlrev_b64_e32 v[12:13], 3, v[12:13]
	v_cmp_le_i32_e64 s3, v10, v16
	s_cselect_b32 s35, -1, 0
	s_and_b32 s30, vcc_lo, s2
	v_cmp_le_i32_e64 s2, v4, v22
	v_ashrrev_i32_e32 v5, 31, v4
	s_and_b32 s31, vcc_lo, s3
	v_cmp_gt_i32_e32 vcc_lo, s6, v22
	v_lshl_add_u64 v[12:13], v[18:19], 3, v[12:13]
	v_cmp_le_i32_e64 s3, v10, v22
	s_and_b32 s34, s34, s35
	v_lshl_add_u64 v[14:15], v[20:21], 3, v[14:15]
	s_and_b32 s6, vcc_lo, s2
	v_add_nc_u64_e32 v[12:13], s[10:11], v[12:13]
	s_and_b32 s33, vcc_lo, s3
	s_lshl_b64 s[2:3], s[12:13], 3
	v_add_nc_u64_e32 v[14:15], s[14:15], v[14:15]
	s_lshl_b64 s[10:11], s[26:27], 6
	s_lshl_b64 s[4:5], s[4:5], 3
	;; [unrolled: 1-line block ×3, first 2 shown]
	s_branch .LBB38_6
.LBB38_5:                               ;   in Loop: Header=BB38_6 Depth=1
	s_wait_xcnt 0x0
	s_or_b32 exec_lo, exec_lo, s14
	s_add_co_i32 s8, s8, 0x10000
	s_delay_alu instid0(SALU_CYCLE_1)
	s_cmp_lt_u32 s8, s19
	s_cbranch_scc0 .LBB38_33
.LBB38_6:                               ; =>This Loop Header: Depth=1
                                        ;     Child Loop BB38_9 Depth 2
	v_mov_b64_e32 v[22:23], 0
	v_mov_b64_e32 v[20:21], 0
	;; [unrolled: 1-line block ×4, first 2 shown]
	s_and_not1_b32 vcc_lo, exec_lo, s34
	s_cbranch_vccnz .LBB38_13
; %bb.7:                                ;   in Loop: Header=BB38_6 Depth=1
	v_mad_nc_u64_u32 v[24:25], s2, s8, v[12:13]
	v_mad_nc_u64_u32 v[26:27], s4, s8, v[14:15]
	v_mov_b64_e32 v[16:17], 0
	v_mov_b64_e32 v[18:19], 0
	;; [unrolled: 1-line block ×4, first 2 shown]
	s_mov_b32 s14, 0
	v_mad_u32 v25, s3, s8, v25
	v_mad_u32 v27, s5, s8, v27
	s_branch .LBB38_9
.LBB38_8:                               ;   in Loop: Header=BB38_9 Depth=2
	s_wait_xcnt 0x0
	s_or_b32 exec_lo, exec_lo, s15
	s_wait_loadcnt 0x0
	ds_store_b64 v3, v[30:31]
	s_wait_dscnt 0x0
	s_barrier_signal -1
	s_barrier_wait -1
	ds_load_b128 v[28:31], v33
	ds_load_2addr_b64 v[34:37], v32 offset1:16
	ds_load_b128 v[38:41], v33 offset:1024
	ds_load_b128 v[42:45], v33 offset:16
	ds_load_b128 v[46:49], v33 offset:1040
	v_add_nc_u64_e32 v[24:25], s[10:11], v[24:25]
	v_add_nc_u64_e32 v[26:27], s[12:13], v[26:27]
	s_add_co_i32 s14, s14, 8
	s_delay_alu instid0(SALU_CYCLE_1)
	s_cmp_lt_i32 s14, s7
	s_wait_dscnt 0x3
	v_fmac_f64_e32 v[22:23], v[34:35], v[28:29]
	v_fmac_f64_e32 v[20:21], v[36:37], v[28:29]
	s_wait_dscnt 0x2
	v_fmac_f64_e32 v[18:19], v[34:35], v[38:39]
	v_fmac_f64_e32 v[16:17], v[36:37], v[38:39]
	ds_load_2addr_b64 v[34:37], v32 offset0:32 offset1:48
	s_wait_dscnt 0x0
	v_fmac_f64_e32 v[22:23], v[34:35], v[30:31]
	v_fmac_f64_e32 v[20:21], v[36:37], v[30:31]
	v_fmac_f64_e32 v[18:19], v[34:35], v[40:41]
	v_fmac_f64_e32 v[16:17], v[36:37], v[40:41]
	ds_load_2addr_b64 v[28:31], v32 offset0:64 offset1:80
	s_wait_dscnt 0x0
	v_fmac_f64_e32 v[22:23], v[28:29], v[42:43]
	v_fmac_f64_e32 v[20:21], v[30:31], v[42:43]
	;; [unrolled: 6-line block ×3, first 2 shown]
	v_fmac_f64_e32 v[18:19], v[28:29], v[48:49]
	v_fmac_f64_e32 v[16:17], v[30:31], v[48:49]
	ds_load_b128 v[28:31], v33 offset:32
	ds_load_2addr_b64 v[34:37], v32 offset0:128 offset1:144
	ds_load_b128 v[38:41], v33 offset:1056
	ds_load_b128 v[42:45], v33 offset:48
	;; [unrolled: 1-line block ×3, first 2 shown]
	s_wait_dscnt 0x3
	v_fmac_f64_e32 v[22:23], v[34:35], v[28:29]
	v_fmac_f64_e32 v[20:21], v[36:37], v[28:29]
	s_wait_dscnt 0x2
	v_fmac_f64_e32 v[18:19], v[34:35], v[38:39]
	v_fmac_f64_e32 v[16:17], v[36:37], v[38:39]
	ds_load_2addr_b64 v[34:37], v32 offset0:160 offset1:176
	s_wait_dscnt 0x0
	v_fmac_f64_e32 v[22:23], v[34:35], v[30:31]
	v_fmac_f64_e32 v[20:21], v[36:37], v[30:31]
	;; [unrolled: 1-line block ×4, first 2 shown]
	ds_load_2addr_b64 v[28:31], v32 offset0:192 offset1:208
	s_wait_dscnt 0x0
	v_fmac_f64_e32 v[22:23], v[28:29], v[42:43]
	v_fmac_f64_e32 v[20:21], v[30:31], v[42:43]
	;; [unrolled: 1-line block ×4, first 2 shown]
	ds_load_2addr_b64 v[28:31], v32 offset0:224 offset1:240
	s_wait_dscnt 0x0
	s_barrier_signal -1
	s_barrier_wait -1
	v_fmac_f64_e32 v[22:23], v[28:29], v[44:45]
	v_fmac_f64_e32 v[20:21], v[30:31], v[44:45]
	;; [unrolled: 1-line block ×4, first 2 shown]
	s_cbranch_scc0 .LBB38_13
.LBB38_9:                               ;   Parent Loop BB38_6 Depth=1
                                        ; =>  This Inner Loop Header: Depth=2
	v_add_nc_u32_e32 v28, s14, v2
	s_delay_alu instid0(VALU_DEP_1) | instskip(SKIP_2) | instid1(SALU_CYCLE_1)
	v_cmp_gt_i32_e32 vcc_lo, s7, v28
	v_mov_b64_e32 v[28:29], 0
	s_and_b32 s26, s0, vcc_lo
	s_and_saveexec_b32 s15, s26
	s_cbranch_execz .LBB38_11
; %bb.10:                               ;   in Loop: Header=BB38_9 Depth=2
	global_load_b64 v[28:29], v[24:25], off
.LBB38_11:                              ;   in Loop: Header=BB38_9 Depth=2
	s_wait_xcnt 0x0
	s_or_b32 exec_lo, exec_lo, s15
	v_add_nc_u32_e32 v30, s14, v0
	s_wait_loadcnt 0x0
	ds_store_b64 v1, v[28:29]
	v_cmp_gt_i32_e32 vcc_lo, s7, v30
	v_mov_b64_e32 v[30:31], 0
	s_and_b32 s26, vcc_lo, s1
	s_delay_alu instid0(SALU_CYCLE_1)
	s_and_saveexec_b32 s15, s26
	s_cbranch_execz .LBB38_8
; %bb.12:                               ;   in Loop: Header=BB38_9 Depth=2
	global_load_b64 v[30:31], v[26:27], off
	s_branch .LBB38_8
.LBB38_13:                              ;   in Loop: Header=BB38_6 Depth=1
	s_mul_u64 s[14:15], s[24:25], s[8:9]
	s_delay_alu instid0(SALU_CYCLE_1) | instskip(NEXT) | instid1(SALU_CYCLE_1)
	s_lshl_b64 s[14:15], s[14:15], 3
	s_add_nc_u64 s[14:15], s[16:17], s[14:15]
	s_delay_alu instid0(SALU_CYCLE_1)
	v_lshl_add_u64 v[24:25], v[6:7], 3, s[14:15]
	s_and_saveexec_b32 s26, s30
	s_cbranch_execz .LBB38_17
; %bb.14:                               ;   in Loop: Header=BB38_6 Depth=1
	v_mul_f64_e32 v[22:23], s[22:23], v[22:23]
	s_delay_alu instid0(VALU_DEP_2)
	v_lshl_add_u64 v[26:27], v[4:5], 3, v[24:25]
	s_and_b32 vcc_lo, exec_lo, s18
	s_cbranch_vccz .LBB38_28
; %bb.15:                               ;   in Loop: Header=BB38_6 Depth=1
	global_load_b64 v[28:29], v[26:27], off
	s_wait_loadcnt 0x0
	v_fma_f64 v[28:29], s[20:21], v[28:29], v[22:23]
	global_store_b64 v[26:27], v[28:29], off
	s_cbranch_execnz .LBB38_17
.LBB38_16:                              ;   in Loop: Header=BB38_6 Depth=1
	global_store_b64 v[26:27], v[22:23], off
.LBB38_17:                              ;   in Loop: Header=BB38_6 Depth=1
	s_wait_xcnt 0x0
	s_or_b32 exec_lo, exec_lo, s26
	s_and_saveexec_b32 s26, s31
	s_cbranch_execz .LBB38_21
; %bb.18:                               ;   in Loop: Header=BB38_6 Depth=1
	s_delay_alu instid0(VALU_DEP_4)
	v_mul_f64_e32 v[20:21], s[22:23], v[20:21]
	v_lshl_add_u64 v[22:23], v[10:11], 3, v[24:25]
	s_and_not1_b32 vcc_lo, exec_lo, s18
	s_cbranch_vccnz .LBB38_29
; %bb.19:                               ;   in Loop: Header=BB38_6 Depth=1
	global_load_b64 v[24:25], v[22:23], off
	s_wait_loadcnt 0x0
	v_fma_f64 v[24:25], s[20:21], v[24:25], v[20:21]
	global_store_b64 v[22:23], v[24:25], off
	s_cbranch_execnz .LBB38_21
.LBB38_20:                              ;   in Loop: Header=BB38_6 Depth=1
	global_store_b64 v[22:23], v[20:21], off
.LBB38_21:                              ;   in Loop: Header=BB38_6 Depth=1
	s_wait_xcnt 0x0
	s_or_b32 exec_lo, exec_lo, s26
	v_lshl_add_u64 v[20:21], v[8:9], 3, s[14:15]
	s_and_saveexec_b32 s14, s6
	s_cbranch_execz .LBB38_25
; %bb.22:                               ;   in Loop: Header=BB38_6 Depth=1
	s_delay_alu instid0(VALU_DEP_4) | instskip(NEXT) | instid1(VALU_DEP_2)
	v_mul_f64_e32 v[18:19], s[22:23], v[18:19]
	v_lshl_add_u64 v[22:23], v[4:5], 3, v[20:21]
	s_and_not1_b32 vcc_lo, exec_lo, s18
	s_cbranch_vccnz .LBB38_30
; %bb.23:                               ;   in Loop: Header=BB38_6 Depth=1
	global_load_b64 v[24:25], v[22:23], off
	s_wait_loadcnt 0x0
	v_fma_f64 v[24:25], s[20:21], v[24:25], v[18:19]
	global_store_b64 v[22:23], v[24:25], off
	s_cbranch_execnz .LBB38_25
.LBB38_24:                              ;   in Loop: Header=BB38_6 Depth=1
	global_store_b64 v[22:23], v[18:19], off
.LBB38_25:                              ;   in Loop: Header=BB38_6 Depth=1
	s_wait_xcnt 0x0
	s_or_b32 exec_lo, exec_lo, s14
	s_and_saveexec_b32 s14, s33
	s_cbranch_execz .LBB38_5
; %bb.26:                               ;   in Loop: Header=BB38_6 Depth=1
	s_delay_alu instid0(VALU_DEP_3)
	v_mul_f64_e32 v[16:17], s[22:23], v[16:17]
	v_lshl_add_u64 v[18:19], v[10:11], 3, v[20:21]
	s_and_not1_b32 vcc_lo, exec_lo, s18
	s_cbranch_vccnz .LBB38_31
; %bb.27:                               ;   in Loop: Header=BB38_6 Depth=1
	global_load_b64 v[20:21], v[18:19], off
	s_wait_loadcnt 0x0
	v_fma_f64 v[20:21], s[20:21], v[20:21], v[16:17]
	global_store_b64 v[18:19], v[20:21], off
	s_cbranch_execnz .LBB38_5
	s_branch .LBB38_32
.LBB38_28:                              ;   in Loop: Header=BB38_6 Depth=1
	s_branch .LBB38_16
.LBB38_29:                              ;   in Loop: Header=BB38_6 Depth=1
	s_branch .LBB38_20
.LBB38_30:                              ;   in Loop: Header=BB38_6 Depth=1
	s_branch .LBB38_24
.LBB38_31:                              ;   in Loop: Header=BB38_6 Depth=1
.LBB38_32:                              ;   in Loop: Header=BB38_6 Depth=1
	global_store_b64 v[18:19], v[16:17], off
	s_branch .LBB38_5
.LBB38_33:
	s_endpgm
	.section	.rodata,"a",@progbits
	.p2align	6, 0x0
	.amdhsa_kernel _ZL29rocblas_internal_gemmt_kernelIiLi16ELi32ELi8ELc78ELc67ELc85ELb0ELb0EdPKdS1_PdEviT_T9_T10_S3_lS5_S3_lS4_T11_S3_li
		.amdhsa_group_segment_fixed_size 4096
		.amdhsa_private_segment_fixed_size 0
		.amdhsa_kernarg_size 100
		.amdhsa_user_sgpr_count 2
		.amdhsa_user_sgpr_dispatch_ptr 0
		.amdhsa_user_sgpr_queue_ptr 0
		.amdhsa_user_sgpr_kernarg_segment_ptr 1
		.amdhsa_user_sgpr_dispatch_id 0
		.amdhsa_user_sgpr_kernarg_preload_length 0
		.amdhsa_user_sgpr_kernarg_preload_offset 0
		.amdhsa_user_sgpr_private_segment_size 0
		.amdhsa_wavefront_size32 1
		.amdhsa_uses_dynamic_stack 0
		.amdhsa_enable_private_segment 0
		.amdhsa_system_sgpr_workgroup_id_x 1
		.amdhsa_system_sgpr_workgroup_id_y 1
		.amdhsa_system_sgpr_workgroup_id_z 1
		.amdhsa_system_sgpr_workgroup_info 0
		.amdhsa_system_vgpr_workitem_id 1
		.amdhsa_next_free_vgpr 50
		.amdhsa_next_free_sgpr 36
		.amdhsa_named_barrier_count 0
		.amdhsa_reserve_vcc 1
		.amdhsa_float_round_mode_32 0
		.amdhsa_float_round_mode_16_64 0
		.amdhsa_float_denorm_mode_32 3
		.amdhsa_float_denorm_mode_16_64 3
		.amdhsa_fp16_overflow 0
		.amdhsa_memory_ordered 1
		.amdhsa_forward_progress 1
		.amdhsa_inst_pref_size 13
		.amdhsa_round_robin_scheduling 0
		.amdhsa_exception_fp_ieee_invalid_op 0
		.amdhsa_exception_fp_denorm_src 0
		.amdhsa_exception_fp_ieee_div_zero 0
		.amdhsa_exception_fp_ieee_overflow 0
		.amdhsa_exception_fp_ieee_underflow 0
		.amdhsa_exception_fp_ieee_inexact 0
		.amdhsa_exception_int_div_zero 0
	.end_amdhsa_kernel
	.section	.text._ZL29rocblas_internal_gemmt_kernelIiLi16ELi32ELi8ELc78ELc67ELc85ELb0ELb0EdPKdS1_PdEviT_T9_T10_S3_lS5_S3_lS4_T11_S3_li,"axG",@progbits,_ZL29rocblas_internal_gemmt_kernelIiLi16ELi32ELi8ELc78ELc67ELc85ELb0ELb0EdPKdS1_PdEviT_T9_T10_S3_lS5_S3_lS4_T11_S3_li,comdat
.Lfunc_end38:
	.size	_ZL29rocblas_internal_gemmt_kernelIiLi16ELi32ELi8ELc78ELc67ELc85ELb0ELb0EdPKdS1_PdEviT_T9_T10_S3_lS5_S3_lS4_T11_S3_li, .Lfunc_end38-_ZL29rocblas_internal_gemmt_kernelIiLi16ELi32ELi8ELc78ELc67ELc85ELb0ELb0EdPKdS1_PdEviT_T9_T10_S3_lS5_S3_lS4_T11_S3_li
                                        ; -- End function
	.set _ZL29rocblas_internal_gemmt_kernelIiLi16ELi32ELi8ELc78ELc67ELc85ELb0ELb0EdPKdS1_PdEviT_T9_T10_S3_lS5_S3_lS4_T11_S3_li.num_vgpr, 50
	.set _ZL29rocblas_internal_gemmt_kernelIiLi16ELi32ELi8ELc78ELc67ELc85ELb0ELb0EdPKdS1_PdEviT_T9_T10_S3_lS5_S3_lS4_T11_S3_li.num_agpr, 0
	.set _ZL29rocblas_internal_gemmt_kernelIiLi16ELi32ELi8ELc78ELc67ELc85ELb0ELb0EdPKdS1_PdEviT_T9_T10_S3_lS5_S3_lS4_T11_S3_li.numbered_sgpr, 36
	.set _ZL29rocblas_internal_gemmt_kernelIiLi16ELi32ELi8ELc78ELc67ELc85ELb0ELb0EdPKdS1_PdEviT_T9_T10_S3_lS5_S3_lS4_T11_S3_li.num_named_barrier, 0
	.set _ZL29rocblas_internal_gemmt_kernelIiLi16ELi32ELi8ELc78ELc67ELc85ELb0ELb0EdPKdS1_PdEviT_T9_T10_S3_lS5_S3_lS4_T11_S3_li.private_seg_size, 0
	.set _ZL29rocblas_internal_gemmt_kernelIiLi16ELi32ELi8ELc78ELc67ELc85ELb0ELb0EdPKdS1_PdEviT_T9_T10_S3_lS5_S3_lS4_T11_S3_li.uses_vcc, 1
	.set _ZL29rocblas_internal_gemmt_kernelIiLi16ELi32ELi8ELc78ELc67ELc85ELb0ELb0EdPKdS1_PdEviT_T9_T10_S3_lS5_S3_lS4_T11_S3_li.uses_flat_scratch, 0
	.set _ZL29rocblas_internal_gemmt_kernelIiLi16ELi32ELi8ELc78ELc67ELc85ELb0ELb0EdPKdS1_PdEviT_T9_T10_S3_lS5_S3_lS4_T11_S3_li.has_dyn_sized_stack, 0
	.set _ZL29rocblas_internal_gemmt_kernelIiLi16ELi32ELi8ELc78ELc67ELc85ELb0ELb0EdPKdS1_PdEviT_T9_T10_S3_lS5_S3_lS4_T11_S3_li.has_recursion, 0
	.set _ZL29rocblas_internal_gemmt_kernelIiLi16ELi32ELi8ELc78ELc67ELc85ELb0ELb0EdPKdS1_PdEviT_T9_T10_S3_lS5_S3_lS4_T11_S3_li.has_indirect_call, 0
	.section	.AMDGPU.csdata,"",@progbits
; Kernel info:
; codeLenInByte = 1660
; TotalNumSgprs: 38
; NumVgprs: 50
; ScratchSize: 0
; MemoryBound: 0
; FloatMode: 240
; IeeeMode: 1
; LDSByteSize: 4096 bytes/workgroup (compile time only)
; SGPRBlocks: 0
; VGPRBlocks: 3
; NumSGPRsForWavesPerEU: 38
; NumVGPRsForWavesPerEU: 50
; NamedBarCnt: 0
; Occupancy: 16
; WaveLimiterHint : 0
; COMPUTE_PGM_RSRC2:SCRATCH_EN: 0
; COMPUTE_PGM_RSRC2:USER_SGPR: 2
; COMPUTE_PGM_RSRC2:TRAP_HANDLER: 0
; COMPUTE_PGM_RSRC2:TGID_X_EN: 1
; COMPUTE_PGM_RSRC2:TGID_Y_EN: 1
; COMPUTE_PGM_RSRC2:TGID_Z_EN: 1
; COMPUTE_PGM_RSRC2:TIDIG_COMP_CNT: 1
	.section	.text._ZL29rocblas_internal_gemmt_kernelIiLi16ELi32ELi8ELc84ELc78ELc85ELb0ELb0EdPKdS1_PdEviT_T9_T10_S3_lS5_S3_lS4_T11_S3_li,"axG",@progbits,_ZL29rocblas_internal_gemmt_kernelIiLi16ELi32ELi8ELc84ELc78ELc85ELb0ELb0EdPKdS1_PdEviT_T9_T10_S3_lS5_S3_lS4_T11_S3_li,comdat
	.globl	_ZL29rocblas_internal_gemmt_kernelIiLi16ELi32ELi8ELc84ELc78ELc85ELb0ELb0EdPKdS1_PdEviT_T9_T10_S3_lS5_S3_lS4_T11_S3_li ; -- Begin function _ZL29rocblas_internal_gemmt_kernelIiLi16ELi32ELi8ELc84ELc78ELc85ELb0ELb0EdPKdS1_PdEviT_T9_T10_S3_lS5_S3_lS4_T11_S3_li
	.p2align	8
	.type	_ZL29rocblas_internal_gemmt_kernelIiLi16ELi32ELi8ELc84ELc78ELc85ELb0ELb0EdPKdS1_PdEviT_T9_T10_S3_lS5_S3_lS4_T11_S3_li,@function
_ZL29rocblas_internal_gemmt_kernelIiLi16ELi32ELi8ELc84ELc78ELc85ELb0ELb0EdPKdS1_PdEviT_T9_T10_S3_lS5_S3_lS4_T11_S3_li: ; @_ZL29rocblas_internal_gemmt_kernelIiLi16ELi32ELi8ELc84ELc78ELc85ELb0ELb0EdPKdS1_PdEviT_T9_T10_S3_lS5_S3_lS4_T11_S3_li
; %bb.0:
	s_load_b128 s[8:11], s[0:1], 0x38
	s_wait_kmcnt 0x0
	s_load_b64 s[20:21], s[10:11], 0x0
	s_load_b128 s[4:7], s[0:1], 0x8
	s_wait_xcnt 0x0
	s_load_b64 s[10:11], s[0:1], 0x0
	s_wait_kmcnt 0x0
	s_load_b64 s[22:23], s[4:5], 0x0
	v_cmp_neq_f64_e64 s2, s[20:21], 1.0
	s_and_b32 vcc_lo, exec_lo, s2
	s_cbranch_vccnz .LBB39_2
; %bb.1:
	s_wait_kmcnt 0x0
	v_cmp_neq_f64_e64 s2, s[22:23], 0
	s_cmp_lg_u32 s11, 0
	s_cselect_b32 s3, -1, 0
	s_delay_alu instid0(SALU_CYCLE_1)
	s_and_b32 s2, s3, s2
.LBB39_2:
	s_delay_alu instid0(SALU_CYCLE_1)
	s_and_not1_b32 vcc_lo, exec_lo, s2
	s_cbranch_vccnz .LBB39_33
; %bb.3:
	s_load_b32 s19, s[0:1], 0x60
	s_bfe_u32 s2, ttmp6, 0x40014
	s_lshr_b32 s3, ttmp7, 16
	s_add_co_i32 s2, s2, 1
	s_wait_xcnt 0x0
	s_bfe_u32 s4, ttmp6, 0x40008
	s_mul_i32 s2, s3, s2
	s_getreg_b32 s28, hwreg(HW_REG_IB_STS2, 6, 4)
	s_add_co_i32 s4, s4, s2
	s_cmp_eq_u32 s28, 0
	s_mov_b32 s25, 0
	s_cselect_b32 s24, s3, s4
	s_wait_kmcnt 0x0
	s_cmp_ge_u32 s24, s19
	s_cbranch_scc1 .LBB39_33
; %bb.4:
	s_clause 0x3
	s_load_b32 s4, s[0:1], 0x18
	s_load_b32 s2, s[0:1], 0x30
	s_load_b96 s[16:18], s[0:1], 0x48
	s_load_b128 s[12:15], s[0:1], 0x20
	v_and_b32_e32 v5, 0x3ff, v0
	v_bfe_u32 v17, v0, 10, 10
	s_load_b64 s[26:27], s[0:1], 0x58
	s_wait_xcnt 0x0
	s_bfe_u32 s1, ttmp6, 0x4000c
	s_bfe_u32 s3, ttmp6, 0x40010
	s_and_b32 s30, ttmp7, 0xffff
	s_add_co_i32 s1, s1, 1
	s_add_co_i32 s3, s3, 1
	v_lshl_add_u32 v1, v17, 4, v5
	s_and_b32 s0, ttmp6, 15
	s_bfe_u32 s31, ttmp6, 0x40004
	s_mul_i32 s1, ttmp9, s1
	s_mul_i32 s33, s30, s3
	s_add_co_i32 s0, s0, s1
	s_add_co_i32 s31, s31, s33
	v_dual_lshrrev_b32 v4, 3, v1 :: v_dual_bitop2_b32 v18, 31, v1 bitop3:0x40
	s_wait_kmcnt 0x0
	s_ashr_i32 s5, s4, 31
	s_ashr_i32 s3, s2, 31
	;; [unrolled: 1-line block ×3, first 2 shown]
	s_cmp_eq_u32 s28, 0
	v_dual_lshrrev_b32 v28, 5, v1 :: v_dual_bitop2_b32 v29, 7, v0 bitop3:0x40
	s_cselect_b32 s0, ttmp9, s0
	s_cselect_b32 s1, s30, s31
	s_lshl_b32 s30, s0, 5
	s_lshl_b32 s0, s1, 5
	s_delay_alu instid0(SALU_CYCLE_1) | instskip(SKIP_2) | instid1(VALU_DEP_2)
	v_dual_add_nc_u32 v6, s0, v4 :: v_dual_bitop2_b32 v2, s30, v18 bitop3:0x54
	s_mov_b32 s28, s18
	v_add_nc_u32_e32 v8, s0, v17
	v_dual_lshlrev_b32 v16, 3, v29 :: v_dual_ashrrev_i32 v3, 31, v2
	s_delay_alu instid0(VALU_DEP_3) | instskip(SKIP_1) | instid1(VALU_DEP_4)
	v_ashrrev_i32_e32 v7, 31, v6
	v_cmp_neq_f64_e64 s31, s[22:23], 0
	v_dual_add_nc_u32 v14, 16, v8 :: v_dual_ashrrev_i32 v9, 31, v8
	s_delay_alu instid0(VALU_DEP_4) | instskip(NEXT) | instid1(VALU_DEP_4)
	v_mul_u64_e32 v[10:11], s[4:5], v[2:3]
	v_mul_u64_e32 v[12:13], s[2:3], v[6:7]
	v_cmp_gt_i32_e64 s0, s10, v2
	s_delay_alu instid0(VALU_DEP_4)
	v_ashrrev_i32_e32 v15, 31, v14
	v_dual_lshlrev_b32 v7, 3, v18 :: v_dual_lshlrev_b32 v32, 3, v5
	v_lshl_or_b32 v18, v4, 6, v16
	v_cmp_neq_f64_e64 s18, s[20:21], 0
	v_mul_u64_e32 v[0:1], s[28:29], v[8:9]
	v_add_nc_u32_e32 v4, s30, v5
	v_mul_u64_e32 v[2:3], s[28:29], v[14:15]
	v_cmp_gt_i32_e64 s1, s10, v6
	v_cmp_gt_i32_e32 vcc_lo, s10, v8
	s_delay_alu instid0(VALU_DEP_4)
	v_dual_mov_b32 v9, 0 :: v_dual_add_nc_u32 v6, 16, v4
	v_cmp_le_i32_e64 s2, v4, v8
	s_cmp_gt_i32 s11, 0
	v_lshl_add_u32 v33, v17, 6, 0x800
	s_cselect_b32 s5, -1, 0
	v_dual_ashrrev_i32 v5, 31, v4 :: v_dual_mov_b32 v17, v9
	s_and_b32 s28, vcc_lo, s2
	v_cmp_le_i32_e64 s2, v6, v8
	v_lshlrev_b32_e32 v8, 3, v28
	v_lshl_or_b32 v30, v28, 8, v7
	v_ashrrev_i32_e32 v7, 31, v6
	v_cmp_gt_i32_e64 s3, s10, v14
	v_cmp_le_i32_e64 s4, v4, v14
	s_and_b32 s10, vcc_lo, s2
	v_cmp_le_i32_e32 vcc_lo, v6, v14
	v_add_nc_u32_e32 v31, 0x800, v18
	v_lshl_add_u64 v[8:9], v[10:11], 3, v[8:9]
	v_lshl_add_u64 v[10:11], v[12:13], 3, v[16:17]
	s_and_b32 s29, s3, s4
	s_delay_alu instid0(VALU_DEP_2) | instskip(NEXT) | instid1(VALU_DEP_2)
	v_add_nc_u64_e32 v[8:9], s[6:7], v[8:9]
	v_add_nc_u64_e32 v[10:11], s[14:15], v[10:11]
	s_and_b32 s14, s31, s5
	s_and_b32 s15, s3, vcc_lo
	s_lshl_b64 s[2:3], s[12:13], 3
	s_lshl_b64 s[4:5], s[8:9], 3
	s_branch .LBB39_6
.LBB39_5:                               ;   in Loop: Header=BB39_6 Depth=1
	s_wait_xcnt 0x0
	s_or_b32 exec_lo, exec_lo, s6
	s_add_co_i32 s24, s24, 0x10000
	s_delay_alu instid0(SALU_CYCLE_1)
	s_cmp_lt_u32 s24, s19
	s_cbranch_scc0 .LBB39_33
.LBB39_6:                               ; =>This Loop Header: Depth=1
                                        ;     Child Loop BB39_9 Depth 2
	v_mov_b64_e32 v[18:19], 0
	v_mov_b64_e32 v[16:17], 0
	;; [unrolled: 1-line block ×4, first 2 shown]
	s_and_not1_b32 vcc_lo, exec_lo, s14
	s_cbranch_vccnz .LBB39_13
; %bb.7:                                ;   in Loop: Header=BB39_6 Depth=1
	v_mad_nc_u64_u32 v[20:21], s2, s24, v[8:9]
	v_mad_nc_u64_u32 v[22:23], s4, s24, v[10:11]
	v_mov_b64_e32 v[12:13], 0
	v_mov_b64_e32 v[14:15], 0
	;; [unrolled: 1-line block ×4, first 2 shown]
	s_mov_b32 s6, 0
	v_mad_u32 v21, s3, s24, v21
	v_mad_u32 v23, s5, s24, v23
	s_branch .LBB39_9
.LBB39_8:                               ;   in Loop: Header=BB39_9 Depth=2
	s_wait_xcnt 0x0
	s_or_b32 exec_lo, exec_lo, s7
	s_wait_loadcnt 0x0
	ds_store_b64 v31, v[26:27]
	s_wait_dscnt 0x0
	s_barrier_signal -1
	s_barrier_wait -1
	ds_load_b128 v[24:27], v33
	ds_load_2addr_b64 v[34:37], v32 offset1:16
	ds_load_b128 v[38:41], v33 offset:1024
	ds_load_b128 v[42:45], v33 offset:16
	;; [unrolled: 1-line block ×3, first 2 shown]
	v_add_nc_u64_e32 v[20:21], 64, v[20:21]
	v_add_nc_u64_e32 v[22:23], 64, v[22:23]
	s_add_co_i32 s6, s6, 8
	s_delay_alu instid0(SALU_CYCLE_1)
	s_cmp_lt_i32 s6, s11
	s_wait_dscnt 0x3
	v_fmac_f64_e32 v[18:19], v[34:35], v[24:25]
	v_fmac_f64_e32 v[16:17], v[36:37], v[24:25]
	s_wait_dscnt 0x2
	v_fmac_f64_e32 v[14:15], v[34:35], v[38:39]
	v_fmac_f64_e32 v[12:13], v[36:37], v[38:39]
	ds_load_2addr_b64 v[34:37], v32 offset0:32 offset1:48
	s_wait_dscnt 0x0
	v_fmac_f64_e32 v[18:19], v[34:35], v[26:27]
	v_fmac_f64_e32 v[16:17], v[36:37], v[26:27]
	v_fmac_f64_e32 v[14:15], v[34:35], v[40:41]
	v_fmac_f64_e32 v[12:13], v[36:37], v[40:41]
	ds_load_2addr_b64 v[24:27], v32 offset0:64 offset1:80
	s_wait_dscnt 0x0
	v_fmac_f64_e32 v[18:19], v[24:25], v[42:43]
	v_fmac_f64_e32 v[16:17], v[26:27], v[42:43]
	;; [unrolled: 6-line block ×3, first 2 shown]
	v_fmac_f64_e32 v[14:15], v[24:25], v[48:49]
	v_fmac_f64_e32 v[12:13], v[26:27], v[48:49]
	ds_load_b128 v[24:27], v33 offset:32
	ds_load_2addr_b64 v[34:37], v32 offset0:128 offset1:144
	ds_load_b128 v[38:41], v33 offset:1056
	ds_load_b128 v[42:45], v33 offset:48
	ds_load_b128 v[46:49], v33 offset:1072
	s_wait_dscnt 0x3
	v_fmac_f64_e32 v[18:19], v[34:35], v[24:25]
	v_fmac_f64_e32 v[16:17], v[36:37], v[24:25]
	s_wait_dscnt 0x2
	v_fmac_f64_e32 v[14:15], v[34:35], v[38:39]
	v_fmac_f64_e32 v[12:13], v[36:37], v[38:39]
	ds_load_2addr_b64 v[34:37], v32 offset0:160 offset1:176
	s_wait_dscnt 0x0
	v_fmac_f64_e32 v[18:19], v[34:35], v[26:27]
	v_fmac_f64_e32 v[16:17], v[36:37], v[26:27]
	;; [unrolled: 1-line block ×4, first 2 shown]
	ds_load_2addr_b64 v[24:27], v32 offset0:192 offset1:208
	s_wait_dscnt 0x0
	v_fmac_f64_e32 v[18:19], v[24:25], v[42:43]
	v_fmac_f64_e32 v[16:17], v[26:27], v[42:43]
	;; [unrolled: 1-line block ×4, first 2 shown]
	ds_load_2addr_b64 v[24:27], v32 offset0:224 offset1:240
	s_wait_dscnt 0x0
	s_barrier_signal -1
	s_barrier_wait -1
	v_fmac_f64_e32 v[18:19], v[24:25], v[44:45]
	v_fmac_f64_e32 v[16:17], v[26:27], v[44:45]
	;; [unrolled: 1-line block ×4, first 2 shown]
	s_cbranch_scc0 .LBB39_13
.LBB39_9:                               ;   Parent Loop BB39_6 Depth=1
                                        ; =>  This Inner Loop Header: Depth=2
	v_add_nc_u32_e32 v24, s6, v28
	s_delay_alu instid0(VALU_DEP_1) | instskip(SKIP_2) | instid1(SALU_CYCLE_1)
	v_cmp_gt_i32_e32 vcc_lo, s11, v24
	v_mov_b64_e32 v[24:25], 0
	s_and_b32 s8, s0, vcc_lo
	s_and_saveexec_b32 s7, s8
	s_cbranch_execz .LBB39_11
; %bb.10:                               ;   in Loop: Header=BB39_9 Depth=2
	global_load_b64 v[24:25], v[20:21], off
.LBB39_11:                              ;   in Loop: Header=BB39_9 Depth=2
	s_wait_xcnt 0x0
	s_or_b32 exec_lo, exec_lo, s7
	v_add_nc_u32_e32 v26, s6, v29
	s_wait_loadcnt 0x0
	ds_store_b64 v30, v[24:25]
	v_cmp_gt_i32_e32 vcc_lo, s11, v26
	v_mov_b64_e32 v[26:27], 0
	s_and_b32 s8, vcc_lo, s1
	s_delay_alu instid0(SALU_CYCLE_1)
	s_and_saveexec_b32 s7, s8
	s_cbranch_execz .LBB39_8
; %bb.12:                               ;   in Loop: Header=BB39_9 Depth=2
	global_load_b64 v[26:27], v[22:23], off
	s_branch .LBB39_8
.LBB39_13:                              ;   in Loop: Header=BB39_6 Depth=1
	s_mul_u64 s[6:7], s[26:27], s[24:25]
	s_delay_alu instid0(SALU_CYCLE_1) | instskip(NEXT) | instid1(SALU_CYCLE_1)
	s_lshl_b64 s[6:7], s[6:7], 3
	s_add_nc_u64 s[6:7], s[16:17], s[6:7]
	s_delay_alu instid0(SALU_CYCLE_1)
	v_lshl_add_u64 v[20:21], v[0:1], 3, s[6:7]
	s_and_saveexec_b32 s8, s28
	s_cbranch_execz .LBB39_17
; %bb.14:                               ;   in Loop: Header=BB39_6 Depth=1
	v_mul_f64_e32 v[18:19], s[22:23], v[18:19]
	s_delay_alu instid0(VALU_DEP_2)
	v_lshl_add_u64 v[22:23], v[4:5], 3, v[20:21]
	s_and_b32 vcc_lo, exec_lo, s18
	s_cbranch_vccz .LBB39_28
; %bb.15:                               ;   in Loop: Header=BB39_6 Depth=1
	global_load_b64 v[24:25], v[22:23], off
	s_wait_loadcnt 0x0
	v_fma_f64 v[24:25], s[20:21], v[24:25], v[18:19]
	global_store_b64 v[22:23], v[24:25], off
	s_cbranch_execnz .LBB39_17
.LBB39_16:                              ;   in Loop: Header=BB39_6 Depth=1
	global_store_b64 v[22:23], v[18:19], off
.LBB39_17:                              ;   in Loop: Header=BB39_6 Depth=1
	s_wait_xcnt 0x0
	s_or_b32 exec_lo, exec_lo, s8
	s_and_saveexec_b32 s8, s10
	s_cbranch_execz .LBB39_21
; %bb.18:                               ;   in Loop: Header=BB39_6 Depth=1
	s_delay_alu instid0(VALU_DEP_4)
	v_mul_f64_e32 v[16:17], s[22:23], v[16:17]
	v_lshl_add_u64 v[18:19], v[6:7], 3, v[20:21]
	s_and_not1_b32 vcc_lo, exec_lo, s18
	s_cbranch_vccnz .LBB39_29
; %bb.19:                               ;   in Loop: Header=BB39_6 Depth=1
	global_load_b64 v[20:21], v[18:19], off
	s_wait_loadcnt 0x0
	v_fma_f64 v[20:21], s[20:21], v[20:21], v[16:17]
	global_store_b64 v[18:19], v[20:21], off
	s_cbranch_execnz .LBB39_21
.LBB39_20:                              ;   in Loop: Header=BB39_6 Depth=1
	global_store_b64 v[18:19], v[16:17], off
.LBB39_21:                              ;   in Loop: Header=BB39_6 Depth=1
	s_wait_xcnt 0x0
	s_or_b32 exec_lo, exec_lo, s8
	v_lshl_add_u64 v[16:17], v[2:3], 3, s[6:7]
	s_and_saveexec_b32 s6, s29
	s_cbranch_execz .LBB39_25
; %bb.22:                               ;   in Loop: Header=BB39_6 Depth=1
	s_delay_alu instid0(VALU_DEP_4) | instskip(NEXT) | instid1(VALU_DEP_2)
	v_mul_f64_e32 v[14:15], s[22:23], v[14:15]
	v_lshl_add_u64 v[18:19], v[4:5], 3, v[16:17]
	s_and_not1_b32 vcc_lo, exec_lo, s18
	s_cbranch_vccnz .LBB39_30
; %bb.23:                               ;   in Loop: Header=BB39_6 Depth=1
	global_load_b64 v[20:21], v[18:19], off
	s_wait_loadcnt 0x0
	v_fma_f64 v[20:21], s[20:21], v[20:21], v[14:15]
	global_store_b64 v[18:19], v[20:21], off
	s_cbranch_execnz .LBB39_25
.LBB39_24:                              ;   in Loop: Header=BB39_6 Depth=1
	global_store_b64 v[18:19], v[14:15], off
.LBB39_25:                              ;   in Loop: Header=BB39_6 Depth=1
	s_wait_xcnt 0x0
	s_or_b32 exec_lo, exec_lo, s6
	s_and_saveexec_b32 s6, s15
	s_cbranch_execz .LBB39_5
; %bb.26:                               ;   in Loop: Header=BB39_6 Depth=1
	s_delay_alu instid0(VALU_DEP_3)
	v_mul_f64_e32 v[12:13], s[22:23], v[12:13]
	v_lshl_add_u64 v[14:15], v[6:7], 3, v[16:17]
	s_and_not1_b32 vcc_lo, exec_lo, s18
	s_cbranch_vccnz .LBB39_31
; %bb.27:                               ;   in Loop: Header=BB39_6 Depth=1
	global_load_b64 v[16:17], v[14:15], off
	s_wait_loadcnt 0x0
	v_fma_f64 v[16:17], s[20:21], v[16:17], v[12:13]
	global_store_b64 v[14:15], v[16:17], off
	s_cbranch_execnz .LBB39_5
	s_branch .LBB39_32
.LBB39_28:                              ;   in Loop: Header=BB39_6 Depth=1
	s_branch .LBB39_16
.LBB39_29:                              ;   in Loop: Header=BB39_6 Depth=1
	s_branch .LBB39_20
.LBB39_30:                              ;   in Loop: Header=BB39_6 Depth=1
	s_branch .LBB39_24
.LBB39_31:                              ;   in Loop: Header=BB39_6 Depth=1
.LBB39_32:                              ;   in Loop: Header=BB39_6 Depth=1
	global_store_b64 v[14:15], v[12:13], off
	s_branch .LBB39_5
.LBB39_33:
	s_endpgm
	.section	.rodata,"a",@progbits
	.p2align	6, 0x0
	.amdhsa_kernel _ZL29rocblas_internal_gemmt_kernelIiLi16ELi32ELi8ELc84ELc78ELc85ELb0ELb0EdPKdS1_PdEviT_T9_T10_S3_lS5_S3_lS4_T11_S3_li
		.amdhsa_group_segment_fixed_size 4096
		.amdhsa_private_segment_fixed_size 0
		.amdhsa_kernarg_size 100
		.amdhsa_user_sgpr_count 2
		.amdhsa_user_sgpr_dispatch_ptr 0
		.amdhsa_user_sgpr_queue_ptr 0
		.amdhsa_user_sgpr_kernarg_segment_ptr 1
		.amdhsa_user_sgpr_dispatch_id 0
		.amdhsa_user_sgpr_kernarg_preload_length 0
		.amdhsa_user_sgpr_kernarg_preload_offset 0
		.amdhsa_user_sgpr_private_segment_size 0
		.amdhsa_wavefront_size32 1
		.amdhsa_uses_dynamic_stack 0
		.amdhsa_enable_private_segment 0
		.amdhsa_system_sgpr_workgroup_id_x 1
		.amdhsa_system_sgpr_workgroup_id_y 1
		.amdhsa_system_sgpr_workgroup_id_z 1
		.amdhsa_system_sgpr_workgroup_info 0
		.amdhsa_system_vgpr_workitem_id 1
		.amdhsa_next_free_vgpr 50
		.amdhsa_next_free_sgpr 34
		.amdhsa_named_barrier_count 0
		.amdhsa_reserve_vcc 1
		.amdhsa_float_round_mode_32 0
		.amdhsa_float_round_mode_16_64 0
		.amdhsa_float_denorm_mode_32 3
		.amdhsa_float_denorm_mode_16_64 3
		.amdhsa_fp16_overflow 0
		.amdhsa_memory_ordered 1
		.amdhsa_forward_progress 1
		.amdhsa_inst_pref_size 14
		.amdhsa_round_robin_scheduling 0
		.amdhsa_exception_fp_ieee_invalid_op 0
		.amdhsa_exception_fp_denorm_src 0
		.amdhsa_exception_fp_ieee_div_zero 0
		.amdhsa_exception_fp_ieee_overflow 0
		.amdhsa_exception_fp_ieee_underflow 0
		.amdhsa_exception_fp_ieee_inexact 0
		.amdhsa_exception_int_div_zero 0
	.end_amdhsa_kernel
	.section	.text._ZL29rocblas_internal_gemmt_kernelIiLi16ELi32ELi8ELc84ELc78ELc85ELb0ELb0EdPKdS1_PdEviT_T9_T10_S3_lS5_S3_lS4_T11_S3_li,"axG",@progbits,_ZL29rocblas_internal_gemmt_kernelIiLi16ELi32ELi8ELc84ELc78ELc85ELb0ELb0EdPKdS1_PdEviT_T9_T10_S3_lS5_S3_lS4_T11_S3_li,comdat
.Lfunc_end39:
	.size	_ZL29rocblas_internal_gemmt_kernelIiLi16ELi32ELi8ELc84ELc78ELc85ELb0ELb0EdPKdS1_PdEviT_T9_T10_S3_lS5_S3_lS4_T11_S3_li, .Lfunc_end39-_ZL29rocblas_internal_gemmt_kernelIiLi16ELi32ELi8ELc84ELc78ELc85ELb0ELb0EdPKdS1_PdEviT_T9_T10_S3_lS5_S3_lS4_T11_S3_li
                                        ; -- End function
	.set _ZL29rocblas_internal_gemmt_kernelIiLi16ELi32ELi8ELc84ELc78ELc85ELb0ELb0EdPKdS1_PdEviT_T9_T10_S3_lS5_S3_lS4_T11_S3_li.num_vgpr, 50
	.set _ZL29rocblas_internal_gemmt_kernelIiLi16ELi32ELi8ELc84ELc78ELc85ELb0ELb0EdPKdS1_PdEviT_T9_T10_S3_lS5_S3_lS4_T11_S3_li.num_agpr, 0
	.set _ZL29rocblas_internal_gemmt_kernelIiLi16ELi32ELi8ELc84ELc78ELc85ELb0ELb0EdPKdS1_PdEviT_T9_T10_S3_lS5_S3_lS4_T11_S3_li.numbered_sgpr, 34
	.set _ZL29rocblas_internal_gemmt_kernelIiLi16ELi32ELi8ELc84ELc78ELc85ELb0ELb0EdPKdS1_PdEviT_T9_T10_S3_lS5_S3_lS4_T11_S3_li.num_named_barrier, 0
	.set _ZL29rocblas_internal_gemmt_kernelIiLi16ELi32ELi8ELc84ELc78ELc85ELb0ELb0EdPKdS1_PdEviT_T9_T10_S3_lS5_S3_lS4_T11_S3_li.private_seg_size, 0
	.set _ZL29rocblas_internal_gemmt_kernelIiLi16ELi32ELi8ELc84ELc78ELc85ELb0ELb0EdPKdS1_PdEviT_T9_T10_S3_lS5_S3_lS4_T11_S3_li.uses_vcc, 1
	.set _ZL29rocblas_internal_gemmt_kernelIiLi16ELi32ELi8ELc84ELc78ELc85ELb0ELb0EdPKdS1_PdEviT_T9_T10_S3_lS5_S3_lS4_T11_S3_li.uses_flat_scratch, 0
	.set _ZL29rocblas_internal_gemmt_kernelIiLi16ELi32ELi8ELc84ELc78ELc85ELb0ELb0EdPKdS1_PdEviT_T9_T10_S3_lS5_S3_lS4_T11_S3_li.has_dyn_sized_stack, 0
	.set _ZL29rocblas_internal_gemmt_kernelIiLi16ELi32ELi8ELc84ELc78ELc85ELb0ELb0EdPKdS1_PdEviT_T9_T10_S3_lS5_S3_lS4_T11_S3_li.has_recursion, 0
	.set _ZL29rocblas_internal_gemmt_kernelIiLi16ELi32ELi8ELc84ELc78ELc85ELb0ELb0EdPKdS1_PdEviT_T9_T10_S3_lS5_S3_lS4_T11_S3_li.has_indirect_call, 0
	.section	.AMDGPU.csdata,"",@progbits
; Kernel info:
; codeLenInByte = 1672
; TotalNumSgprs: 36
; NumVgprs: 50
; ScratchSize: 0
; MemoryBound: 0
; FloatMode: 240
; IeeeMode: 1
; LDSByteSize: 4096 bytes/workgroup (compile time only)
; SGPRBlocks: 0
; VGPRBlocks: 3
; NumSGPRsForWavesPerEU: 36
; NumVGPRsForWavesPerEU: 50
; NamedBarCnt: 0
; Occupancy: 16
; WaveLimiterHint : 0
; COMPUTE_PGM_RSRC2:SCRATCH_EN: 0
; COMPUTE_PGM_RSRC2:USER_SGPR: 2
; COMPUTE_PGM_RSRC2:TRAP_HANDLER: 0
; COMPUTE_PGM_RSRC2:TGID_X_EN: 1
; COMPUTE_PGM_RSRC2:TGID_Y_EN: 1
; COMPUTE_PGM_RSRC2:TGID_Z_EN: 1
; COMPUTE_PGM_RSRC2:TIDIG_COMP_CNT: 1
	.section	.text._ZL29rocblas_internal_gemmt_kernelIiLi16ELi32ELi8ELc84ELc84ELc85ELb0ELb0EdPKdS1_PdEviT_T9_T10_S3_lS5_S3_lS4_T11_S3_li,"axG",@progbits,_ZL29rocblas_internal_gemmt_kernelIiLi16ELi32ELi8ELc84ELc84ELc85ELb0ELb0EdPKdS1_PdEviT_T9_T10_S3_lS5_S3_lS4_T11_S3_li,comdat
	.globl	_ZL29rocblas_internal_gemmt_kernelIiLi16ELi32ELi8ELc84ELc84ELc85ELb0ELb0EdPKdS1_PdEviT_T9_T10_S3_lS5_S3_lS4_T11_S3_li ; -- Begin function _ZL29rocblas_internal_gemmt_kernelIiLi16ELi32ELi8ELc84ELc84ELc85ELb0ELb0EdPKdS1_PdEviT_T9_T10_S3_lS5_S3_lS4_T11_S3_li
	.p2align	8
	.type	_ZL29rocblas_internal_gemmt_kernelIiLi16ELi32ELi8ELc84ELc84ELc85ELb0ELb0EdPKdS1_PdEviT_T9_T10_S3_lS5_S3_lS4_T11_S3_li,@function
_ZL29rocblas_internal_gemmt_kernelIiLi16ELi32ELi8ELc84ELc84ELc85ELb0ELb0EdPKdS1_PdEviT_T9_T10_S3_lS5_S3_lS4_T11_S3_li: ; @_ZL29rocblas_internal_gemmt_kernelIiLi16ELi32ELi8ELc84ELc84ELc85ELb0ELb0EdPKdS1_PdEviT_T9_T10_S3_lS5_S3_lS4_T11_S3_li
; %bb.0:
	s_load_b128 s[4:7], s[0:1], 0x38
	s_wait_kmcnt 0x0
	s_load_b64 s[20:21], s[6:7], 0x0
	s_load_b128 s[8:11], s[0:1], 0x8
	s_wait_xcnt 0x0
	s_load_b64 s[6:7], s[0:1], 0x0
	s_wait_kmcnt 0x0
	s_load_b64 s[22:23], s[8:9], 0x0
	v_cmp_neq_f64_e64 s2, s[20:21], 1.0
	s_and_b32 vcc_lo, exec_lo, s2
	s_cbranch_vccnz .LBB40_2
; %bb.1:
	s_wait_kmcnt 0x0
	v_cmp_neq_f64_e64 s2, s[22:23], 0
	s_cmp_lg_u32 s7, 0
	s_cselect_b32 s3, -1, 0
	s_delay_alu instid0(SALU_CYCLE_1)
	s_and_b32 s2, s3, s2
.LBB40_2:
	s_delay_alu instid0(SALU_CYCLE_1)
	s_and_not1_b32 vcc_lo, exec_lo, s2
	s_cbranch_vccnz .LBB40_33
; %bb.3:
	s_load_b32 s19, s[0:1], 0x60
	s_bfe_u32 s2, ttmp6, 0x40014
	s_lshr_b32 s3, ttmp7, 16
	s_add_co_i32 s2, s2, 1
	s_wait_xcnt 0x0
	s_bfe_u32 s8, ttmp6, 0x40008
	s_mul_i32 s2, s3, s2
	s_getreg_b32 s28, hwreg(HW_REG_IB_STS2, 6, 4)
	s_add_co_i32 s8, s8, s2
	s_cmp_eq_u32 s28, 0
	s_mov_b32 s9, 0
	s_cselect_b32 s8, s3, s8
	s_wait_kmcnt 0x0
	s_cmp_ge_u32 s8, s19
	s_cbranch_scc1 .LBB40_33
; %bb.4:
	s_clause 0x3
	s_load_b32 s2, s[0:1], 0x18
	s_load_b32 s26, s[0:1], 0x30
	s_load_b96 s[16:18], s[0:1], 0x48
	s_load_b128 s[12:15], s[0:1], 0x20
	v_and_b32_e32 v9, 0x3ff, v0
	v_bfe_u32 v10, v0, 10, 10
	s_load_b64 s[24:25], s[0:1], 0x58
	s_wait_xcnt 0x0
	s_bfe_u32 s1, ttmp6, 0x4000c
	s_bfe_u32 s3, ttmp6, 0x40010
	s_and_b32 s30, ttmp7, 0xffff
	s_add_co_i32 s1, s1, 1
	s_add_co_i32 s3, s3, 1
	v_lshl_add_u32 v1, v10, 4, v9
	s_and_b32 s0, ttmp6, 15
	s_mul_i32 s1, ttmp9, s1
	s_mul_i32 s31, s30, s3
	s_bfe_u32 s33, ttmp6, 0x40004
	s_add_co_i32 s0, s0, s1
	s_add_co_i32 s33, s33, s31
	v_dual_lshrrev_b32 v5, 3, v1 :: v_dual_bitop2_b32 v4, 31, v1 bitop3:0x40
	s_wait_kmcnt 0x0
	s_ashr_i32 s3, s2, 31
	s_ashr_i32 s27, s26, 31
	;; [unrolled: 1-line block ×3, first 2 shown]
	s_cmp_eq_u32 s28, 0
	v_dual_lshrrev_b32 v30, 5, v1 :: v_dual_bitop2_b32 v0, 7, v0 bitop3:0x40
	s_cselect_b32 s0, ttmp9, s0
	s_cselect_b32 s1, s30, s33
	s_lshl_b32 s30, s0, 5
	s_delay_alu instid0(SALU_CYCLE_1) | instskip(SKIP_2) | instid1(VALU_DEP_1)
	v_dual_mov_b32 v11, 0 :: v_dual_bitop2_b32 v2, s30, v4 bitop3:0x54
	s_lshl_b32 s0, s1, 5
	s_mov_b32 s28, s18
	v_dual_mov_b32 v1, v11 :: v_dual_add_nc_u32 v12, s0, v5
	v_add_nc_u32_e32 v14, s0, v10
	v_ashrrev_i32_e32 v3, 31, v2
	v_cmp_neq_f64_e64 s31, s[22:23], 0
	v_cmp_gt_i32_e64 s0, s6, v2
	v_mul_u64_e32 v[18:19], s[26:27], v[0:1]
	v_dual_add_nc_u32 v20, 16, v14 :: v_dual_lshlrev_b32 v1, 3, v0
	v_mul_u64_e32 v[16:17], s[2:3], v[2:3]
	v_dual_lshlrev_b32 v3, 3, v4 :: v_dual_ashrrev_i32 v15, 31, v14
	s_delay_alu instid0(VALU_DEP_3) | instskip(NEXT) | instid1(VALU_DEP_4)
	v_dual_ashrrev_i32 v21, 31, v20 :: v_dual_add_nc_u32 v2, s30, v9
	v_lshl_or_b32 v8, v5, 6, v1
	v_cmp_neq_f64_e64 s18, s[20:21], 0
	s_delay_alu instid0(VALU_DEP_4) | instskip(NEXT) | instid1(VALU_DEP_4)
	v_mul_u64_e32 v[4:5], s[28:29], v[14:15]
	v_mul_u64_e32 v[6:7], s[28:29], v[20:21]
	v_ashrrev_i32_e32 v13, 31, v12
	v_add_nc_u32_e32 v31, 0x800, v8
	v_add_nc_u32_e32 v8, 16, v2
	v_cmp_gt_i32_e64 s1, s6, v12
	v_lshl_add_u32 v33, v10, 6, 0x800
	v_lshlrev_b64_e32 v[12:13], 3, v[12:13]
	v_lshlrev_b32_e32 v10, 3, v30
	v_cmp_gt_i32_e32 vcc_lo, s6, v14
	v_cmp_le_i32_e64 s2, v2, v14
	v_lshlrev_b32_e32 v32, 3, v9
	v_cmp_le_i32_e64 s3, v8, v14
	v_ashrrev_i32_e32 v9, 31, v8
	s_cmp_gt_i32 s7, 0
	v_lshl_or_b32 v1, v30, 8, v3
	s_cselect_b32 s33, -1, 0
	s_and_b32 s28, vcc_lo, s2
	s_and_b32 s29, vcc_lo, s3
	v_cmp_gt_i32_e32 vcc_lo, s6, v20
	v_cmp_le_i32_e64 s2, v2, v20
	v_cmp_le_i32_e64 s3, v8, v20
	v_lshl_add_u64 v[12:13], v[18:19], 3, v[12:13]
	v_ashrrev_i32_e32 v3, 31, v2
	s_lshl_b64 s[4:5], s[4:5], 3
	v_lshl_add_u64 v[10:11], v[16:17], 3, v[10:11]
	s_and_b32 s6, vcc_lo, s2
	v_add_nc_u64_e32 v[12:13], s[14:15], v[12:13]
	s_and_b32 s30, vcc_lo, s3
	s_and_b32 s14, s31, s33
	v_add_nc_u64_e32 v[10:11], s[10:11], v[10:11]
	s_lshl_b64 s[2:3], s[12:13], 3
	s_lshl_b64 s[10:11], s[26:27], 6
	s_branch .LBB40_6
.LBB40_5:                               ;   in Loop: Header=BB40_6 Depth=1
	s_wait_xcnt 0x0
	s_or_b32 exec_lo, exec_lo, s12
	s_add_co_i32 s8, s8, 0x10000
	s_delay_alu instid0(SALU_CYCLE_1)
	s_cmp_lt_u32 s8, s19
	s_cbranch_scc0 .LBB40_33
.LBB40_6:                               ; =>This Loop Header: Depth=1
                                        ;     Child Loop BB40_9 Depth 2
	v_mov_b64_e32 v[20:21], 0
	v_mov_b64_e32 v[18:19], 0
	;; [unrolled: 1-line block ×4, first 2 shown]
	s_and_not1_b32 vcc_lo, exec_lo, s14
	s_cbranch_vccnz .LBB40_13
; %bb.7:                                ;   in Loop: Header=BB40_6 Depth=1
	v_mad_nc_u64_u32 v[22:23], s2, s8, v[10:11]
	v_mad_nc_u64_u32 v[24:25], s4, s8, v[12:13]
	v_mov_b64_e32 v[14:15], 0
	v_mov_b64_e32 v[16:17], 0
	;; [unrolled: 1-line block ×4, first 2 shown]
	s_mov_b32 s12, 0
	v_mad_u32 v23, s3, s8, v23
	v_mad_u32 v25, s5, s8, v25
	s_branch .LBB40_9
.LBB40_8:                               ;   in Loop: Header=BB40_9 Depth=2
	s_wait_xcnt 0x0
	s_or_b32 exec_lo, exec_lo, s13
	s_wait_loadcnt 0x0
	ds_store_b64 v31, v[28:29]
	s_wait_dscnt 0x0
	s_barrier_signal -1
	s_barrier_wait -1
	ds_load_b128 v[26:29], v33
	ds_load_2addr_b64 v[34:37], v32 offset1:16
	ds_load_b128 v[38:41], v33 offset:1024
	ds_load_b128 v[42:45], v33 offset:16
	;; [unrolled: 1-line block ×3, first 2 shown]
	v_add_nc_u64_e32 v[22:23], 64, v[22:23]
	v_add_nc_u64_e32 v[24:25], s[10:11], v[24:25]
	s_add_co_i32 s12, s12, 8
	s_delay_alu instid0(SALU_CYCLE_1)
	s_cmp_lt_i32 s12, s7
	s_wait_dscnt 0x3
	v_fmac_f64_e32 v[20:21], v[34:35], v[26:27]
	v_fmac_f64_e32 v[18:19], v[36:37], v[26:27]
	s_wait_dscnt 0x2
	v_fmac_f64_e32 v[16:17], v[34:35], v[38:39]
	v_fmac_f64_e32 v[14:15], v[36:37], v[38:39]
	ds_load_2addr_b64 v[34:37], v32 offset0:32 offset1:48
	s_wait_dscnt 0x0
	v_fmac_f64_e32 v[20:21], v[34:35], v[28:29]
	v_fmac_f64_e32 v[18:19], v[36:37], v[28:29]
	v_fmac_f64_e32 v[16:17], v[34:35], v[40:41]
	v_fmac_f64_e32 v[14:15], v[36:37], v[40:41]
	ds_load_2addr_b64 v[26:29], v32 offset0:64 offset1:80
	s_wait_dscnt 0x0
	v_fmac_f64_e32 v[20:21], v[26:27], v[42:43]
	v_fmac_f64_e32 v[18:19], v[28:29], v[42:43]
	;; [unrolled: 6-line block ×3, first 2 shown]
	v_fmac_f64_e32 v[16:17], v[26:27], v[48:49]
	v_fmac_f64_e32 v[14:15], v[28:29], v[48:49]
	ds_load_b128 v[26:29], v33 offset:32
	ds_load_2addr_b64 v[34:37], v32 offset0:128 offset1:144
	ds_load_b128 v[38:41], v33 offset:1056
	ds_load_b128 v[42:45], v33 offset:48
	;; [unrolled: 1-line block ×3, first 2 shown]
	s_wait_dscnt 0x3
	v_fmac_f64_e32 v[20:21], v[34:35], v[26:27]
	v_fmac_f64_e32 v[18:19], v[36:37], v[26:27]
	s_wait_dscnt 0x2
	v_fmac_f64_e32 v[16:17], v[34:35], v[38:39]
	v_fmac_f64_e32 v[14:15], v[36:37], v[38:39]
	ds_load_2addr_b64 v[34:37], v32 offset0:160 offset1:176
	s_wait_dscnt 0x0
	v_fmac_f64_e32 v[20:21], v[34:35], v[28:29]
	v_fmac_f64_e32 v[18:19], v[36:37], v[28:29]
	;; [unrolled: 1-line block ×4, first 2 shown]
	ds_load_2addr_b64 v[26:29], v32 offset0:192 offset1:208
	s_wait_dscnt 0x0
	v_fmac_f64_e32 v[20:21], v[26:27], v[42:43]
	v_fmac_f64_e32 v[18:19], v[28:29], v[42:43]
	;; [unrolled: 1-line block ×4, first 2 shown]
	ds_load_2addr_b64 v[26:29], v32 offset0:224 offset1:240
	s_wait_dscnt 0x0
	s_barrier_signal -1
	s_barrier_wait -1
	v_fmac_f64_e32 v[20:21], v[26:27], v[44:45]
	v_fmac_f64_e32 v[18:19], v[28:29], v[44:45]
	;; [unrolled: 1-line block ×4, first 2 shown]
	s_cbranch_scc0 .LBB40_13
.LBB40_9:                               ;   Parent Loop BB40_6 Depth=1
                                        ; =>  This Inner Loop Header: Depth=2
	v_add_nc_u32_e32 v26, s12, v30
	s_delay_alu instid0(VALU_DEP_1) | instskip(SKIP_2) | instid1(SALU_CYCLE_1)
	v_cmp_gt_i32_e32 vcc_lo, s7, v26
	v_mov_b64_e32 v[26:27], 0
	s_and_b32 s15, s0, vcc_lo
	s_and_saveexec_b32 s13, s15
	s_cbranch_execz .LBB40_11
; %bb.10:                               ;   in Loop: Header=BB40_9 Depth=2
	global_load_b64 v[26:27], v[22:23], off
.LBB40_11:                              ;   in Loop: Header=BB40_9 Depth=2
	s_wait_xcnt 0x0
	s_or_b32 exec_lo, exec_lo, s13
	v_add_nc_u32_e32 v28, s12, v0
	s_wait_loadcnt 0x0
	ds_store_b64 v1, v[26:27]
	v_cmp_gt_i32_e32 vcc_lo, s7, v28
	v_mov_b64_e32 v[28:29], 0
	s_and_b32 s15, vcc_lo, s1
	s_delay_alu instid0(SALU_CYCLE_1)
	s_and_saveexec_b32 s13, s15
	s_cbranch_execz .LBB40_8
; %bb.12:                               ;   in Loop: Header=BB40_9 Depth=2
	global_load_b64 v[28:29], v[24:25], off
	s_branch .LBB40_8
.LBB40_13:                              ;   in Loop: Header=BB40_6 Depth=1
	s_mul_u64 s[12:13], s[24:25], s[8:9]
	s_delay_alu instid0(SALU_CYCLE_1) | instskip(NEXT) | instid1(SALU_CYCLE_1)
	s_lshl_b64 s[12:13], s[12:13], 3
	s_add_nc_u64 s[12:13], s[16:17], s[12:13]
	s_delay_alu instid0(SALU_CYCLE_1)
	v_lshl_add_u64 v[22:23], v[4:5], 3, s[12:13]
	s_and_saveexec_b32 s15, s28
	s_cbranch_execz .LBB40_17
; %bb.14:                               ;   in Loop: Header=BB40_6 Depth=1
	v_mul_f64_e32 v[20:21], s[22:23], v[20:21]
	s_delay_alu instid0(VALU_DEP_2)
	v_lshl_add_u64 v[24:25], v[2:3], 3, v[22:23]
	s_and_b32 vcc_lo, exec_lo, s18
	s_cbranch_vccz .LBB40_28
; %bb.15:                               ;   in Loop: Header=BB40_6 Depth=1
	global_load_b64 v[26:27], v[24:25], off
	s_wait_loadcnt 0x0
	v_fma_f64 v[26:27], s[20:21], v[26:27], v[20:21]
	global_store_b64 v[24:25], v[26:27], off
	s_cbranch_execnz .LBB40_17
.LBB40_16:                              ;   in Loop: Header=BB40_6 Depth=1
	global_store_b64 v[24:25], v[20:21], off
.LBB40_17:                              ;   in Loop: Header=BB40_6 Depth=1
	s_wait_xcnt 0x0
	s_or_b32 exec_lo, exec_lo, s15
	s_and_saveexec_b32 s15, s29
	s_cbranch_execz .LBB40_21
; %bb.18:                               ;   in Loop: Header=BB40_6 Depth=1
	s_delay_alu instid0(VALU_DEP_4)
	v_mul_f64_e32 v[18:19], s[22:23], v[18:19]
	v_lshl_add_u64 v[20:21], v[8:9], 3, v[22:23]
	s_and_not1_b32 vcc_lo, exec_lo, s18
	s_cbranch_vccnz .LBB40_29
; %bb.19:                               ;   in Loop: Header=BB40_6 Depth=1
	global_load_b64 v[22:23], v[20:21], off
	s_wait_loadcnt 0x0
	v_fma_f64 v[22:23], s[20:21], v[22:23], v[18:19]
	global_store_b64 v[20:21], v[22:23], off
	s_cbranch_execnz .LBB40_21
.LBB40_20:                              ;   in Loop: Header=BB40_6 Depth=1
	global_store_b64 v[20:21], v[18:19], off
.LBB40_21:                              ;   in Loop: Header=BB40_6 Depth=1
	s_wait_xcnt 0x0
	s_or_b32 exec_lo, exec_lo, s15
	v_lshl_add_u64 v[18:19], v[6:7], 3, s[12:13]
	s_and_saveexec_b32 s12, s6
	s_cbranch_execz .LBB40_25
; %bb.22:                               ;   in Loop: Header=BB40_6 Depth=1
	s_delay_alu instid0(VALU_DEP_4) | instskip(NEXT) | instid1(VALU_DEP_2)
	v_mul_f64_e32 v[16:17], s[22:23], v[16:17]
	v_lshl_add_u64 v[20:21], v[2:3], 3, v[18:19]
	s_and_not1_b32 vcc_lo, exec_lo, s18
	s_cbranch_vccnz .LBB40_30
; %bb.23:                               ;   in Loop: Header=BB40_6 Depth=1
	global_load_b64 v[22:23], v[20:21], off
	s_wait_loadcnt 0x0
	v_fma_f64 v[22:23], s[20:21], v[22:23], v[16:17]
	global_store_b64 v[20:21], v[22:23], off
	s_cbranch_execnz .LBB40_25
.LBB40_24:                              ;   in Loop: Header=BB40_6 Depth=1
	global_store_b64 v[20:21], v[16:17], off
.LBB40_25:                              ;   in Loop: Header=BB40_6 Depth=1
	s_wait_xcnt 0x0
	s_or_b32 exec_lo, exec_lo, s12
	s_and_saveexec_b32 s12, s30
	s_cbranch_execz .LBB40_5
; %bb.26:                               ;   in Loop: Header=BB40_6 Depth=1
	s_delay_alu instid0(VALU_DEP_3)
	v_mul_f64_e32 v[14:15], s[22:23], v[14:15]
	v_lshl_add_u64 v[16:17], v[8:9], 3, v[18:19]
	s_and_not1_b32 vcc_lo, exec_lo, s18
	s_cbranch_vccnz .LBB40_31
; %bb.27:                               ;   in Loop: Header=BB40_6 Depth=1
	global_load_b64 v[18:19], v[16:17], off
	s_wait_loadcnt 0x0
	v_fma_f64 v[18:19], s[20:21], v[18:19], v[14:15]
	global_store_b64 v[16:17], v[18:19], off
	s_cbranch_execnz .LBB40_5
	s_branch .LBB40_32
.LBB40_28:                              ;   in Loop: Header=BB40_6 Depth=1
	s_branch .LBB40_16
.LBB40_29:                              ;   in Loop: Header=BB40_6 Depth=1
	s_branch .LBB40_20
.LBB40_30:                              ;   in Loop: Header=BB40_6 Depth=1
	s_branch .LBB40_24
.LBB40_31:                              ;   in Loop: Header=BB40_6 Depth=1
.LBB40_32:                              ;   in Loop: Header=BB40_6 Depth=1
	global_store_b64 v[16:17], v[14:15], off
	s_branch .LBB40_5
.LBB40_33:
	s_endpgm
	.section	.rodata,"a",@progbits
	.p2align	6, 0x0
	.amdhsa_kernel _ZL29rocblas_internal_gemmt_kernelIiLi16ELi32ELi8ELc84ELc84ELc85ELb0ELb0EdPKdS1_PdEviT_T9_T10_S3_lS5_S3_lS4_T11_S3_li
		.amdhsa_group_segment_fixed_size 4096
		.amdhsa_private_segment_fixed_size 0
		.amdhsa_kernarg_size 100
		.amdhsa_user_sgpr_count 2
		.amdhsa_user_sgpr_dispatch_ptr 0
		.amdhsa_user_sgpr_queue_ptr 0
		.amdhsa_user_sgpr_kernarg_segment_ptr 1
		.amdhsa_user_sgpr_dispatch_id 0
		.amdhsa_user_sgpr_kernarg_preload_length 0
		.amdhsa_user_sgpr_kernarg_preload_offset 0
		.amdhsa_user_sgpr_private_segment_size 0
		.amdhsa_wavefront_size32 1
		.amdhsa_uses_dynamic_stack 0
		.amdhsa_enable_private_segment 0
		.amdhsa_system_sgpr_workgroup_id_x 1
		.amdhsa_system_sgpr_workgroup_id_y 1
		.amdhsa_system_sgpr_workgroup_id_z 1
		.amdhsa_system_sgpr_workgroup_info 0
		.amdhsa_system_vgpr_workitem_id 1
		.amdhsa_next_free_vgpr 50
		.amdhsa_next_free_sgpr 34
		.amdhsa_named_barrier_count 0
		.amdhsa_reserve_vcc 1
		.amdhsa_float_round_mode_32 0
		.amdhsa_float_round_mode_16_64 0
		.amdhsa_float_denorm_mode_32 3
		.amdhsa_float_denorm_mode_16_64 3
		.amdhsa_fp16_overflow 0
		.amdhsa_memory_ordered 1
		.amdhsa_forward_progress 1
		.amdhsa_inst_pref_size 13
		.amdhsa_round_robin_scheduling 0
		.amdhsa_exception_fp_ieee_invalid_op 0
		.amdhsa_exception_fp_denorm_src 0
		.amdhsa_exception_fp_ieee_div_zero 0
		.amdhsa_exception_fp_ieee_overflow 0
		.amdhsa_exception_fp_ieee_underflow 0
		.amdhsa_exception_fp_ieee_inexact 0
		.amdhsa_exception_int_div_zero 0
	.end_amdhsa_kernel
	.section	.text._ZL29rocblas_internal_gemmt_kernelIiLi16ELi32ELi8ELc84ELc84ELc85ELb0ELb0EdPKdS1_PdEviT_T9_T10_S3_lS5_S3_lS4_T11_S3_li,"axG",@progbits,_ZL29rocblas_internal_gemmt_kernelIiLi16ELi32ELi8ELc84ELc84ELc85ELb0ELb0EdPKdS1_PdEviT_T9_T10_S3_lS5_S3_lS4_T11_S3_li,comdat
.Lfunc_end40:
	.size	_ZL29rocblas_internal_gemmt_kernelIiLi16ELi32ELi8ELc84ELc84ELc85ELb0ELb0EdPKdS1_PdEviT_T9_T10_S3_lS5_S3_lS4_T11_S3_li, .Lfunc_end40-_ZL29rocblas_internal_gemmt_kernelIiLi16ELi32ELi8ELc84ELc84ELc85ELb0ELb0EdPKdS1_PdEviT_T9_T10_S3_lS5_S3_lS4_T11_S3_li
                                        ; -- End function
	.set _ZL29rocblas_internal_gemmt_kernelIiLi16ELi32ELi8ELc84ELc84ELc85ELb0ELb0EdPKdS1_PdEviT_T9_T10_S3_lS5_S3_lS4_T11_S3_li.num_vgpr, 50
	.set _ZL29rocblas_internal_gemmt_kernelIiLi16ELi32ELi8ELc84ELc84ELc85ELb0ELb0EdPKdS1_PdEviT_T9_T10_S3_lS5_S3_lS4_T11_S3_li.num_agpr, 0
	.set _ZL29rocblas_internal_gemmt_kernelIiLi16ELi32ELi8ELc84ELc84ELc85ELb0ELb0EdPKdS1_PdEviT_T9_T10_S3_lS5_S3_lS4_T11_S3_li.numbered_sgpr, 34
	.set _ZL29rocblas_internal_gemmt_kernelIiLi16ELi32ELi8ELc84ELc84ELc85ELb0ELb0EdPKdS1_PdEviT_T9_T10_S3_lS5_S3_lS4_T11_S3_li.num_named_barrier, 0
	.set _ZL29rocblas_internal_gemmt_kernelIiLi16ELi32ELi8ELc84ELc84ELc85ELb0ELb0EdPKdS1_PdEviT_T9_T10_S3_lS5_S3_lS4_T11_S3_li.private_seg_size, 0
	.set _ZL29rocblas_internal_gemmt_kernelIiLi16ELi32ELi8ELc84ELc84ELc85ELb0ELb0EdPKdS1_PdEviT_T9_T10_S3_lS5_S3_lS4_T11_S3_li.uses_vcc, 1
	.set _ZL29rocblas_internal_gemmt_kernelIiLi16ELi32ELi8ELc84ELc84ELc85ELb0ELb0EdPKdS1_PdEviT_T9_T10_S3_lS5_S3_lS4_T11_S3_li.uses_flat_scratch, 0
	.set _ZL29rocblas_internal_gemmt_kernelIiLi16ELi32ELi8ELc84ELc84ELc85ELb0ELb0EdPKdS1_PdEviT_T9_T10_S3_lS5_S3_lS4_T11_S3_li.has_dyn_sized_stack, 0
	.set _ZL29rocblas_internal_gemmt_kernelIiLi16ELi32ELi8ELc84ELc84ELc85ELb0ELb0EdPKdS1_PdEviT_T9_T10_S3_lS5_S3_lS4_T11_S3_li.has_recursion, 0
	.set _ZL29rocblas_internal_gemmt_kernelIiLi16ELi32ELi8ELc84ELc84ELc85ELb0ELb0EdPKdS1_PdEviT_T9_T10_S3_lS5_S3_lS4_T11_S3_li.has_indirect_call, 0
	.section	.AMDGPU.csdata,"",@progbits
; Kernel info:
; codeLenInByte = 1664
; TotalNumSgprs: 36
; NumVgprs: 50
; ScratchSize: 0
; MemoryBound: 0
; FloatMode: 240
; IeeeMode: 1
; LDSByteSize: 4096 bytes/workgroup (compile time only)
; SGPRBlocks: 0
; VGPRBlocks: 3
; NumSGPRsForWavesPerEU: 36
; NumVGPRsForWavesPerEU: 50
; NamedBarCnt: 0
; Occupancy: 16
; WaveLimiterHint : 0
; COMPUTE_PGM_RSRC2:SCRATCH_EN: 0
; COMPUTE_PGM_RSRC2:USER_SGPR: 2
; COMPUTE_PGM_RSRC2:TRAP_HANDLER: 0
; COMPUTE_PGM_RSRC2:TGID_X_EN: 1
; COMPUTE_PGM_RSRC2:TGID_Y_EN: 1
; COMPUTE_PGM_RSRC2:TGID_Z_EN: 1
; COMPUTE_PGM_RSRC2:TIDIG_COMP_CNT: 1
	.section	.text._ZL29rocblas_internal_gemmt_kernelIiLi16ELi32ELi8ELc84ELc67ELc85ELb0ELb0EdPKdS1_PdEviT_T9_T10_S3_lS5_S3_lS4_T11_S3_li,"axG",@progbits,_ZL29rocblas_internal_gemmt_kernelIiLi16ELi32ELi8ELc84ELc67ELc85ELb0ELb0EdPKdS1_PdEviT_T9_T10_S3_lS5_S3_lS4_T11_S3_li,comdat
	.globl	_ZL29rocblas_internal_gemmt_kernelIiLi16ELi32ELi8ELc84ELc67ELc85ELb0ELb0EdPKdS1_PdEviT_T9_T10_S3_lS5_S3_lS4_T11_S3_li ; -- Begin function _ZL29rocblas_internal_gemmt_kernelIiLi16ELi32ELi8ELc84ELc67ELc85ELb0ELb0EdPKdS1_PdEviT_T9_T10_S3_lS5_S3_lS4_T11_S3_li
	.p2align	8
	.type	_ZL29rocblas_internal_gemmt_kernelIiLi16ELi32ELi8ELc84ELc67ELc85ELb0ELb0EdPKdS1_PdEviT_T9_T10_S3_lS5_S3_lS4_T11_S3_li,@function
_ZL29rocblas_internal_gemmt_kernelIiLi16ELi32ELi8ELc84ELc67ELc85ELb0ELb0EdPKdS1_PdEviT_T9_T10_S3_lS5_S3_lS4_T11_S3_li: ; @_ZL29rocblas_internal_gemmt_kernelIiLi16ELi32ELi8ELc84ELc67ELc85ELb0ELb0EdPKdS1_PdEviT_T9_T10_S3_lS5_S3_lS4_T11_S3_li
; %bb.0:
	s_load_b128 s[4:7], s[0:1], 0x38
	s_wait_kmcnt 0x0
	s_load_b64 s[20:21], s[6:7], 0x0
	s_load_b128 s[8:11], s[0:1], 0x8
	s_wait_xcnt 0x0
	s_load_b64 s[6:7], s[0:1], 0x0
	s_wait_kmcnt 0x0
	s_load_b64 s[22:23], s[8:9], 0x0
	v_cmp_neq_f64_e64 s2, s[20:21], 1.0
	s_and_b32 vcc_lo, exec_lo, s2
	s_cbranch_vccnz .LBB41_2
; %bb.1:
	s_wait_kmcnt 0x0
	v_cmp_neq_f64_e64 s2, s[22:23], 0
	s_cmp_lg_u32 s7, 0
	s_cselect_b32 s3, -1, 0
	s_delay_alu instid0(SALU_CYCLE_1)
	s_and_b32 s2, s3, s2
.LBB41_2:
	s_delay_alu instid0(SALU_CYCLE_1)
	s_and_not1_b32 vcc_lo, exec_lo, s2
	s_cbranch_vccnz .LBB41_33
; %bb.3:
	s_load_b32 s19, s[0:1], 0x60
	s_bfe_u32 s2, ttmp6, 0x40014
	s_lshr_b32 s3, ttmp7, 16
	s_add_co_i32 s2, s2, 1
	s_wait_xcnt 0x0
	s_bfe_u32 s8, ttmp6, 0x40008
	s_mul_i32 s2, s3, s2
	s_getreg_b32 s28, hwreg(HW_REG_IB_STS2, 6, 4)
	s_add_co_i32 s8, s8, s2
	s_cmp_eq_u32 s28, 0
	s_mov_b32 s9, 0
	s_cselect_b32 s8, s3, s8
	s_wait_kmcnt 0x0
	s_cmp_ge_u32 s8, s19
	s_cbranch_scc1 .LBB41_33
; %bb.4:
	s_clause 0x3
	s_load_b32 s2, s[0:1], 0x18
	s_load_b32 s26, s[0:1], 0x30
	s_load_b96 s[16:18], s[0:1], 0x48
	s_load_b128 s[12:15], s[0:1], 0x20
	v_and_b32_e32 v9, 0x3ff, v0
	v_bfe_u32 v10, v0, 10, 10
	s_load_b64 s[24:25], s[0:1], 0x58
	s_wait_xcnt 0x0
	s_bfe_u32 s1, ttmp6, 0x4000c
	s_bfe_u32 s3, ttmp6, 0x40010
	s_and_b32 s30, ttmp7, 0xffff
	s_add_co_i32 s1, s1, 1
	s_add_co_i32 s3, s3, 1
	v_lshl_add_u32 v1, v10, 4, v9
	s_and_b32 s0, ttmp6, 15
	s_mul_i32 s1, ttmp9, s1
	s_mul_i32 s31, s30, s3
	s_bfe_u32 s33, ttmp6, 0x40004
	s_add_co_i32 s0, s0, s1
	s_add_co_i32 s33, s33, s31
	v_dual_lshrrev_b32 v5, 3, v1 :: v_dual_bitop2_b32 v4, 31, v1 bitop3:0x40
	s_wait_kmcnt 0x0
	s_ashr_i32 s3, s2, 31
	s_ashr_i32 s27, s26, 31
	;; [unrolled: 1-line block ×3, first 2 shown]
	s_cmp_eq_u32 s28, 0
	v_dual_lshrrev_b32 v30, 5, v1 :: v_dual_bitop2_b32 v0, 7, v0 bitop3:0x40
	s_cselect_b32 s0, ttmp9, s0
	s_cselect_b32 s1, s30, s33
	s_lshl_b32 s30, s0, 5
	s_delay_alu instid0(SALU_CYCLE_1) | instskip(SKIP_2) | instid1(VALU_DEP_1)
	v_dual_mov_b32 v11, 0 :: v_dual_bitop2_b32 v2, s30, v4 bitop3:0x54
	s_lshl_b32 s0, s1, 5
	s_mov_b32 s28, s18
	v_dual_mov_b32 v1, v11 :: v_dual_add_nc_u32 v12, s0, v5
	v_add_nc_u32_e32 v14, s0, v10
	v_ashrrev_i32_e32 v3, 31, v2
	v_cmp_neq_f64_e64 s31, s[22:23], 0
	v_cmp_gt_i32_e64 s0, s6, v2
	v_mul_u64_e32 v[18:19], s[26:27], v[0:1]
	v_dual_add_nc_u32 v20, 16, v14 :: v_dual_lshlrev_b32 v1, 3, v0
	v_mul_u64_e32 v[16:17], s[2:3], v[2:3]
	v_dual_lshlrev_b32 v3, 3, v4 :: v_dual_ashrrev_i32 v15, 31, v14
	s_delay_alu instid0(VALU_DEP_3) | instskip(NEXT) | instid1(VALU_DEP_4)
	v_dual_ashrrev_i32 v21, 31, v20 :: v_dual_add_nc_u32 v2, s30, v9
	v_lshl_or_b32 v8, v5, 6, v1
	v_cmp_neq_f64_e64 s18, s[20:21], 0
	s_delay_alu instid0(VALU_DEP_4) | instskip(NEXT) | instid1(VALU_DEP_4)
	v_mul_u64_e32 v[4:5], s[28:29], v[14:15]
	v_mul_u64_e32 v[6:7], s[28:29], v[20:21]
	v_ashrrev_i32_e32 v13, 31, v12
	v_add_nc_u32_e32 v31, 0x800, v8
	v_add_nc_u32_e32 v8, 16, v2
	v_cmp_gt_i32_e64 s1, s6, v12
	v_lshl_add_u32 v33, v10, 6, 0x800
	v_lshlrev_b64_e32 v[12:13], 3, v[12:13]
	v_lshlrev_b32_e32 v10, 3, v30
	v_cmp_gt_i32_e32 vcc_lo, s6, v14
	v_cmp_le_i32_e64 s2, v2, v14
	v_lshlrev_b32_e32 v32, 3, v9
	v_cmp_le_i32_e64 s3, v8, v14
	v_ashrrev_i32_e32 v9, 31, v8
	s_cmp_gt_i32 s7, 0
	v_lshl_or_b32 v1, v30, 8, v3
	s_cselect_b32 s33, -1, 0
	s_and_b32 s28, vcc_lo, s2
	s_and_b32 s29, vcc_lo, s3
	v_cmp_gt_i32_e32 vcc_lo, s6, v20
	v_cmp_le_i32_e64 s2, v2, v20
	v_cmp_le_i32_e64 s3, v8, v20
	v_lshl_add_u64 v[12:13], v[18:19], 3, v[12:13]
	v_ashrrev_i32_e32 v3, 31, v2
	s_lshl_b64 s[4:5], s[4:5], 3
	v_lshl_add_u64 v[10:11], v[16:17], 3, v[10:11]
	s_and_b32 s6, vcc_lo, s2
	v_add_nc_u64_e32 v[12:13], s[14:15], v[12:13]
	s_and_b32 s30, vcc_lo, s3
	s_and_b32 s14, s31, s33
	v_add_nc_u64_e32 v[10:11], s[10:11], v[10:11]
	s_lshl_b64 s[2:3], s[12:13], 3
	s_lshl_b64 s[10:11], s[26:27], 6
	s_branch .LBB41_6
.LBB41_5:                               ;   in Loop: Header=BB41_6 Depth=1
	s_wait_xcnt 0x0
	s_or_b32 exec_lo, exec_lo, s12
	s_add_co_i32 s8, s8, 0x10000
	s_delay_alu instid0(SALU_CYCLE_1)
	s_cmp_lt_u32 s8, s19
	s_cbranch_scc0 .LBB41_33
.LBB41_6:                               ; =>This Loop Header: Depth=1
                                        ;     Child Loop BB41_9 Depth 2
	v_mov_b64_e32 v[20:21], 0
	v_mov_b64_e32 v[18:19], 0
	;; [unrolled: 1-line block ×4, first 2 shown]
	s_and_not1_b32 vcc_lo, exec_lo, s14
	s_cbranch_vccnz .LBB41_13
; %bb.7:                                ;   in Loop: Header=BB41_6 Depth=1
	v_mad_nc_u64_u32 v[22:23], s2, s8, v[10:11]
	v_mad_nc_u64_u32 v[24:25], s4, s8, v[12:13]
	v_mov_b64_e32 v[14:15], 0
	v_mov_b64_e32 v[16:17], 0
	;; [unrolled: 1-line block ×4, first 2 shown]
	s_mov_b32 s12, 0
	v_mad_u32 v23, s3, s8, v23
	v_mad_u32 v25, s5, s8, v25
	s_branch .LBB41_9
.LBB41_8:                               ;   in Loop: Header=BB41_9 Depth=2
	s_wait_xcnt 0x0
	s_or_b32 exec_lo, exec_lo, s13
	s_wait_loadcnt 0x0
	ds_store_b64 v31, v[28:29]
	s_wait_dscnt 0x0
	s_barrier_signal -1
	s_barrier_wait -1
	ds_load_b128 v[26:29], v33
	ds_load_2addr_b64 v[34:37], v32 offset1:16
	ds_load_b128 v[38:41], v33 offset:1024
	ds_load_b128 v[42:45], v33 offset:16
	;; [unrolled: 1-line block ×3, first 2 shown]
	v_add_nc_u64_e32 v[22:23], 64, v[22:23]
	v_add_nc_u64_e32 v[24:25], s[10:11], v[24:25]
	s_add_co_i32 s12, s12, 8
	s_delay_alu instid0(SALU_CYCLE_1)
	s_cmp_lt_i32 s12, s7
	s_wait_dscnt 0x3
	v_fmac_f64_e32 v[20:21], v[34:35], v[26:27]
	v_fmac_f64_e32 v[18:19], v[36:37], v[26:27]
	s_wait_dscnt 0x2
	v_fmac_f64_e32 v[16:17], v[34:35], v[38:39]
	v_fmac_f64_e32 v[14:15], v[36:37], v[38:39]
	ds_load_2addr_b64 v[34:37], v32 offset0:32 offset1:48
	s_wait_dscnt 0x0
	v_fmac_f64_e32 v[20:21], v[34:35], v[28:29]
	v_fmac_f64_e32 v[18:19], v[36:37], v[28:29]
	v_fmac_f64_e32 v[16:17], v[34:35], v[40:41]
	v_fmac_f64_e32 v[14:15], v[36:37], v[40:41]
	ds_load_2addr_b64 v[26:29], v32 offset0:64 offset1:80
	s_wait_dscnt 0x0
	v_fmac_f64_e32 v[20:21], v[26:27], v[42:43]
	v_fmac_f64_e32 v[18:19], v[28:29], v[42:43]
	;; [unrolled: 6-line block ×3, first 2 shown]
	v_fmac_f64_e32 v[16:17], v[26:27], v[48:49]
	v_fmac_f64_e32 v[14:15], v[28:29], v[48:49]
	ds_load_b128 v[26:29], v33 offset:32
	ds_load_2addr_b64 v[34:37], v32 offset0:128 offset1:144
	ds_load_b128 v[38:41], v33 offset:1056
	ds_load_b128 v[42:45], v33 offset:48
	;; [unrolled: 1-line block ×3, first 2 shown]
	s_wait_dscnt 0x3
	v_fmac_f64_e32 v[20:21], v[34:35], v[26:27]
	v_fmac_f64_e32 v[18:19], v[36:37], v[26:27]
	s_wait_dscnt 0x2
	v_fmac_f64_e32 v[16:17], v[34:35], v[38:39]
	v_fmac_f64_e32 v[14:15], v[36:37], v[38:39]
	ds_load_2addr_b64 v[34:37], v32 offset0:160 offset1:176
	s_wait_dscnt 0x0
	v_fmac_f64_e32 v[20:21], v[34:35], v[28:29]
	v_fmac_f64_e32 v[18:19], v[36:37], v[28:29]
	v_fmac_f64_e32 v[16:17], v[34:35], v[40:41]
	v_fmac_f64_e32 v[14:15], v[36:37], v[40:41]
	ds_load_2addr_b64 v[26:29], v32 offset0:192 offset1:208
	s_wait_dscnt 0x0
	v_fmac_f64_e32 v[20:21], v[26:27], v[42:43]
	v_fmac_f64_e32 v[18:19], v[28:29], v[42:43]
	;; [unrolled: 1-line block ×4, first 2 shown]
	ds_load_2addr_b64 v[26:29], v32 offset0:224 offset1:240
	s_wait_dscnt 0x0
	s_barrier_signal -1
	s_barrier_wait -1
	v_fmac_f64_e32 v[20:21], v[26:27], v[44:45]
	v_fmac_f64_e32 v[18:19], v[28:29], v[44:45]
	;; [unrolled: 1-line block ×4, first 2 shown]
	s_cbranch_scc0 .LBB41_13
.LBB41_9:                               ;   Parent Loop BB41_6 Depth=1
                                        ; =>  This Inner Loop Header: Depth=2
	v_add_nc_u32_e32 v26, s12, v30
	s_delay_alu instid0(VALU_DEP_1) | instskip(SKIP_2) | instid1(SALU_CYCLE_1)
	v_cmp_gt_i32_e32 vcc_lo, s7, v26
	v_mov_b64_e32 v[26:27], 0
	s_and_b32 s15, s0, vcc_lo
	s_and_saveexec_b32 s13, s15
	s_cbranch_execz .LBB41_11
; %bb.10:                               ;   in Loop: Header=BB41_9 Depth=2
	global_load_b64 v[26:27], v[22:23], off
.LBB41_11:                              ;   in Loop: Header=BB41_9 Depth=2
	s_wait_xcnt 0x0
	s_or_b32 exec_lo, exec_lo, s13
	v_add_nc_u32_e32 v28, s12, v0
	s_wait_loadcnt 0x0
	ds_store_b64 v1, v[26:27]
	v_cmp_gt_i32_e32 vcc_lo, s7, v28
	v_mov_b64_e32 v[28:29], 0
	s_and_b32 s15, vcc_lo, s1
	s_delay_alu instid0(SALU_CYCLE_1)
	s_and_saveexec_b32 s13, s15
	s_cbranch_execz .LBB41_8
; %bb.12:                               ;   in Loop: Header=BB41_9 Depth=2
	global_load_b64 v[28:29], v[24:25], off
	s_branch .LBB41_8
.LBB41_13:                              ;   in Loop: Header=BB41_6 Depth=1
	s_mul_u64 s[12:13], s[24:25], s[8:9]
	s_delay_alu instid0(SALU_CYCLE_1) | instskip(NEXT) | instid1(SALU_CYCLE_1)
	s_lshl_b64 s[12:13], s[12:13], 3
	s_add_nc_u64 s[12:13], s[16:17], s[12:13]
	s_delay_alu instid0(SALU_CYCLE_1)
	v_lshl_add_u64 v[22:23], v[4:5], 3, s[12:13]
	s_and_saveexec_b32 s15, s28
	s_cbranch_execz .LBB41_17
; %bb.14:                               ;   in Loop: Header=BB41_6 Depth=1
	v_mul_f64_e32 v[20:21], s[22:23], v[20:21]
	s_delay_alu instid0(VALU_DEP_2)
	v_lshl_add_u64 v[24:25], v[2:3], 3, v[22:23]
	s_and_b32 vcc_lo, exec_lo, s18
	s_cbranch_vccz .LBB41_28
; %bb.15:                               ;   in Loop: Header=BB41_6 Depth=1
	global_load_b64 v[26:27], v[24:25], off
	s_wait_loadcnt 0x0
	v_fma_f64 v[26:27], s[20:21], v[26:27], v[20:21]
	global_store_b64 v[24:25], v[26:27], off
	s_cbranch_execnz .LBB41_17
.LBB41_16:                              ;   in Loop: Header=BB41_6 Depth=1
	global_store_b64 v[24:25], v[20:21], off
.LBB41_17:                              ;   in Loop: Header=BB41_6 Depth=1
	s_wait_xcnt 0x0
	s_or_b32 exec_lo, exec_lo, s15
	s_and_saveexec_b32 s15, s29
	s_cbranch_execz .LBB41_21
; %bb.18:                               ;   in Loop: Header=BB41_6 Depth=1
	s_delay_alu instid0(VALU_DEP_4)
	v_mul_f64_e32 v[18:19], s[22:23], v[18:19]
	v_lshl_add_u64 v[20:21], v[8:9], 3, v[22:23]
	s_and_not1_b32 vcc_lo, exec_lo, s18
	s_cbranch_vccnz .LBB41_29
; %bb.19:                               ;   in Loop: Header=BB41_6 Depth=1
	global_load_b64 v[22:23], v[20:21], off
	s_wait_loadcnt 0x0
	v_fma_f64 v[22:23], s[20:21], v[22:23], v[18:19]
	global_store_b64 v[20:21], v[22:23], off
	s_cbranch_execnz .LBB41_21
.LBB41_20:                              ;   in Loop: Header=BB41_6 Depth=1
	global_store_b64 v[20:21], v[18:19], off
.LBB41_21:                              ;   in Loop: Header=BB41_6 Depth=1
	s_wait_xcnt 0x0
	s_or_b32 exec_lo, exec_lo, s15
	v_lshl_add_u64 v[18:19], v[6:7], 3, s[12:13]
	s_and_saveexec_b32 s12, s6
	s_cbranch_execz .LBB41_25
; %bb.22:                               ;   in Loop: Header=BB41_6 Depth=1
	s_delay_alu instid0(VALU_DEP_4) | instskip(NEXT) | instid1(VALU_DEP_2)
	v_mul_f64_e32 v[16:17], s[22:23], v[16:17]
	v_lshl_add_u64 v[20:21], v[2:3], 3, v[18:19]
	s_and_not1_b32 vcc_lo, exec_lo, s18
	s_cbranch_vccnz .LBB41_30
; %bb.23:                               ;   in Loop: Header=BB41_6 Depth=1
	global_load_b64 v[22:23], v[20:21], off
	s_wait_loadcnt 0x0
	v_fma_f64 v[22:23], s[20:21], v[22:23], v[16:17]
	global_store_b64 v[20:21], v[22:23], off
	s_cbranch_execnz .LBB41_25
.LBB41_24:                              ;   in Loop: Header=BB41_6 Depth=1
	global_store_b64 v[20:21], v[16:17], off
.LBB41_25:                              ;   in Loop: Header=BB41_6 Depth=1
	s_wait_xcnt 0x0
	s_or_b32 exec_lo, exec_lo, s12
	s_and_saveexec_b32 s12, s30
	s_cbranch_execz .LBB41_5
; %bb.26:                               ;   in Loop: Header=BB41_6 Depth=1
	s_delay_alu instid0(VALU_DEP_3)
	v_mul_f64_e32 v[14:15], s[22:23], v[14:15]
	v_lshl_add_u64 v[16:17], v[8:9], 3, v[18:19]
	s_and_not1_b32 vcc_lo, exec_lo, s18
	s_cbranch_vccnz .LBB41_31
; %bb.27:                               ;   in Loop: Header=BB41_6 Depth=1
	global_load_b64 v[18:19], v[16:17], off
	s_wait_loadcnt 0x0
	v_fma_f64 v[18:19], s[20:21], v[18:19], v[14:15]
	global_store_b64 v[16:17], v[18:19], off
	s_cbranch_execnz .LBB41_5
	s_branch .LBB41_32
.LBB41_28:                              ;   in Loop: Header=BB41_6 Depth=1
	s_branch .LBB41_16
.LBB41_29:                              ;   in Loop: Header=BB41_6 Depth=1
	s_branch .LBB41_20
.LBB41_30:                              ;   in Loop: Header=BB41_6 Depth=1
	s_branch .LBB41_24
.LBB41_31:                              ;   in Loop: Header=BB41_6 Depth=1
.LBB41_32:                              ;   in Loop: Header=BB41_6 Depth=1
	global_store_b64 v[16:17], v[14:15], off
	s_branch .LBB41_5
.LBB41_33:
	s_endpgm
	.section	.rodata,"a",@progbits
	.p2align	6, 0x0
	.amdhsa_kernel _ZL29rocblas_internal_gemmt_kernelIiLi16ELi32ELi8ELc84ELc67ELc85ELb0ELb0EdPKdS1_PdEviT_T9_T10_S3_lS5_S3_lS4_T11_S3_li
		.amdhsa_group_segment_fixed_size 4096
		.amdhsa_private_segment_fixed_size 0
		.amdhsa_kernarg_size 100
		.amdhsa_user_sgpr_count 2
		.amdhsa_user_sgpr_dispatch_ptr 0
		.amdhsa_user_sgpr_queue_ptr 0
		.amdhsa_user_sgpr_kernarg_segment_ptr 1
		.amdhsa_user_sgpr_dispatch_id 0
		.amdhsa_user_sgpr_kernarg_preload_length 0
		.amdhsa_user_sgpr_kernarg_preload_offset 0
		.amdhsa_user_sgpr_private_segment_size 0
		.amdhsa_wavefront_size32 1
		.amdhsa_uses_dynamic_stack 0
		.amdhsa_enable_private_segment 0
		.amdhsa_system_sgpr_workgroup_id_x 1
		.amdhsa_system_sgpr_workgroup_id_y 1
		.amdhsa_system_sgpr_workgroup_id_z 1
		.amdhsa_system_sgpr_workgroup_info 0
		.amdhsa_system_vgpr_workitem_id 1
		.amdhsa_next_free_vgpr 50
		.amdhsa_next_free_sgpr 34
		.amdhsa_named_barrier_count 0
		.amdhsa_reserve_vcc 1
		.amdhsa_float_round_mode_32 0
		.amdhsa_float_round_mode_16_64 0
		.amdhsa_float_denorm_mode_32 3
		.amdhsa_float_denorm_mode_16_64 3
		.amdhsa_fp16_overflow 0
		.amdhsa_memory_ordered 1
		.amdhsa_forward_progress 1
		.amdhsa_inst_pref_size 13
		.amdhsa_round_robin_scheduling 0
		.amdhsa_exception_fp_ieee_invalid_op 0
		.amdhsa_exception_fp_denorm_src 0
		.amdhsa_exception_fp_ieee_div_zero 0
		.amdhsa_exception_fp_ieee_overflow 0
		.amdhsa_exception_fp_ieee_underflow 0
		.amdhsa_exception_fp_ieee_inexact 0
		.amdhsa_exception_int_div_zero 0
	.end_amdhsa_kernel
	.section	.text._ZL29rocblas_internal_gemmt_kernelIiLi16ELi32ELi8ELc84ELc67ELc85ELb0ELb0EdPKdS1_PdEviT_T9_T10_S3_lS5_S3_lS4_T11_S3_li,"axG",@progbits,_ZL29rocblas_internal_gemmt_kernelIiLi16ELi32ELi8ELc84ELc67ELc85ELb0ELb0EdPKdS1_PdEviT_T9_T10_S3_lS5_S3_lS4_T11_S3_li,comdat
.Lfunc_end41:
	.size	_ZL29rocblas_internal_gemmt_kernelIiLi16ELi32ELi8ELc84ELc67ELc85ELb0ELb0EdPKdS1_PdEviT_T9_T10_S3_lS5_S3_lS4_T11_S3_li, .Lfunc_end41-_ZL29rocblas_internal_gemmt_kernelIiLi16ELi32ELi8ELc84ELc67ELc85ELb0ELb0EdPKdS1_PdEviT_T9_T10_S3_lS5_S3_lS4_T11_S3_li
                                        ; -- End function
	.set _ZL29rocblas_internal_gemmt_kernelIiLi16ELi32ELi8ELc84ELc67ELc85ELb0ELb0EdPKdS1_PdEviT_T9_T10_S3_lS5_S3_lS4_T11_S3_li.num_vgpr, 50
	.set _ZL29rocblas_internal_gemmt_kernelIiLi16ELi32ELi8ELc84ELc67ELc85ELb0ELb0EdPKdS1_PdEviT_T9_T10_S3_lS5_S3_lS4_T11_S3_li.num_agpr, 0
	.set _ZL29rocblas_internal_gemmt_kernelIiLi16ELi32ELi8ELc84ELc67ELc85ELb0ELb0EdPKdS1_PdEviT_T9_T10_S3_lS5_S3_lS4_T11_S3_li.numbered_sgpr, 34
	.set _ZL29rocblas_internal_gemmt_kernelIiLi16ELi32ELi8ELc84ELc67ELc85ELb0ELb0EdPKdS1_PdEviT_T9_T10_S3_lS5_S3_lS4_T11_S3_li.num_named_barrier, 0
	.set _ZL29rocblas_internal_gemmt_kernelIiLi16ELi32ELi8ELc84ELc67ELc85ELb0ELb0EdPKdS1_PdEviT_T9_T10_S3_lS5_S3_lS4_T11_S3_li.private_seg_size, 0
	.set _ZL29rocblas_internal_gemmt_kernelIiLi16ELi32ELi8ELc84ELc67ELc85ELb0ELb0EdPKdS1_PdEviT_T9_T10_S3_lS5_S3_lS4_T11_S3_li.uses_vcc, 1
	.set _ZL29rocblas_internal_gemmt_kernelIiLi16ELi32ELi8ELc84ELc67ELc85ELb0ELb0EdPKdS1_PdEviT_T9_T10_S3_lS5_S3_lS4_T11_S3_li.uses_flat_scratch, 0
	.set _ZL29rocblas_internal_gemmt_kernelIiLi16ELi32ELi8ELc84ELc67ELc85ELb0ELb0EdPKdS1_PdEviT_T9_T10_S3_lS5_S3_lS4_T11_S3_li.has_dyn_sized_stack, 0
	.set _ZL29rocblas_internal_gemmt_kernelIiLi16ELi32ELi8ELc84ELc67ELc85ELb0ELb0EdPKdS1_PdEviT_T9_T10_S3_lS5_S3_lS4_T11_S3_li.has_recursion, 0
	.set _ZL29rocblas_internal_gemmt_kernelIiLi16ELi32ELi8ELc84ELc67ELc85ELb0ELb0EdPKdS1_PdEviT_T9_T10_S3_lS5_S3_lS4_T11_S3_li.has_indirect_call, 0
	.section	.AMDGPU.csdata,"",@progbits
; Kernel info:
; codeLenInByte = 1664
; TotalNumSgprs: 36
; NumVgprs: 50
; ScratchSize: 0
; MemoryBound: 0
; FloatMode: 240
; IeeeMode: 1
; LDSByteSize: 4096 bytes/workgroup (compile time only)
; SGPRBlocks: 0
; VGPRBlocks: 3
; NumSGPRsForWavesPerEU: 36
; NumVGPRsForWavesPerEU: 50
; NamedBarCnt: 0
; Occupancy: 16
; WaveLimiterHint : 0
; COMPUTE_PGM_RSRC2:SCRATCH_EN: 0
; COMPUTE_PGM_RSRC2:USER_SGPR: 2
; COMPUTE_PGM_RSRC2:TRAP_HANDLER: 0
; COMPUTE_PGM_RSRC2:TGID_X_EN: 1
; COMPUTE_PGM_RSRC2:TGID_Y_EN: 1
; COMPUTE_PGM_RSRC2:TGID_Z_EN: 1
; COMPUTE_PGM_RSRC2:TIDIG_COMP_CNT: 1
	.section	.text._ZL29rocblas_internal_gemmt_kernelIiLi16ELi32ELi8ELc67ELc78ELc85ELb0ELb0EdPKdS1_PdEviT_T9_T10_S3_lS5_S3_lS4_T11_S3_li,"axG",@progbits,_ZL29rocblas_internal_gemmt_kernelIiLi16ELi32ELi8ELc67ELc78ELc85ELb0ELb0EdPKdS1_PdEviT_T9_T10_S3_lS5_S3_lS4_T11_S3_li,comdat
	.globl	_ZL29rocblas_internal_gemmt_kernelIiLi16ELi32ELi8ELc67ELc78ELc85ELb0ELb0EdPKdS1_PdEviT_T9_T10_S3_lS5_S3_lS4_T11_S3_li ; -- Begin function _ZL29rocblas_internal_gemmt_kernelIiLi16ELi32ELi8ELc67ELc78ELc85ELb0ELb0EdPKdS1_PdEviT_T9_T10_S3_lS5_S3_lS4_T11_S3_li
	.p2align	8
	.type	_ZL29rocblas_internal_gemmt_kernelIiLi16ELi32ELi8ELc67ELc78ELc85ELb0ELb0EdPKdS1_PdEviT_T9_T10_S3_lS5_S3_lS4_T11_S3_li,@function
_ZL29rocblas_internal_gemmt_kernelIiLi16ELi32ELi8ELc67ELc78ELc85ELb0ELb0EdPKdS1_PdEviT_T9_T10_S3_lS5_S3_lS4_T11_S3_li: ; @_ZL29rocblas_internal_gemmt_kernelIiLi16ELi32ELi8ELc67ELc78ELc85ELb0ELb0EdPKdS1_PdEviT_T9_T10_S3_lS5_S3_lS4_T11_S3_li
; %bb.0:
	s_load_b128 s[8:11], s[0:1], 0x38
	s_wait_kmcnt 0x0
	s_load_b64 s[20:21], s[10:11], 0x0
	s_load_b128 s[4:7], s[0:1], 0x8
	s_wait_xcnt 0x0
	s_load_b64 s[10:11], s[0:1], 0x0
	s_wait_kmcnt 0x0
	s_load_b64 s[22:23], s[4:5], 0x0
	v_cmp_neq_f64_e64 s2, s[20:21], 1.0
	s_and_b32 vcc_lo, exec_lo, s2
	s_cbranch_vccnz .LBB42_2
; %bb.1:
	s_wait_kmcnt 0x0
	v_cmp_neq_f64_e64 s2, s[22:23], 0
	s_cmp_lg_u32 s11, 0
	s_cselect_b32 s3, -1, 0
	s_delay_alu instid0(SALU_CYCLE_1)
	s_and_b32 s2, s3, s2
.LBB42_2:
	s_delay_alu instid0(SALU_CYCLE_1)
	s_and_not1_b32 vcc_lo, exec_lo, s2
	s_cbranch_vccnz .LBB42_33
; %bb.3:
	s_load_b32 s19, s[0:1], 0x60
	s_bfe_u32 s2, ttmp6, 0x40014
	s_lshr_b32 s3, ttmp7, 16
	s_add_co_i32 s2, s2, 1
	s_wait_xcnt 0x0
	s_bfe_u32 s4, ttmp6, 0x40008
	s_mul_i32 s2, s3, s2
	s_getreg_b32 s28, hwreg(HW_REG_IB_STS2, 6, 4)
	s_add_co_i32 s4, s4, s2
	s_cmp_eq_u32 s28, 0
	s_mov_b32 s25, 0
	s_cselect_b32 s24, s3, s4
	s_wait_kmcnt 0x0
	s_cmp_ge_u32 s24, s19
	s_cbranch_scc1 .LBB42_33
; %bb.4:
	s_clause 0x3
	s_load_b32 s4, s[0:1], 0x18
	s_load_b32 s2, s[0:1], 0x30
	s_load_b96 s[16:18], s[0:1], 0x48
	s_load_b128 s[12:15], s[0:1], 0x20
	v_and_b32_e32 v5, 0x3ff, v0
	v_bfe_u32 v17, v0, 10, 10
	s_load_b64 s[26:27], s[0:1], 0x58
	s_wait_xcnt 0x0
	s_bfe_u32 s1, ttmp6, 0x4000c
	s_bfe_u32 s3, ttmp6, 0x40010
	s_and_b32 s30, ttmp7, 0xffff
	s_add_co_i32 s1, s1, 1
	s_add_co_i32 s3, s3, 1
	v_lshl_add_u32 v1, v17, 4, v5
	s_and_b32 s0, ttmp6, 15
	s_bfe_u32 s31, ttmp6, 0x40004
	s_mul_i32 s1, ttmp9, s1
	s_mul_i32 s33, s30, s3
	s_add_co_i32 s0, s0, s1
	s_add_co_i32 s31, s31, s33
	v_dual_lshrrev_b32 v4, 3, v1 :: v_dual_bitop2_b32 v18, 31, v1 bitop3:0x40
	s_wait_kmcnt 0x0
	s_ashr_i32 s5, s4, 31
	s_ashr_i32 s3, s2, 31
	;; [unrolled: 1-line block ×3, first 2 shown]
	s_cmp_eq_u32 s28, 0
	v_dual_lshrrev_b32 v28, 5, v1 :: v_dual_bitop2_b32 v29, 7, v0 bitop3:0x40
	s_cselect_b32 s0, ttmp9, s0
	s_cselect_b32 s1, s30, s31
	s_lshl_b32 s30, s0, 5
	s_lshl_b32 s0, s1, 5
	s_delay_alu instid0(SALU_CYCLE_1) | instskip(SKIP_2) | instid1(VALU_DEP_2)
	v_dual_add_nc_u32 v6, s0, v4 :: v_dual_bitop2_b32 v2, s30, v18 bitop3:0x54
	s_mov_b32 s28, s18
	v_add_nc_u32_e32 v8, s0, v17
	v_dual_lshlrev_b32 v16, 3, v29 :: v_dual_ashrrev_i32 v3, 31, v2
	s_delay_alu instid0(VALU_DEP_3) | instskip(SKIP_1) | instid1(VALU_DEP_4)
	v_ashrrev_i32_e32 v7, 31, v6
	v_cmp_neq_f64_e64 s31, s[22:23], 0
	v_dual_add_nc_u32 v14, 16, v8 :: v_dual_ashrrev_i32 v9, 31, v8
	s_delay_alu instid0(VALU_DEP_4) | instskip(NEXT) | instid1(VALU_DEP_4)
	v_mul_u64_e32 v[10:11], s[4:5], v[2:3]
	v_mul_u64_e32 v[12:13], s[2:3], v[6:7]
	v_cmp_gt_i32_e64 s0, s10, v2
	s_delay_alu instid0(VALU_DEP_4)
	v_ashrrev_i32_e32 v15, 31, v14
	v_dual_lshlrev_b32 v7, 3, v18 :: v_dual_lshlrev_b32 v32, 3, v5
	v_lshl_or_b32 v18, v4, 6, v16
	v_cmp_neq_f64_e64 s18, s[20:21], 0
	v_mul_u64_e32 v[0:1], s[28:29], v[8:9]
	v_add_nc_u32_e32 v4, s30, v5
	v_mul_u64_e32 v[2:3], s[28:29], v[14:15]
	v_cmp_gt_i32_e64 s1, s10, v6
	v_cmp_gt_i32_e32 vcc_lo, s10, v8
	s_delay_alu instid0(VALU_DEP_4)
	v_dual_mov_b32 v9, 0 :: v_dual_add_nc_u32 v6, 16, v4
	v_cmp_le_i32_e64 s2, v4, v8
	s_cmp_gt_i32 s11, 0
	v_lshl_add_u32 v33, v17, 6, 0x800
	s_cselect_b32 s5, -1, 0
	v_dual_ashrrev_i32 v5, 31, v4 :: v_dual_mov_b32 v17, v9
	s_and_b32 s28, vcc_lo, s2
	v_cmp_le_i32_e64 s2, v6, v8
	v_lshlrev_b32_e32 v8, 3, v28
	v_lshl_or_b32 v30, v28, 8, v7
	v_ashrrev_i32_e32 v7, 31, v6
	v_cmp_gt_i32_e64 s3, s10, v14
	v_cmp_le_i32_e64 s4, v4, v14
	s_and_b32 s10, vcc_lo, s2
	v_cmp_le_i32_e32 vcc_lo, v6, v14
	v_add_nc_u32_e32 v31, 0x800, v18
	v_lshl_add_u64 v[8:9], v[10:11], 3, v[8:9]
	v_lshl_add_u64 v[10:11], v[12:13], 3, v[16:17]
	s_and_b32 s29, s3, s4
	s_delay_alu instid0(VALU_DEP_2) | instskip(NEXT) | instid1(VALU_DEP_2)
	v_add_nc_u64_e32 v[8:9], s[6:7], v[8:9]
	v_add_nc_u64_e32 v[10:11], s[14:15], v[10:11]
	s_and_b32 s14, s31, s5
	s_and_b32 s15, s3, vcc_lo
	s_lshl_b64 s[2:3], s[12:13], 3
	s_lshl_b64 s[4:5], s[8:9], 3
	s_branch .LBB42_6
.LBB42_5:                               ;   in Loop: Header=BB42_6 Depth=1
	s_wait_xcnt 0x0
	s_or_b32 exec_lo, exec_lo, s6
	s_add_co_i32 s24, s24, 0x10000
	s_delay_alu instid0(SALU_CYCLE_1)
	s_cmp_lt_u32 s24, s19
	s_cbranch_scc0 .LBB42_33
.LBB42_6:                               ; =>This Loop Header: Depth=1
                                        ;     Child Loop BB42_9 Depth 2
	v_mov_b64_e32 v[18:19], 0
	v_mov_b64_e32 v[16:17], 0
	;; [unrolled: 1-line block ×4, first 2 shown]
	s_and_not1_b32 vcc_lo, exec_lo, s14
	s_cbranch_vccnz .LBB42_13
; %bb.7:                                ;   in Loop: Header=BB42_6 Depth=1
	v_mad_nc_u64_u32 v[20:21], s2, s24, v[8:9]
	v_mad_nc_u64_u32 v[22:23], s4, s24, v[10:11]
	v_mov_b64_e32 v[12:13], 0
	v_mov_b64_e32 v[14:15], 0
	;; [unrolled: 1-line block ×4, first 2 shown]
	s_mov_b32 s6, 0
	v_mad_u32 v21, s3, s24, v21
	v_mad_u32 v23, s5, s24, v23
	s_branch .LBB42_9
.LBB42_8:                               ;   in Loop: Header=BB42_9 Depth=2
	s_wait_xcnt 0x0
	s_or_b32 exec_lo, exec_lo, s7
	s_wait_loadcnt 0x0
	ds_store_b64 v31, v[26:27]
	s_wait_dscnt 0x0
	s_barrier_signal -1
	s_barrier_wait -1
	ds_load_b128 v[24:27], v33
	ds_load_2addr_b64 v[34:37], v32 offset1:16
	ds_load_b128 v[38:41], v33 offset:1024
	ds_load_b128 v[42:45], v33 offset:16
	;; [unrolled: 1-line block ×3, first 2 shown]
	v_add_nc_u64_e32 v[20:21], 64, v[20:21]
	v_add_nc_u64_e32 v[22:23], 64, v[22:23]
	s_add_co_i32 s6, s6, 8
	s_delay_alu instid0(SALU_CYCLE_1)
	s_cmp_lt_i32 s6, s11
	s_wait_dscnt 0x3
	v_fmac_f64_e32 v[18:19], v[34:35], v[24:25]
	v_fmac_f64_e32 v[16:17], v[36:37], v[24:25]
	s_wait_dscnt 0x2
	v_fmac_f64_e32 v[14:15], v[34:35], v[38:39]
	v_fmac_f64_e32 v[12:13], v[36:37], v[38:39]
	ds_load_2addr_b64 v[34:37], v32 offset0:32 offset1:48
	s_wait_dscnt 0x0
	v_fmac_f64_e32 v[18:19], v[34:35], v[26:27]
	v_fmac_f64_e32 v[16:17], v[36:37], v[26:27]
	v_fmac_f64_e32 v[14:15], v[34:35], v[40:41]
	v_fmac_f64_e32 v[12:13], v[36:37], v[40:41]
	ds_load_2addr_b64 v[24:27], v32 offset0:64 offset1:80
	s_wait_dscnt 0x0
	v_fmac_f64_e32 v[18:19], v[24:25], v[42:43]
	v_fmac_f64_e32 v[16:17], v[26:27], v[42:43]
	;; [unrolled: 6-line block ×3, first 2 shown]
	v_fmac_f64_e32 v[14:15], v[24:25], v[48:49]
	v_fmac_f64_e32 v[12:13], v[26:27], v[48:49]
	ds_load_b128 v[24:27], v33 offset:32
	ds_load_2addr_b64 v[34:37], v32 offset0:128 offset1:144
	ds_load_b128 v[38:41], v33 offset:1056
	ds_load_b128 v[42:45], v33 offset:48
	;; [unrolled: 1-line block ×3, first 2 shown]
	s_wait_dscnt 0x3
	v_fmac_f64_e32 v[18:19], v[34:35], v[24:25]
	v_fmac_f64_e32 v[16:17], v[36:37], v[24:25]
	s_wait_dscnt 0x2
	v_fmac_f64_e32 v[14:15], v[34:35], v[38:39]
	v_fmac_f64_e32 v[12:13], v[36:37], v[38:39]
	ds_load_2addr_b64 v[34:37], v32 offset0:160 offset1:176
	s_wait_dscnt 0x0
	v_fmac_f64_e32 v[18:19], v[34:35], v[26:27]
	v_fmac_f64_e32 v[16:17], v[36:37], v[26:27]
	;; [unrolled: 1-line block ×4, first 2 shown]
	ds_load_2addr_b64 v[24:27], v32 offset0:192 offset1:208
	s_wait_dscnt 0x0
	v_fmac_f64_e32 v[18:19], v[24:25], v[42:43]
	v_fmac_f64_e32 v[16:17], v[26:27], v[42:43]
	;; [unrolled: 1-line block ×4, first 2 shown]
	ds_load_2addr_b64 v[24:27], v32 offset0:224 offset1:240
	s_wait_dscnt 0x0
	s_barrier_signal -1
	s_barrier_wait -1
	v_fmac_f64_e32 v[18:19], v[24:25], v[44:45]
	v_fmac_f64_e32 v[16:17], v[26:27], v[44:45]
	;; [unrolled: 1-line block ×4, first 2 shown]
	s_cbranch_scc0 .LBB42_13
.LBB42_9:                               ;   Parent Loop BB42_6 Depth=1
                                        ; =>  This Inner Loop Header: Depth=2
	v_add_nc_u32_e32 v24, s6, v28
	s_delay_alu instid0(VALU_DEP_1) | instskip(SKIP_2) | instid1(SALU_CYCLE_1)
	v_cmp_gt_i32_e32 vcc_lo, s11, v24
	v_mov_b64_e32 v[24:25], 0
	s_and_b32 s8, s0, vcc_lo
	s_and_saveexec_b32 s7, s8
	s_cbranch_execz .LBB42_11
; %bb.10:                               ;   in Loop: Header=BB42_9 Depth=2
	global_load_b64 v[24:25], v[20:21], off
.LBB42_11:                              ;   in Loop: Header=BB42_9 Depth=2
	s_wait_xcnt 0x0
	s_or_b32 exec_lo, exec_lo, s7
	v_add_nc_u32_e32 v26, s6, v29
	s_wait_loadcnt 0x0
	ds_store_b64 v30, v[24:25]
	v_cmp_gt_i32_e32 vcc_lo, s11, v26
	v_mov_b64_e32 v[26:27], 0
	s_and_b32 s8, vcc_lo, s1
	s_delay_alu instid0(SALU_CYCLE_1)
	s_and_saveexec_b32 s7, s8
	s_cbranch_execz .LBB42_8
; %bb.12:                               ;   in Loop: Header=BB42_9 Depth=2
	global_load_b64 v[26:27], v[22:23], off
	s_branch .LBB42_8
.LBB42_13:                              ;   in Loop: Header=BB42_6 Depth=1
	s_mul_u64 s[6:7], s[26:27], s[24:25]
	s_delay_alu instid0(SALU_CYCLE_1) | instskip(NEXT) | instid1(SALU_CYCLE_1)
	s_lshl_b64 s[6:7], s[6:7], 3
	s_add_nc_u64 s[6:7], s[16:17], s[6:7]
	s_delay_alu instid0(SALU_CYCLE_1)
	v_lshl_add_u64 v[20:21], v[0:1], 3, s[6:7]
	s_and_saveexec_b32 s8, s28
	s_cbranch_execz .LBB42_17
; %bb.14:                               ;   in Loop: Header=BB42_6 Depth=1
	v_mul_f64_e32 v[18:19], s[22:23], v[18:19]
	s_delay_alu instid0(VALU_DEP_2)
	v_lshl_add_u64 v[22:23], v[4:5], 3, v[20:21]
	s_and_b32 vcc_lo, exec_lo, s18
	s_cbranch_vccz .LBB42_28
; %bb.15:                               ;   in Loop: Header=BB42_6 Depth=1
	global_load_b64 v[24:25], v[22:23], off
	s_wait_loadcnt 0x0
	v_fma_f64 v[24:25], s[20:21], v[24:25], v[18:19]
	global_store_b64 v[22:23], v[24:25], off
	s_cbranch_execnz .LBB42_17
.LBB42_16:                              ;   in Loop: Header=BB42_6 Depth=1
	global_store_b64 v[22:23], v[18:19], off
.LBB42_17:                              ;   in Loop: Header=BB42_6 Depth=1
	s_wait_xcnt 0x0
	s_or_b32 exec_lo, exec_lo, s8
	s_and_saveexec_b32 s8, s10
	s_cbranch_execz .LBB42_21
; %bb.18:                               ;   in Loop: Header=BB42_6 Depth=1
	s_delay_alu instid0(VALU_DEP_4)
	v_mul_f64_e32 v[16:17], s[22:23], v[16:17]
	v_lshl_add_u64 v[18:19], v[6:7], 3, v[20:21]
	s_and_not1_b32 vcc_lo, exec_lo, s18
	s_cbranch_vccnz .LBB42_29
; %bb.19:                               ;   in Loop: Header=BB42_6 Depth=1
	global_load_b64 v[20:21], v[18:19], off
	s_wait_loadcnt 0x0
	v_fma_f64 v[20:21], s[20:21], v[20:21], v[16:17]
	global_store_b64 v[18:19], v[20:21], off
	s_cbranch_execnz .LBB42_21
.LBB42_20:                              ;   in Loop: Header=BB42_6 Depth=1
	global_store_b64 v[18:19], v[16:17], off
.LBB42_21:                              ;   in Loop: Header=BB42_6 Depth=1
	s_wait_xcnt 0x0
	s_or_b32 exec_lo, exec_lo, s8
	v_lshl_add_u64 v[16:17], v[2:3], 3, s[6:7]
	s_and_saveexec_b32 s6, s29
	s_cbranch_execz .LBB42_25
; %bb.22:                               ;   in Loop: Header=BB42_6 Depth=1
	s_delay_alu instid0(VALU_DEP_4) | instskip(NEXT) | instid1(VALU_DEP_2)
	v_mul_f64_e32 v[14:15], s[22:23], v[14:15]
	v_lshl_add_u64 v[18:19], v[4:5], 3, v[16:17]
	s_and_not1_b32 vcc_lo, exec_lo, s18
	s_cbranch_vccnz .LBB42_30
; %bb.23:                               ;   in Loop: Header=BB42_6 Depth=1
	global_load_b64 v[20:21], v[18:19], off
	s_wait_loadcnt 0x0
	v_fma_f64 v[20:21], s[20:21], v[20:21], v[14:15]
	global_store_b64 v[18:19], v[20:21], off
	s_cbranch_execnz .LBB42_25
.LBB42_24:                              ;   in Loop: Header=BB42_6 Depth=1
	global_store_b64 v[18:19], v[14:15], off
.LBB42_25:                              ;   in Loop: Header=BB42_6 Depth=1
	s_wait_xcnt 0x0
	s_or_b32 exec_lo, exec_lo, s6
	s_and_saveexec_b32 s6, s15
	s_cbranch_execz .LBB42_5
; %bb.26:                               ;   in Loop: Header=BB42_6 Depth=1
	s_delay_alu instid0(VALU_DEP_3)
	v_mul_f64_e32 v[12:13], s[22:23], v[12:13]
	v_lshl_add_u64 v[14:15], v[6:7], 3, v[16:17]
	s_and_not1_b32 vcc_lo, exec_lo, s18
	s_cbranch_vccnz .LBB42_31
; %bb.27:                               ;   in Loop: Header=BB42_6 Depth=1
	global_load_b64 v[16:17], v[14:15], off
	s_wait_loadcnt 0x0
	v_fma_f64 v[16:17], s[20:21], v[16:17], v[12:13]
	global_store_b64 v[14:15], v[16:17], off
	s_cbranch_execnz .LBB42_5
	s_branch .LBB42_32
.LBB42_28:                              ;   in Loop: Header=BB42_6 Depth=1
	s_branch .LBB42_16
.LBB42_29:                              ;   in Loop: Header=BB42_6 Depth=1
	s_branch .LBB42_20
.LBB42_30:                              ;   in Loop: Header=BB42_6 Depth=1
	s_branch .LBB42_24
.LBB42_31:                              ;   in Loop: Header=BB42_6 Depth=1
.LBB42_32:                              ;   in Loop: Header=BB42_6 Depth=1
	global_store_b64 v[14:15], v[12:13], off
	s_branch .LBB42_5
.LBB42_33:
	s_endpgm
	.section	.rodata,"a",@progbits
	.p2align	6, 0x0
	.amdhsa_kernel _ZL29rocblas_internal_gemmt_kernelIiLi16ELi32ELi8ELc67ELc78ELc85ELb0ELb0EdPKdS1_PdEviT_T9_T10_S3_lS5_S3_lS4_T11_S3_li
		.amdhsa_group_segment_fixed_size 4096
		.amdhsa_private_segment_fixed_size 0
		.amdhsa_kernarg_size 100
		.amdhsa_user_sgpr_count 2
		.amdhsa_user_sgpr_dispatch_ptr 0
		.amdhsa_user_sgpr_queue_ptr 0
		.amdhsa_user_sgpr_kernarg_segment_ptr 1
		.amdhsa_user_sgpr_dispatch_id 0
		.amdhsa_user_sgpr_kernarg_preload_length 0
		.amdhsa_user_sgpr_kernarg_preload_offset 0
		.amdhsa_user_sgpr_private_segment_size 0
		.amdhsa_wavefront_size32 1
		.amdhsa_uses_dynamic_stack 0
		.amdhsa_enable_private_segment 0
		.amdhsa_system_sgpr_workgroup_id_x 1
		.amdhsa_system_sgpr_workgroup_id_y 1
		.amdhsa_system_sgpr_workgroup_id_z 1
		.amdhsa_system_sgpr_workgroup_info 0
		.amdhsa_system_vgpr_workitem_id 1
		.amdhsa_next_free_vgpr 50
		.amdhsa_next_free_sgpr 34
		.amdhsa_named_barrier_count 0
		.amdhsa_reserve_vcc 1
		.amdhsa_float_round_mode_32 0
		.amdhsa_float_round_mode_16_64 0
		.amdhsa_float_denorm_mode_32 3
		.amdhsa_float_denorm_mode_16_64 3
		.amdhsa_fp16_overflow 0
		.amdhsa_memory_ordered 1
		.amdhsa_forward_progress 1
		.amdhsa_inst_pref_size 14
		.amdhsa_round_robin_scheduling 0
		.amdhsa_exception_fp_ieee_invalid_op 0
		.amdhsa_exception_fp_denorm_src 0
		.amdhsa_exception_fp_ieee_div_zero 0
		.amdhsa_exception_fp_ieee_overflow 0
		.amdhsa_exception_fp_ieee_underflow 0
		.amdhsa_exception_fp_ieee_inexact 0
		.amdhsa_exception_int_div_zero 0
	.end_amdhsa_kernel
	.section	.text._ZL29rocblas_internal_gemmt_kernelIiLi16ELi32ELi8ELc67ELc78ELc85ELb0ELb0EdPKdS1_PdEviT_T9_T10_S3_lS5_S3_lS4_T11_S3_li,"axG",@progbits,_ZL29rocblas_internal_gemmt_kernelIiLi16ELi32ELi8ELc67ELc78ELc85ELb0ELb0EdPKdS1_PdEviT_T9_T10_S3_lS5_S3_lS4_T11_S3_li,comdat
.Lfunc_end42:
	.size	_ZL29rocblas_internal_gemmt_kernelIiLi16ELi32ELi8ELc67ELc78ELc85ELb0ELb0EdPKdS1_PdEviT_T9_T10_S3_lS5_S3_lS4_T11_S3_li, .Lfunc_end42-_ZL29rocblas_internal_gemmt_kernelIiLi16ELi32ELi8ELc67ELc78ELc85ELb0ELb0EdPKdS1_PdEviT_T9_T10_S3_lS5_S3_lS4_T11_S3_li
                                        ; -- End function
	.set _ZL29rocblas_internal_gemmt_kernelIiLi16ELi32ELi8ELc67ELc78ELc85ELb0ELb0EdPKdS1_PdEviT_T9_T10_S3_lS5_S3_lS4_T11_S3_li.num_vgpr, 50
	.set _ZL29rocblas_internal_gemmt_kernelIiLi16ELi32ELi8ELc67ELc78ELc85ELb0ELb0EdPKdS1_PdEviT_T9_T10_S3_lS5_S3_lS4_T11_S3_li.num_agpr, 0
	.set _ZL29rocblas_internal_gemmt_kernelIiLi16ELi32ELi8ELc67ELc78ELc85ELb0ELb0EdPKdS1_PdEviT_T9_T10_S3_lS5_S3_lS4_T11_S3_li.numbered_sgpr, 34
	.set _ZL29rocblas_internal_gemmt_kernelIiLi16ELi32ELi8ELc67ELc78ELc85ELb0ELb0EdPKdS1_PdEviT_T9_T10_S3_lS5_S3_lS4_T11_S3_li.num_named_barrier, 0
	.set _ZL29rocblas_internal_gemmt_kernelIiLi16ELi32ELi8ELc67ELc78ELc85ELb0ELb0EdPKdS1_PdEviT_T9_T10_S3_lS5_S3_lS4_T11_S3_li.private_seg_size, 0
	.set _ZL29rocblas_internal_gemmt_kernelIiLi16ELi32ELi8ELc67ELc78ELc85ELb0ELb0EdPKdS1_PdEviT_T9_T10_S3_lS5_S3_lS4_T11_S3_li.uses_vcc, 1
	.set _ZL29rocblas_internal_gemmt_kernelIiLi16ELi32ELi8ELc67ELc78ELc85ELb0ELb0EdPKdS1_PdEviT_T9_T10_S3_lS5_S3_lS4_T11_S3_li.uses_flat_scratch, 0
	.set _ZL29rocblas_internal_gemmt_kernelIiLi16ELi32ELi8ELc67ELc78ELc85ELb0ELb0EdPKdS1_PdEviT_T9_T10_S3_lS5_S3_lS4_T11_S3_li.has_dyn_sized_stack, 0
	.set _ZL29rocblas_internal_gemmt_kernelIiLi16ELi32ELi8ELc67ELc78ELc85ELb0ELb0EdPKdS1_PdEviT_T9_T10_S3_lS5_S3_lS4_T11_S3_li.has_recursion, 0
	.set _ZL29rocblas_internal_gemmt_kernelIiLi16ELi32ELi8ELc67ELc78ELc85ELb0ELb0EdPKdS1_PdEviT_T9_T10_S3_lS5_S3_lS4_T11_S3_li.has_indirect_call, 0
	.section	.AMDGPU.csdata,"",@progbits
; Kernel info:
; codeLenInByte = 1672
; TotalNumSgprs: 36
; NumVgprs: 50
; ScratchSize: 0
; MemoryBound: 0
; FloatMode: 240
; IeeeMode: 1
; LDSByteSize: 4096 bytes/workgroup (compile time only)
; SGPRBlocks: 0
; VGPRBlocks: 3
; NumSGPRsForWavesPerEU: 36
; NumVGPRsForWavesPerEU: 50
; NamedBarCnt: 0
; Occupancy: 16
; WaveLimiterHint : 0
; COMPUTE_PGM_RSRC2:SCRATCH_EN: 0
; COMPUTE_PGM_RSRC2:USER_SGPR: 2
; COMPUTE_PGM_RSRC2:TRAP_HANDLER: 0
; COMPUTE_PGM_RSRC2:TGID_X_EN: 1
; COMPUTE_PGM_RSRC2:TGID_Y_EN: 1
; COMPUTE_PGM_RSRC2:TGID_Z_EN: 1
; COMPUTE_PGM_RSRC2:TIDIG_COMP_CNT: 1
	.section	.text._ZL29rocblas_internal_gemmt_kernelIiLi16ELi32ELi8ELc67ELc84ELc85ELb0ELb0EdPKdS1_PdEviT_T9_T10_S3_lS5_S3_lS4_T11_S3_li,"axG",@progbits,_ZL29rocblas_internal_gemmt_kernelIiLi16ELi32ELi8ELc67ELc84ELc85ELb0ELb0EdPKdS1_PdEviT_T9_T10_S3_lS5_S3_lS4_T11_S3_li,comdat
	.globl	_ZL29rocblas_internal_gemmt_kernelIiLi16ELi32ELi8ELc67ELc84ELc85ELb0ELb0EdPKdS1_PdEviT_T9_T10_S3_lS5_S3_lS4_T11_S3_li ; -- Begin function _ZL29rocblas_internal_gemmt_kernelIiLi16ELi32ELi8ELc67ELc84ELc85ELb0ELb0EdPKdS1_PdEviT_T9_T10_S3_lS5_S3_lS4_T11_S3_li
	.p2align	8
	.type	_ZL29rocblas_internal_gemmt_kernelIiLi16ELi32ELi8ELc67ELc84ELc85ELb0ELb0EdPKdS1_PdEviT_T9_T10_S3_lS5_S3_lS4_T11_S3_li,@function
_ZL29rocblas_internal_gemmt_kernelIiLi16ELi32ELi8ELc67ELc84ELc85ELb0ELb0EdPKdS1_PdEviT_T9_T10_S3_lS5_S3_lS4_T11_S3_li: ; @_ZL29rocblas_internal_gemmt_kernelIiLi16ELi32ELi8ELc67ELc84ELc85ELb0ELb0EdPKdS1_PdEviT_T9_T10_S3_lS5_S3_lS4_T11_S3_li
; %bb.0:
	s_load_b128 s[4:7], s[0:1], 0x38
	s_wait_kmcnt 0x0
	s_load_b64 s[20:21], s[6:7], 0x0
	s_load_b128 s[8:11], s[0:1], 0x8
	s_wait_xcnt 0x0
	s_load_b64 s[6:7], s[0:1], 0x0
	s_wait_kmcnt 0x0
	s_load_b64 s[22:23], s[8:9], 0x0
	v_cmp_neq_f64_e64 s2, s[20:21], 1.0
	s_and_b32 vcc_lo, exec_lo, s2
	s_cbranch_vccnz .LBB43_2
; %bb.1:
	s_wait_kmcnt 0x0
	v_cmp_neq_f64_e64 s2, s[22:23], 0
	s_cmp_lg_u32 s7, 0
	s_cselect_b32 s3, -1, 0
	s_delay_alu instid0(SALU_CYCLE_1)
	s_and_b32 s2, s3, s2
.LBB43_2:
	s_delay_alu instid0(SALU_CYCLE_1)
	s_and_not1_b32 vcc_lo, exec_lo, s2
	s_cbranch_vccnz .LBB43_33
; %bb.3:
	s_load_b32 s19, s[0:1], 0x60
	s_bfe_u32 s2, ttmp6, 0x40014
	s_lshr_b32 s3, ttmp7, 16
	s_add_co_i32 s2, s2, 1
	s_wait_xcnt 0x0
	s_bfe_u32 s8, ttmp6, 0x40008
	s_mul_i32 s2, s3, s2
	s_getreg_b32 s28, hwreg(HW_REG_IB_STS2, 6, 4)
	s_add_co_i32 s8, s8, s2
	s_cmp_eq_u32 s28, 0
	s_mov_b32 s9, 0
	s_cselect_b32 s8, s3, s8
	s_wait_kmcnt 0x0
	s_cmp_ge_u32 s8, s19
	s_cbranch_scc1 .LBB43_33
; %bb.4:
	s_clause 0x3
	s_load_b32 s2, s[0:1], 0x18
	s_load_b32 s26, s[0:1], 0x30
	s_load_b96 s[16:18], s[0:1], 0x48
	s_load_b128 s[12:15], s[0:1], 0x20
	v_and_b32_e32 v9, 0x3ff, v0
	v_bfe_u32 v10, v0, 10, 10
	s_load_b64 s[24:25], s[0:1], 0x58
	s_wait_xcnt 0x0
	s_bfe_u32 s1, ttmp6, 0x4000c
	s_bfe_u32 s3, ttmp6, 0x40010
	s_and_b32 s30, ttmp7, 0xffff
	s_add_co_i32 s1, s1, 1
	s_add_co_i32 s3, s3, 1
	v_lshl_add_u32 v1, v10, 4, v9
	s_and_b32 s0, ttmp6, 15
	s_mul_i32 s1, ttmp9, s1
	s_mul_i32 s31, s30, s3
	s_bfe_u32 s33, ttmp6, 0x40004
	s_add_co_i32 s0, s0, s1
	s_add_co_i32 s33, s33, s31
	v_dual_lshrrev_b32 v5, 3, v1 :: v_dual_bitop2_b32 v4, 31, v1 bitop3:0x40
	s_wait_kmcnt 0x0
	s_ashr_i32 s3, s2, 31
	s_ashr_i32 s27, s26, 31
	;; [unrolled: 1-line block ×3, first 2 shown]
	s_cmp_eq_u32 s28, 0
	v_dual_lshrrev_b32 v30, 5, v1 :: v_dual_bitop2_b32 v0, 7, v0 bitop3:0x40
	s_cselect_b32 s0, ttmp9, s0
	s_cselect_b32 s1, s30, s33
	s_lshl_b32 s30, s0, 5
	s_delay_alu instid0(SALU_CYCLE_1) | instskip(SKIP_2) | instid1(VALU_DEP_1)
	v_dual_mov_b32 v11, 0 :: v_dual_bitop2_b32 v2, s30, v4 bitop3:0x54
	s_lshl_b32 s0, s1, 5
	s_mov_b32 s28, s18
	v_dual_mov_b32 v1, v11 :: v_dual_add_nc_u32 v12, s0, v5
	v_add_nc_u32_e32 v14, s0, v10
	v_ashrrev_i32_e32 v3, 31, v2
	v_cmp_neq_f64_e64 s31, s[22:23], 0
	v_cmp_gt_i32_e64 s0, s6, v2
	v_mul_u64_e32 v[18:19], s[26:27], v[0:1]
	v_dual_add_nc_u32 v20, 16, v14 :: v_dual_lshlrev_b32 v1, 3, v0
	v_mul_u64_e32 v[16:17], s[2:3], v[2:3]
	v_dual_lshlrev_b32 v3, 3, v4 :: v_dual_ashrrev_i32 v15, 31, v14
	s_delay_alu instid0(VALU_DEP_3) | instskip(NEXT) | instid1(VALU_DEP_4)
	v_dual_ashrrev_i32 v21, 31, v20 :: v_dual_add_nc_u32 v2, s30, v9
	v_lshl_or_b32 v8, v5, 6, v1
	v_cmp_neq_f64_e64 s18, s[20:21], 0
	s_delay_alu instid0(VALU_DEP_4) | instskip(NEXT) | instid1(VALU_DEP_4)
	v_mul_u64_e32 v[4:5], s[28:29], v[14:15]
	v_mul_u64_e32 v[6:7], s[28:29], v[20:21]
	v_ashrrev_i32_e32 v13, 31, v12
	v_add_nc_u32_e32 v31, 0x800, v8
	v_add_nc_u32_e32 v8, 16, v2
	v_cmp_gt_i32_e64 s1, s6, v12
	v_lshl_add_u32 v33, v10, 6, 0x800
	v_lshlrev_b64_e32 v[12:13], 3, v[12:13]
	v_lshlrev_b32_e32 v10, 3, v30
	v_cmp_gt_i32_e32 vcc_lo, s6, v14
	v_cmp_le_i32_e64 s2, v2, v14
	v_lshlrev_b32_e32 v32, 3, v9
	v_cmp_le_i32_e64 s3, v8, v14
	v_ashrrev_i32_e32 v9, 31, v8
	s_cmp_gt_i32 s7, 0
	v_lshl_or_b32 v1, v30, 8, v3
	s_cselect_b32 s33, -1, 0
	s_and_b32 s28, vcc_lo, s2
	s_and_b32 s29, vcc_lo, s3
	v_cmp_gt_i32_e32 vcc_lo, s6, v20
	v_cmp_le_i32_e64 s2, v2, v20
	v_cmp_le_i32_e64 s3, v8, v20
	v_lshl_add_u64 v[12:13], v[18:19], 3, v[12:13]
	v_ashrrev_i32_e32 v3, 31, v2
	s_lshl_b64 s[4:5], s[4:5], 3
	v_lshl_add_u64 v[10:11], v[16:17], 3, v[10:11]
	s_and_b32 s6, vcc_lo, s2
	v_add_nc_u64_e32 v[12:13], s[14:15], v[12:13]
	s_and_b32 s30, vcc_lo, s3
	s_and_b32 s14, s31, s33
	v_add_nc_u64_e32 v[10:11], s[10:11], v[10:11]
	s_lshl_b64 s[2:3], s[12:13], 3
	s_lshl_b64 s[10:11], s[26:27], 6
	s_branch .LBB43_6
.LBB43_5:                               ;   in Loop: Header=BB43_6 Depth=1
	s_wait_xcnt 0x0
	s_or_b32 exec_lo, exec_lo, s12
	s_add_co_i32 s8, s8, 0x10000
	s_delay_alu instid0(SALU_CYCLE_1)
	s_cmp_lt_u32 s8, s19
	s_cbranch_scc0 .LBB43_33
.LBB43_6:                               ; =>This Loop Header: Depth=1
                                        ;     Child Loop BB43_9 Depth 2
	v_mov_b64_e32 v[20:21], 0
	v_mov_b64_e32 v[18:19], 0
	;; [unrolled: 1-line block ×4, first 2 shown]
	s_and_not1_b32 vcc_lo, exec_lo, s14
	s_cbranch_vccnz .LBB43_13
; %bb.7:                                ;   in Loop: Header=BB43_6 Depth=1
	v_mad_nc_u64_u32 v[22:23], s2, s8, v[10:11]
	v_mad_nc_u64_u32 v[24:25], s4, s8, v[12:13]
	v_mov_b64_e32 v[14:15], 0
	v_mov_b64_e32 v[16:17], 0
	;; [unrolled: 1-line block ×4, first 2 shown]
	s_mov_b32 s12, 0
	v_mad_u32 v23, s3, s8, v23
	v_mad_u32 v25, s5, s8, v25
	s_branch .LBB43_9
.LBB43_8:                               ;   in Loop: Header=BB43_9 Depth=2
	s_wait_xcnt 0x0
	s_or_b32 exec_lo, exec_lo, s13
	s_wait_loadcnt 0x0
	ds_store_b64 v31, v[28:29]
	s_wait_dscnt 0x0
	s_barrier_signal -1
	s_barrier_wait -1
	ds_load_b128 v[26:29], v33
	ds_load_2addr_b64 v[34:37], v32 offset1:16
	ds_load_b128 v[38:41], v33 offset:1024
	ds_load_b128 v[42:45], v33 offset:16
	;; [unrolled: 1-line block ×3, first 2 shown]
	v_add_nc_u64_e32 v[22:23], 64, v[22:23]
	v_add_nc_u64_e32 v[24:25], s[10:11], v[24:25]
	s_add_co_i32 s12, s12, 8
	s_delay_alu instid0(SALU_CYCLE_1)
	s_cmp_lt_i32 s12, s7
	s_wait_dscnt 0x3
	v_fmac_f64_e32 v[20:21], v[34:35], v[26:27]
	v_fmac_f64_e32 v[18:19], v[36:37], v[26:27]
	s_wait_dscnt 0x2
	v_fmac_f64_e32 v[16:17], v[34:35], v[38:39]
	v_fmac_f64_e32 v[14:15], v[36:37], v[38:39]
	ds_load_2addr_b64 v[34:37], v32 offset0:32 offset1:48
	s_wait_dscnt 0x0
	v_fmac_f64_e32 v[20:21], v[34:35], v[28:29]
	v_fmac_f64_e32 v[18:19], v[36:37], v[28:29]
	v_fmac_f64_e32 v[16:17], v[34:35], v[40:41]
	v_fmac_f64_e32 v[14:15], v[36:37], v[40:41]
	ds_load_2addr_b64 v[26:29], v32 offset0:64 offset1:80
	s_wait_dscnt 0x0
	v_fmac_f64_e32 v[20:21], v[26:27], v[42:43]
	v_fmac_f64_e32 v[18:19], v[28:29], v[42:43]
	;; [unrolled: 6-line block ×3, first 2 shown]
	v_fmac_f64_e32 v[16:17], v[26:27], v[48:49]
	v_fmac_f64_e32 v[14:15], v[28:29], v[48:49]
	ds_load_b128 v[26:29], v33 offset:32
	ds_load_2addr_b64 v[34:37], v32 offset0:128 offset1:144
	ds_load_b128 v[38:41], v33 offset:1056
	ds_load_b128 v[42:45], v33 offset:48
	;; [unrolled: 1-line block ×3, first 2 shown]
	s_wait_dscnt 0x3
	v_fmac_f64_e32 v[20:21], v[34:35], v[26:27]
	v_fmac_f64_e32 v[18:19], v[36:37], v[26:27]
	s_wait_dscnt 0x2
	v_fmac_f64_e32 v[16:17], v[34:35], v[38:39]
	v_fmac_f64_e32 v[14:15], v[36:37], v[38:39]
	ds_load_2addr_b64 v[34:37], v32 offset0:160 offset1:176
	s_wait_dscnt 0x0
	v_fmac_f64_e32 v[20:21], v[34:35], v[28:29]
	v_fmac_f64_e32 v[18:19], v[36:37], v[28:29]
	;; [unrolled: 1-line block ×4, first 2 shown]
	ds_load_2addr_b64 v[26:29], v32 offset0:192 offset1:208
	s_wait_dscnt 0x0
	v_fmac_f64_e32 v[20:21], v[26:27], v[42:43]
	v_fmac_f64_e32 v[18:19], v[28:29], v[42:43]
	;; [unrolled: 1-line block ×4, first 2 shown]
	ds_load_2addr_b64 v[26:29], v32 offset0:224 offset1:240
	s_wait_dscnt 0x0
	s_barrier_signal -1
	s_barrier_wait -1
	v_fmac_f64_e32 v[20:21], v[26:27], v[44:45]
	v_fmac_f64_e32 v[18:19], v[28:29], v[44:45]
	;; [unrolled: 1-line block ×4, first 2 shown]
	s_cbranch_scc0 .LBB43_13
.LBB43_9:                               ;   Parent Loop BB43_6 Depth=1
                                        ; =>  This Inner Loop Header: Depth=2
	v_add_nc_u32_e32 v26, s12, v30
	s_delay_alu instid0(VALU_DEP_1) | instskip(SKIP_2) | instid1(SALU_CYCLE_1)
	v_cmp_gt_i32_e32 vcc_lo, s7, v26
	v_mov_b64_e32 v[26:27], 0
	s_and_b32 s15, s0, vcc_lo
	s_and_saveexec_b32 s13, s15
	s_cbranch_execz .LBB43_11
; %bb.10:                               ;   in Loop: Header=BB43_9 Depth=2
	global_load_b64 v[26:27], v[22:23], off
.LBB43_11:                              ;   in Loop: Header=BB43_9 Depth=2
	s_wait_xcnt 0x0
	s_or_b32 exec_lo, exec_lo, s13
	v_add_nc_u32_e32 v28, s12, v0
	s_wait_loadcnt 0x0
	ds_store_b64 v1, v[26:27]
	v_cmp_gt_i32_e32 vcc_lo, s7, v28
	v_mov_b64_e32 v[28:29], 0
	s_and_b32 s15, vcc_lo, s1
	s_delay_alu instid0(SALU_CYCLE_1)
	s_and_saveexec_b32 s13, s15
	s_cbranch_execz .LBB43_8
; %bb.12:                               ;   in Loop: Header=BB43_9 Depth=2
	global_load_b64 v[28:29], v[24:25], off
	s_branch .LBB43_8
.LBB43_13:                              ;   in Loop: Header=BB43_6 Depth=1
	s_mul_u64 s[12:13], s[24:25], s[8:9]
	s_delay_alu instid0(SALU_CYCLE_1) | instskip(NEXT) | instid1(SALU_CYCLE_1)
	s_lshl_b64 s[12:13], s[12:13], 3
	s_add_nc_u64 s[12:13], s[16:17], s[12:13]
	s_delay_alu instid0(SALU_CYCLE_1)
	v_lshl_add_u64 v[22:23], v[4:5], 3, s[12:13]
	s_and_saveexec_b32 s15, s28
	s_cbranch_execz .LBB43_17
; %bb.14:                               ;   in Loop: Header=BB43_6 Depth=1
	v_mul_f64_e32 v[20:21], s[22:23], v[20:21]
	s_delay_alu instid0(VALU_DEP_2)
	v_lshl_add_u64 v[24:25], v[2:3], 3, v[22:23]
	s_and_b32 vcc_lo, exec_lo, s18
	s_cbranch_vccz .LBB43_28
; %bb.15:                               ;   in Loop: Header=BB43_6 Depth=1
	global_load_b64 v[26:27], v[24:25], off
	s_wait_loadcnt 0x0
	v_fma_f64 v[26:27], s[20:21], v[26:27], v[20:21]
	global_store_b64 v[24:25], v[26:27], off
	s_cbranch_execnz .LBB43_17
.LBB43_16:                              ;   in Loop: Header=BB43_6 Depth=1
	global_store_b64 v[24:25], v[20:21], off
.LBB43_17:                              ;   in Loop: Header=BB43_6 Depth=1
	s_wait_xcnt 0x0
	s_or_b32 exec_lo, exec_lo, s15
	s_and_saveexec_b32 s15, s29
	s_cbranch_execz .LBB43_21
; %bb.18:                               ;   in Loop: Header=BB43_6 Depth=1
	s_delay_alu instid0(VALU_DEP_4)
	v_mul_f64_e32 v[18:19], s[22:23], v[18:19]
	v_lshl_add_u64 v[20:21], v[8:9], 3, v[22:23]
	s_and_not1_b32 vcc_lo, exec_lo, s18
	s_cbranch_vccnz .LBB43_29
; %bb.19:                               ;   in Loop: Header=BB43_6 Depth=1
	global_load_b64 v[22:23], v[20:21], off
	s_wait_loadcnt 0x0
	v_fma_f64 v[22:23], s[20:21], v[22:23], v[18:19]
	global_store_b64 v[20:21], v[22:23], off
	s_cbranch_execnz .LBB43_21
.LBB43_20:                              ;   in Loop: Header=BB43_6 Depth=1
	global_store_b64 v[20:21], v[18:19], off
.LBB43_21:                              ;   in Loop: Header=BB43_6 Depth=1
	s_wait_xcnt 0x0
	s_or_b32 exec_lo, exec_lo, s15
	v_lshl_add_u64 v[18:19], v[6:7], 3, s[12:13]
	s_and_saveexec_b32 s12, s6
	s_cbranch_execz .LBB43_25
; %bb.22:                               ;   in Loop: Header=BB43_6 Depth=1
	s_delay_alu instid0(VALU_DEP_4) | instskip(NEXT) | instid1(VALU_DEP_2)
	v_mul_f64_e32 v[16:17], s[22:23], v[16:17]
	v_lshl_add_u64 v[20:21], v[2:3], 3, v[18:19]
	s_and_not1_b32 vcc_lo, exec_lo, s18
	s_cbranch_vccnz .LBB43_30
; %bb.23:                               ;   in Loop: Header=BB43_6 Depth=1
	global_load_b64 v[22:23], v[20:21], off
	s_wait_loadcnt 0x0
	v_fma_f64 v[22:23], s[20:21], v[22:23], v[16:17]
	global_store_b64 v[20:21], v[22:23], off
	s_cbranch_execnz .LBB43_25
.LBB43_24:                              ;   in Loop: Header=BB43_6 Depth=1
	global_store_b64 v[20:21], v[16:17], off
.LBB43_25:                              ;   in Loop: Header=BB43_6 Depth=1
	s_wait_xcnt 0x0
	s_or_b32 exec_lo, exec_lo, s12
	s_and_saveexec_b32 s12, s30
	s_cbranch_execz .LBB43_5
; %bb.26:                               ;   in Loop: Header=BB43_6 Depth=1
	s_delay_alu instid0(VALU_DEP_3)
	v_mul_f64_e32 v[14:15], s[22:23], v[14:15]
	v_lshl_add_u64 v[16:17], v[8:9], 3, v[18:19]
	s_and_not1_b32 vcc_lo, exec_lo, s18
	s_cbranch_vccnz .LBB43_31
; %bb.27:                               ;   in Loop: Header=BB43_6 Depth=1
	global_load_b64 v[18:19], v[16:17], off
	s_wait_loadcnt 0x0
	v_fma_f64 v[18:19], s[20:21], v[18:19], v[14:15]
	global_store_b64 v[16:17], v[18:19], off
	s_cbranch_execnz .LBB43_5
	s_branch .LBB43_32
.LBB43_28:                              ;   in Loop: Header=BB43_6 Depth=1
	s_branch .LBB43_16
.LBB43_29:                              ;   in Loop: Header=BB43_6 Depth=1
	s_branch .LBB43_20
.LBB43_30:                              ;   in Loop: Header=BB43_6 Depth=1
	s_branch .LBB43_24
.LBB43_31:                              ;   in Loop: Header=BB43_6 Depth=1
.LBB43_32:                              ;   in Loop: Header=BB43_6 Depth=1
	global_store_b64 v[16:17], v[14:15], off
	s_branch .LBB43_5
.LBB43_33:
	s_endpgm
	.section	.rodata,"a",@progbits
	.p2align	6, 0x0
	.amdhsa_kernel _ZL29rocblas_internal_gemmt_kernelIiLi16ELi32ELi8ELc67ELc84ELc85ELb0ELb0EdPKdS1_PdEviT_T9_T10_S3_lS5_S3_lS4_T11_S3_li
		.amdhsa_group_segment_fixed_size 4096
		.amdhsa_private_segment_fixed_size 0
		.amdhsa_kernarg_size 100
		.amdhsa_user_sgpr_count 2
		.amdhsa_user_sgpr_dispatch_ptr 0
		.amdhsa_user_sgpr_queue_ptr 0
		.amdhsa_user_sgpr_kernarg_segment_ptr 1
		.amdhsa_user_sgpr_dispatch_id 0
		.amdhsa_user_sgpr_kernarg_preload_length 0
		.amdhsa_user_sgpr_kernarg_preload_offset 0
		.amdhsa_user_sgpr_private_segment_size 0
		.amdhsa_wavefront_size32 1
		.amdhsa_uses_dynamic_stack 0
		.amdhsa_enable_private_segment 0
		.amdhsa_system_sgpr_workgroup_id_x 1
		.amdhsa_system_sgpr_workgroup_id_y 1
		.amdhsa_system_sgpr_workgroup_id_z 1
		.amdhsa_system_sgpr_workgroup_info 0
		.amdhsa_system_vgpr_workitem_id 1
		.amdhsa_next_free_vgpr 50
		.amdhsa_next_free_sgpr 34
		.amdhsa_named_barrier_count 0
		.amdhsa_reserve_vcc 1
		.amdhsa_float_round_mode_32 0
		.amdhsa_float_round_mode_16_64 0
		.amdhsa_float_denorm_mode_32 3
		.amdhsa_float_denorm_mode_16_64 3
		.amdhsa_fp16_overflow 0
		.amdhsa_memory_ordered 1
		.amdhsa_forward_progress 1
		.amdhsa_inst_pref_size 13
		.amdhsa_round_robin_scheduling 0
		.amdhsa_exception_fp_ieee_invalid_op 0
		.amdhsa_exception_fp_denorm_src 0
		.amdhsa_exception_fp_ieee_div_zero 0
		.amdhsa_exception_fp_ieee_overflow 0
		.amdhsa_exception_fp_ieee_underflow 0
		.amdhsa_exception_fp_ieee_inexact 0
		.amdhsa_exception_int_div_zero 0
	.end_amdhsa_kernel
	.section	.text._ZL29rocblas_internal_gemmt_kernelIiLi16ELi32ELi8ELc67ELc84ELc85ELb0ELb0EdPKdS1_PdEviT_T9_T10_S3_lS5_S3_lS4_T11_S3_li,"axG",@progbits,_ZL29rocblas_internal_gemmt_kernelIiLi16ELi32ELi8ELc67ELc84ELc85ELb0ELb0EdPKdS1_PdEviT_T9_T10_S3_lS5_S3_lS4_T11_S3_li,comdat
.Lfunc_end43:
	.size	_ZL29rocblas_internal_gemmt_kernelIiLi16ELi32ELi8ELc67ELc84ELc85ELb0ELb0EdPKdS1_PdEviT_T9_T10_S3_lS5_S3_lS4_T11_S3_li, .Lfunc_end43-_ZL29rocblas_internal_gemmt_kernelIiLi16ELi32ELi8ELc67ELc84ELc85ELb0ELb0EdPKdS1_PdEviT_T9_T10_S3_lS5_S3_lS4_T11_S3_li
                                        ; -- End function
	.set _ZL29rocblas_internal_gemmt_kernelIiLi16ELi32ELi8ELc67ELc84ELc85ELb0ELb0EdPKdS1_PdEviT_T9_T10_S3_lS5_S3_lS4_T11_S3_li.num_vgpr, 50
	.set _ZL29rocblas_internal_gemmt_kernelIiLi16ELi32ELi8ELc67ELc84ELc85ELb0ELb0EdPKdS1_PdEviT_T9_T10_S3_lS5_S3_lS4_T11_S3_li.num_agpr, 0
	.set _ZL29rocblas_internal_gemmt_kernelIiLi16ELi32ELi8ELc67ELc84ELc85ELb0ELb0EdPKdS1_PdEviT_T9_T10_S3_lS5_S3_lS4_T11_S3_li.numbered_sgpr, 34
	.set _ZL29rocblas_internal_gemmt_kernelIiLi16ELi32ELi8ELc67ELc84ELc85ELb0ELb0EdPKdS1_PdEviT_T9_T10_S3_lS5_S3_lS4_T11_S3_li.num_named_barrier, 0
	.set _ZL29rocblas_internal_gemmt_kernelIiLi16ELi32ELi8ELc67ELc84ELc85ELb0ELb0EdPKdS1_PdEviT_T9_T10_S3_lS5_S3_lS4_T11_S3_li.private_seg_size, 0
	.set _ZL29rocblas_internal_gemmt_kernelIiLi16ELi32ELi8ELc67ELc84ELc85ELb0ELb0EdPKdS1_PdEviT_T9_T10_S3_lS5_S3_lS4_T11_S3_li.uses_vcc, 1
	.set _ZL29rocblas_internal_gemmt_kernelIiLi16ELi32ELi8ELc67ELc84ELc85ELb0ELb0EdPKdS1_PdEviT_T9_T10_S3_lS5_S3_lS4_T11_S3_li.uses_flat_scratch, 0
	.set _ZL29rocblas_internal_gemmt_kernelIiLi16ELi32ELi8ELc67ELc84ELc85ELb0ELb0EdPKdS1_PdEviT_T9_T10_S3_lS5_S3_lS4_T11_S3_li.has_dyn_sized_stack, 0
	.set _ZL29rocblas_internal_gemmt_kernelIiLi16ELi32ELi8ELc67ELc84ELc85ELb0ELb0EdPKdS1_PdEviT_T9_T10_S3_lS5_S3_lS4_T11_S3_li.has_recursion, 0
	.set _ZL29rocblas_internal_gemmt_kernelIiLi16ELi32ELi8ELc67ELc84ELc85ELb0ELb0EdPKdS1_PdEviT_T9_T10_S3_lS5_S3_lS4_T11_S3_li.has_indirect_call, 0
	.section	.AMDGPU.csdata,"",@progbits
; Kernel info:
; codeLenInByte = 1664
; TotalNumSgprs: 36
; NumVgprs: 50
; ScratchSize: 0
; MemoryBound: 0
; FloatMode: 240
; IeeeMode: 1
; LDSByteSize: 4096 bytes/workgroup (compile time only)
; SGPRBlocks: 0
; VGPRBlocks: 3
; NumSGPRsForWavesPerEU: 36
; NumVGPRsForWavesPerEU: 50
; NamedBarCnt: 0
; Occupancy: 16
; WaveLimiterHint : 0
; COMPUTE_PGM_RSRC2:SCRATCH_EN: 0
; COMPUTE_PGM_RSRC2:USER_SGPR: 2
; COMPUTE_PGM_RSRC2:TRAP_HANDLER: 0
; COMPUTE_PGM_RSRC2:TGID_X_EN: 1
; COMPUTE_PGM_RSRC2:TGID_Y_EN: 1
; COMPUTE_PGM_RSRC2:TGID_Z_EN: 1
; COMPUTE_PGM_RSRC2:TIDIG_COMP_CNT: 1
	.section	.text._ZL29rocblas_internal_gemmt_kernelIiLi16ELi32ELi8ELc67ELc67ELc85ELb0ELb0EdPKdS1_PdEviT_T9_T10_S3_lS5_S3_lS4_T11_S3_li,"axG",@progbits,_ZL29rocblas_internal_gemmt_kernelIiLi16ELi32ELi8ELc67ELc67ELc85ELb0ELb0EdPKdS1_PdEviT_T9_T10_S3_lS5_S3_lS4_T11_S3_li,comdat
	.globl	_ZL29rocblas_internal_gemmt_kernelIiLi16ELi32ELi8ELc67ELc67ELc85ELb0ELb0EdPKdS1_PdEviT_T9_T10_S3_lS5_S3_lS4_T11_S3_li ; -- Begin function _ZL29rocblas_internal_gemmt_kernelIiLi16ELi32ELi8ELc67ELc67ELc85ELb0ELb0EdPKdS1_PdEviT_T9_T10_S3_lS5_S3_lS4_T11_S3_li
	.p2align	8
	.type	_ZL29rocblas_internal_gemmt_kernelIiLi16ELi32ELi8ELc67ELc67ELc85ELb0ELb0EdPKdS1_PdEviT_T9_T10_S3_lS5_S3_lS4_T11_S3_li,@function
_ZL29rocblas_internal_gemmt_kernelIiLi16ELi32ELi8ELc67ELc67ELc85ELb0ELb0EdPKdS1_PdEviT_T9_T10_S3_lS5_S3_lS4_T11_S3_li: ; @_ZL29rocblas_internal_gemmt_kernelIiLi16ELi32ELi8ELc67ELc67ELc85ELb0ELb0EdPKdS1_PdEviT_T9_T10_S3_lS5_S3_lS4_T11_S3_li
; %bb.0:
	s_load_b128 s[4:7], s[0:1], 0x38
	s_wait_kmcnt 0x0
	s_load_b64 s[20:21], s[6:7], 0x0
	s_load_b128 s[8:11], s[0:1], 0x8
	s_wait_xcnt 0x0
	s_load_b64 s[6:7], s[0:1], 0x0
	s_wait_kmcnt 0x0
	s_load_b64 s[22:23], s[8:9], 0x0
	v_cmp_neq_f64_e64 s2, s[20:21], 1.0
	s_and_b32 vcc_lo, exec_lo, s2
	s_cbranch_vccnz .LBB44_2
; %bb.1:
	s_wait_kmcnt 0x0
	v_cmp_neq_f64_e64 s2, s[22:23], 0
	s_cmp_lg_u32 s7, 0
	s_cselect_b32 s3, -1, 0
	s_delay_alu instid0(SALU_CYCLE_1)
	s_and_b32 s2, s3, s2
.LBB44_2:
	s_delay_alu instid0(SALU_CYCLE_1)
	s_and_not1_b32 vcc_lo, exec_lo, s2
	s_cbranch_vccnz .LBB44_33
; %bb.3:
	s_load_b32 s19, s[0:1], 0x60
	s_bfe_u32 s2, ttmp6, 0x40014
	s_lshr_b32 s3, ttmp7, 16
	s_add_co_i32 s2, s2, 1
	s_wait_xcnt 0x0
	s_bfe_u32 s8, ttmp6, 0x40008
	s_mul_i32 s2, s3, s2
	s_getreg_b32 s28, hwreg(HW_REG_IB_STS2, 6, 4)
	s_add_co_i32 s8, s8, s2
	s_cmp_eq_u32 s28, 0
	s_mov_b32 s9, 0
	s_cselect_b32 s8, s3, s8
	s_wait_kmcnt 0x0
	s_cmp_ge_u32 s8, s19
	s_cbranch_scc1 .LBB44_33
; %bb.4:
	s_clause 0x3
	s_load_b32 s2, s[0:1], 0x18
	s_load_b32 s26, s[0:1], 0x30
	s_load_b96 s[16:18], s[0:1], 0x48
	s_load_b128 s[12:15], s[0:1], 0x20
	v_and_b32_e32 v9, 0x3ff, v0
	v_bfe_u32 v10, v0, 10, 10
	s_load_b64 s[24:25], s[0:1], 0x58
	s_wait_xcnt 0x0
	s_bfe_u32 s1, ttmp6, 0x4000c
	s_bfe_u32 s3, ttmp6, 0x40010
	s_and_b32 s30, ttmp7, 0xffff
	s_add_co_i32 s1, s1, 1
	s_add_co_i32 s3, s3, 1
	v_lshl_add_u32 v1, v10, 4, v9
	s_and_b32 s0, ttmp6, 15
	s_mul_i32 s1, ttmp9, s1
	s_mul_i32 s31, s30, s3
	s_bfe_u32 s33, ttmp6, 0x40004
	s_add_co_i32 s0, s0, s1
	s_add_co_i32 s33, s33, s31
	v_dual_lshrrev_b32 v5, 3, v1 :: v_dual_bitop2_b32 v4, 31, v1 bitop3:0x40
	s_wait_kmcnt 0x0
	s_ashr_i32 s3, s2, 31
	s_ashr_i32 s27, s26, 31
	s_ashr_i32 s29, s18, 31
	s_cmp_eq_u32 s28, 0
	v_dual_lshrrev_b32 v30, 5, v1 :: v_dual_bitop2_b32 v0, 7, v0 bitop3:0x40
	s_cselect_b32 s0, ttmp9, s0
	s_cselect_b32 s1, s30, s33
	s_lshl_b32 s30, s0, 5
	s_delay_alu instid0(SALU_CYCLE_1) | instskip(SKIP_2) | instid1(VALU_DEP_1)
	v_dual_mov_b32 v11, 0 :: v_dual_bitop2_b32 v2, s30, v4 bitop3:0x54
	s_lshl_b32 s0, s1, 5
	s_mov_b32 s28, s18
	v_dual_mov_b32 v1, v11 :: v_dual_add_nc_u32 v12, s0, v5
	v_add_nc_u32_e32 v14, s0, v10
	v_ashrrev_i32_e32 v3, 31, v2
	v_cmp_neq_f64_e64 s31, s[22:23], 0
	v_cmp_gt_i32_e64 s0, s6, v2
	v_mul_u64_e32 v[18:19], s[26:27], v[0:1]
	v_dual_add_nc_u32 v20, 16, v14 :: v_dual_lshlrev_b32 v1, 3, v0
	v_mul_u64_e32 v[16:17], s[2:3], v[2:3]
	v_dual_lshlrev_b32 v3, 3, v4 :: v_dual_ashrrev_i32 v15, 31, v14
	s_delay_alu instid0(VALU_DEP_3) | instskip(NEXT) | instid1(VALU_DEP_4)
	v_dual_ashrrev_i32 v21, 31, v20 :: v_dual_add_nc_u32 v2, s30, v9
	v_lshl_or_b32 v8, v5, 6, v1
	v_cmp_neq_f64_e64 s18, s[20:21], 0
	s_delay_alu instid0(VALU_DEP_4) | instskip(NEXT) | instid1(VALU_DEP_4)
	v_mul_u64_e32 v[4:5], s[28:29], v[14:15]
	v_mul_u64_e32 v[6:7], s[28:29], v[20:21]
	v_ashrrev_i32_e32 v13, 31, v12
	v_add_nc_u32_e32 v31, 0x800, v8
	v_add_nc_u32_e32 v8, 16, v2
	v_cmp_gt_i32_e64 s1, s6, v12
	v_lshl_add_u32 v33, v10, 6, 0x800
	v_lshlrev_b64_e32 v[12:13], 3, v[12:13]
	v_lshlrev_b32_e32 v10, 3, v30
	v_cmp_gt_i32_e32 vcc_lo, s6, v14
	v_cmp_le_i32_e64 s2, v2, v14
	v_lshlrev_b32_e32 v32, 3, v9
	v_cmp_le_i32_e64 s3, v8, v14
	v_ashrrev_i32_e32 v9, 31, v8
	s_cmp_gt_i32 s7, 0
	v_lshl_or_b32 v1, v30, 8, v3
	s_cselect_b32 s33, -1, 0
	s_and_b32 s28, vcc_lo, s2
	s_and_b32 s29, vcc_lo, s3
	v_cmp_gt_i32_e32 vcc_lo, s6, v20
	v_cmp_le_i32_e64 s2, v2, v20
	v_cmp_le_i32_e64 s3, v8, v20
	v_lshl_add_u64 v[12:13], v[18:19], 3, v[12:13]
	v_ashrrev_i32_e32 v3, 31, v2
	s_lshl_b64 s[4:5], s[4:5], 3
	v_lshl_add_u64 v[10:11], v[16:17], 3, v[10:11]
	s_and_b32 s6, vcc_lo, s2
	v_add_nc_u64_e32 v[12:13], s[14:15], v[12:13]
	s_and_b32 s30, vcc_lo, s3
	s_and_b32 s14, s31, s33
	v_add_nc_u64_e32 v[10:11], s[10:11], v[10:11]
	s_lshl_b64 s[2:3], s[12:13], 3
	s_lshl_b64 s[10:11], s[26:27], 6
	s_branch .LBB44_6
.LBB44_5:                               ;   in Loop: Header=BB44_6 Depth=1
	s_wait_xcnt 0x0
	s_or_b32 exec_lo, exec_lo, s12
	s_add_co_i32 s8, s8, 0x10000
	s_delay_alu instid0(SALU_CYCLE_1)
	s_cmp_lt_u32 s8, s19
	s_cbranch_scc0 .LBB44_33
.LBB44_6:                               ; =>This Loop Header: Depth=1
                                        ;     Child Loop BB44_9 Depth 2
	v_mov_b64_e32 v[20:21], 0
	v_mov_b64_e32 v[18:19], 0
	v_mov_b64_e32 v[16:17], 0
	v_mov_b64_e32 v[14:15], 0
	s_and_not1_b32 vcc_lo, exec_lo, s14
	s_cbranch_vccnz .LBB44_13
; %bb.7:                                ;   in Loop: Header=BB44_6 Depth=1
	v_mad_nc_u64_u32 v[22:23], s2, s8, v[10:11]
	v_mad_nc_u64_u32 v[24:25], s4, s8, v[12:13]
	v_mov_b64_e32 v[14:15], 0
	v_mov_b64_e32 v[16:17], 0
	;; [unrolled: 1-line block ×4, first 2 shown]
	s_mov_b32 s12, 0
	v_mad_u32 v23, s3, s8, v23
	v_mad_u32 v25, s5, s8, v25
	s_branch .LBB44_9
.LBB44_8:                               ;   in Loop: Header=BB44_9 Depth=2
	s_wait_xcnt 0x0
	s_or_b32 exec_lo, exec_lo, s13
	s_wait_loadcnt 0x0
	ds_store_b64 v31, v[28:29]
	s_wait_dscnt 0x0
	s_barrier_signal -1
	s_barrier_wait -1
	ds_load_b128 v[26:29], v33
	ds_load_2addr_b64 v[34:37], v32 offset1:16
	ds_load_b128 v[38:41], v33 offset:1024
	ds_load_b128 v[42:45], v33 offset:16
	;; [unrolled: 1-line block ×3, first 2 shown]
	v_add_nc_u64_e32 v[22:23], 64, v[22:23]
	v_add_nc_u64_e32 v[24:25], s[10:11], v[24:25]
	s_add_co_i32 s12, s12, 8
	s_delay_alu instid0(SALU_CYCLE_1)
	s_cmp_lt_i32 s12, s7
	s_wait_dscnt 0x3
	v_fmac_f64_e32 v[20:21], v[34:35], v[26:27]
	v_fmac_f64_e32 v[18:19], v[36:37], v[26:27]
	s_wait_dscnt 0x2
	v_fmac_f64_e32 v[16:17], v[34:35], v[38:39]
	v_fmac_f64_e32 v[14:15], v[36:37], v[38:39]
	ds_load_2addr_b64 v[34:37], v32 offset0:32 offset1:48
	s_wait_dscnt 0x0
	v_fmac_f64_e32 v[20:21], v[34:35], v[28:29]
	v_fmac_f64_e32 v[18:19], v[36:37], v[28:29]
	v_fmac_f64_e32 v[16:17], v[34:35], v[40:41]
	v_fmac_f64_e32 v[14:15], v[36:37], v[40:41]
	ds_load_2addr_b64 v[26:29], v32 offset0:64 offset1:80
	s_wait_dscnt 0x0
	v_fmac_f64_e32 v[20:21], v[26:27], v[42:43]
	v_fmac_f64_e32 v[18:19], v[28:29], v[42:43]
	v_fmac_f64_e32 v[16:17], v[26:27], v[46:47]
	v_fmac_f64_e32 v[14:15], v[28:29], v[46:47]
	ds_load_2addr_b64 v[26:29], v32 offset0:96 offset1:112
	s_wait_dscnt 0x0
	v_fmac_f64_e32 v[20:21], v[26:27], v[44:45]
	v_fmac_f64_e32 v[18:19], v[28:29], v[44:45]
	v_fmac_f64_e32 v[16:17], v[26:27], v[48:49]
	v_fmac_f64_e32 v[14:15], v[28:29], v[48:49]
	ds_load_b128 v[26:29], v33 offset:32
	ds_load_2addr_b64 v[34:37], v32 offset0:128 offset1:144
	ds_load_b128 v[38:41], v33 offset:1056
	ds_load_b128 v[42:45], v33 offset:48
	;; [unrolled: 1-line block ×3, first 2 shown]
	s_wait_dscnt 0x3
	v_fmac_f64_e32 v[20:21], v[34:35], v[26:27]
	v_fmac_f64_e32 v[18:19], v[36:37], v[26:27]
	s_wait_dscnt 0x2
	v_fmac_f64_e32 v[16:17], v[34:35], v[38:39]
	v_fmac_f64_e32 v[14:15], v[36:37], v[38:39]
	ds_load_2addr_b64 v[34:37], v32 offset0:160 offset1:176
	s_wait_dscnt 0x0
	v_fmac_f64_e32 v[20:21], v[34:35], v[28:29]
	v_fmac_f64_e32 v[18:19], v[36:37], v[28:29]
	;; [unrolled: 1-line block ×4, first 2 shown]
	ds_load_2addr_b64 v[26:29], v32 offset0:192 offset1:208
	s_wait_dscnt 0x0
	v_fmac_f64_e32 v[20:21], v[26:27], v[42:43]
	v_fmac_f64_e32 v[18:19], v[28:29], v[42:43]
	;; [unrolled: 1-line block ×4, first 2 shown]
	ds_load_2addr_b64 v[26:29], v32 offset0:224 offset1:240
	s_wait_dscnt 0x0
	s_barrier_signal -1
	s_barrier_wait -1
	v_fmac_f64_e32 v[20:21], v[26:27], v[44:45]
	v_fmac_f64_e32 v[18:19], v[28:29], v[44:45]
	;; [unrolled: 1-line block ×4, first 2 shown]
	s_cbranch_scc0 .LBB44_13
.LBB44_9:                               ;   Parent Loop BB44_6 Depth=1
                                        ; =>  This Inner Loop Header: Depth=2
	v_add_nc_u32_e32 v26, s12, v30
	s_delay_alu instid0(VALU_DEP_1) | instskip(SKIP_2) | instid1(SALU_CYCLE_1)
	v_cmp_gt_i32_e32 vcc_lo, s7, v26
	v_mov_b64_e32 v[26:27], 0
	s_and_b32 s15, s0, vcc_lo
	s_and_saveexec_b32 s13, s15
	s_cbranch_execz .LBB44_11
; %bb.10:                               ;   in Loop: Header=BB44_9 Depth=2
	global_load_b64 v[26:27], v[22:23], off
.LBB44_11:                              ;   in Loop: Header=BB44_9 Depth=2
	s_wait_xcnt 0x0
	s_or_b32 exec_lo, exec_lo, s13
	v_add_nc_u32_e32 v28, s12, v0
	s_wait_loadcnt 0x0
	ds_store_b64 v1, v[26:27]
	v_cmp_gt_i32_e32 vcc_lo, s7, v28
	v_mov_b64_e32 v[28:29], 0
	s_and_b32 s15, vcc_lo, s1
	s_delay_alu instid0(SALU_CYCLE_1)
	s_and_saveexec_b32 s13, s15
	s_cbranch_execz .LBB44_8
; %bb.12:                               ;   in Loop: Header=BB44_9 Depth=2
	global_load_b64 v[28:29], v[24:25], off
	s_branch .LBB44_8
.LBB44_13:                              ;   in Loop: Header=BB44_6 Depth=1
	s_mul_u64 s[12:13], s[24:25], s[8:9]
	s_delay_alu instid0(SALU_CYCLE_1) | instskip(NEXT) | instid1(SALU_CYCLE_1)
	s_lshl_b64 s[12:13], s[12:13], 3
	s_add_nc_u64 s[12:13], s[16:17], s[12:13]
	s_delay_alu instid0(SALU_CYCLE_1)
	v_lshl_add_u64 v[22:23], v[4:5], 3, s[12:13]
	s_and_saveexec_b32 s15, s28
	s_cbranch_execz .LBB44_17
; %bb.14:                               ;   in Loop: Header=BB44_6 Depth=1
	v_mul_f64_e32 v[20:21], s[22:23], v[20:21]
	s_delay_alu instid0(VALU_DEP_2)
	v_lshl_add_u64 v[24:25], v[2:3], 3, v[22:23]
	s_and_b32 vcc_lo, exec_lo, s18
	s_cbranch_vccz .LBB44_28
; %bb.15:                               ;   in Loop: Header=BB44_6 Depth=1
	global_load_b64 v[26:27], v[24:25], off
	s_wait_loadcnt 0x0
	v_fma_f64 v[26:27], s[20:21], v[26:27], v[20:21]
	global_store_b64 v[24:25], v[26:27], off
	s_cbranch_execnz .LBB44_17
.LBB44_16:                              ;   in Loop: Header=BB44_6 Depth=1
	global_store_b64 v[24:25], v[20:21], off
.LBB44_17:                              ;   in Loop: Header=BB44_6 Depth=1
	s_wait_xcnt 0x0
	s_or_b32 exec_lo, exec_lo, s15
	s_and_saveexec_b32 s15, s29
	s_cbranch_execz .LBB44_21
; %bb.18:                               ;   in Loop: Header=BB44_6 Depth=1
	s_delay_alu instid0(VALU_DEP_4)
	v_mul_f64_e32 v[18:19], s[22:23], v[18:19]
	v_lshl_add_u64 v[20:21], v[8:9], 3, v[22:23]
	s_and_not1_b32 vcc_lo, exec_lo, s18
	s_cbranch_vccnz .LBB44_29
; %bb.19:                               ;   in Loop: Header=BB44_6 Depth=1
	global_load_b64 v[22:23], v[20:21], off
	s_wait_loadcnt 0x0
	v_fma_f64 v[22:23], s[20:21], v[22:23], v[18:19]
	global_store_b64 v[20:21], v[22:23], off
	s_cbranch_execnz .LBB44_21
.LBB44_20:                              ;   in Loop: Header=BB44_6 Depth=1
	global_store_b64 v[20:21], v[18:19], off
.LBB44_21:                              ;   in Loop: Header=BB44_6 Depth=1
	s_wait_xcnt 0x0
	s_or_b32 exec_lo, exec_lo, s15
	v_lshl_add_u64 v[18:19], v[6:7], 3, s[12:13]
	s_and_saveexec_b32 s12, s6
	s_cbranch_execz .LBB44_25
; %bb.22:                               ;   in Loop: Header=BB44_6 Depth=1
	s_delay_alu instid0(VALU_DEP_4) | instskip(NEXT) | instid1(VALU_DEP_2)
	v_mul_f64_e32 v[16:17], s[22:23], v[16:17]
	v_lshl_add_u64 v[20:21], v[2:3], 3, v[18:19]
	s_and_not1_b32 vcc_lo, exec_lo, s18
	s_cbranch_vccnz .LBB44_30
; %bb.23:                               ;   in Loop: Header=BB44_6 Depth=1
	global_load_b64 v[22:23], v[20:21], off
	s_wait_loadcnt 0x0
	v_fma_f64 v[22:23], s[20:21], v[22:23], v[16:17]
	global_store_b64 v[20:21], v[22:23], off
	s_cbranch_execnz .LBB44_25
.LBB44_24:                              ;   in Loop: Header=BB44_6 Depth=1
	global_store_b64 v[20:21], v[16:17], off
.LBB44_25:                              ;   in Loop: Header=BB44_6 Depth=1
	s_wait_xcnt 0x0
	s_or_b32 exec_lo, exec_lo, s12
	s_and_saveexec_b32 s12, s30
	s_cbranch_execz .LBB44_5
; %bb.26:                               ;   in Loop: Header=BB44_6 Depth=1
	s_delay_alu instid0(VALU_DEP_3)
	v_mul_f64_e32 v[14:15], s[22:23], v[14:15]
	v_lshl_add_u64 v[16:17], v[8:9], 3, v[18:19]
	s_and_not1_b32 vcc_lo, exec_lo, s18
	s_cbranch_vccnz .LBB44_31
; %bb.27:                               ;   in Loop: Header=BB44_6 Depth=1
	global_load_b64 v[18:19], v[16:17], off
	s_wait_loadcnt 0x0
	v_fma_f64 v[18:19], s[20:21], v[18:19], v[14:15]
	global_store_b64 v[16:17], v[18:19], off
	s_cbranch_execnz .LBB44_5
	s_branch .LBB44_32
.LBB44_28:                              ;   in Loop: Header=BB44_6 Depth=1
	s_branch .LBB44_16
.LBB44_29:                              ;   in Loop: Header=BB44_6 Depth=1
	s_branch .LBB44_20
.LBB44_30:                              ;   in Loop: Header=BB44_6 Depth=1
	s_branch .LBB44_24
.LBB44_31:                              ;   in Loop: Header=BB44_6 Depth=1
.LBB44_32:                              ;   in Loop: Header=BB44_6 Depth=1
	global_store_b64 v[16:17], v[14:15], off
	s_branch .LBB44_5
.LBB44_33:
	s_endpgm
	.section	.rodata,"a",@progbits
	.p2align	6, 0x0
	.amdhsa_kernel _ZL29rocblas_internal_gemmt_kernelIiLi16ELi32ELi8ELc67ELc67ELc85ELb0ELb0EdPKdS1_PdEviT_T9_T10_S3_lS5_S3_lS4_T11_S3_li
		.amdhsa_group_segment_fixed_size 4096
		.amdhsa_private_segment_fixed_size 0
		.amdhsa_kernarg_size 100
		.amdhsa_user_sgpr_count 2
		.amdhsa_user_sgpr_dispatch_ptr 0
		.amdhsa_user_sgpr_queue_ptr 0
		.amdhsa_user_sgpr_kernarg_segment_ptr 1
		.amdhsa_user_sgpr_dispatch_id 0
		.amdhsa_user_sgpr_kernarg_preload_length 0
		.amdhsa_user_sgpr_kernarg_preload_offset 0
		.amdhsa_user_sgpr_private_segment_size 0
		.amdhsa_wavefront_size32 1
		.amdhsa_uses_dynamic_stack 0
		.amdhsa_enable_private_segment 0
		.amdhsa_system_sgpr_workgroup_id_x 1
		.amdhsa_system_sgpr_workgroup_id_y 1
		.amdhsa_system_sgpr_workgroup_id_z 1
		.amdhsa_system_sgpr_workgroup_info 0
		.amdhsa_system_vgpr_workitem_id 1
		.amdhsa_next_free_vgpr 50
		.amdhsa_next_free_sgpr 34
		.amdhsa_named_barrier_count 0
		.amdhsa_reserve_vcc 1
		.amdhsa_float_round_mode_32 0
		.amdhsa_float_round_mode_16_64 0
		.amdhsa_float_denorm_mode_32 3
		.amdhsa_float_denorm_mode_16_64 3
		.amdhsa_fp16_overflow 0
		.amdhsa_memory_ordered 1
		.amdhsa_forward_progress 1
		.amdhsa_inst_pref_size 13
		.amdhsa_round_robin_scheduling 0
		.amdhsa_exception_fp_ieee_invalid_op 0
		.amdhsa_exception_fp_denorm_src 0
		.amdhsa_exception_fp_ieee_div_zero 0
		.amdhsa_exception_fp_ieee_overflow 0
		.amdhsa_exception_fp_ieee_underflow 0
		.amdhsa_exception_fp_ieee_inexact 0
		.amdhsa_exception_int_div_zero 0
	.end_amdhsa_kernel
	.section	.text._ZL29rocblas_internal_gemmt_kernelIiLi16ELi32ELi8ELc67ELc67ELc85ELb0ELb0EdPKdS1_PdEviT_T9_T10_S3_lS5_S3_lS4_T11_S3_li,"axG",@progbits,_ZL29rocblas_internal_gemmt_kernelIiLi16ELi32ELi8ELc67ELc67ELc85ELb0ELb0EdPKdS1_PdEviT_T9_T10_S3_lS5_S3_lS4_T11_S3_li,comdat
.Lfunc_end44:
	.size	_ZL29rocblas_internal_gemmt_kernelIiLi16ELi32ELi8ELc67ELc67ELc85ELb0ELb0EdPKdS1_PdEviT_T9_T10_S3_lS5_S3_lS4_T11_S3_li, .Lfunc_end44-_ZL29rocblas_internal_gemmt_kernelIiLi16ELi32ELi8ELc67ELc67ELc85ELb0ELb0EdPKdS1_PdEviT_T9_T10_S3_lS5_S3_lS4_T11_S3_li
                                        ; -- End function
	.set _ZL29rocblas_internal_gemmt_kernelIiLi16ELi32ELi8ELc67ELc67ELc85ELb0ELb0EdPKdS1_PdEviT_T9_T10_S3_lS5_S3_lS4_T11_S3_li.num_vgpr, 50
	.set _ZL29rocblas_internal_gemmt_kernelIiLi16ELi32ELi8ELc67ELc67ELc85ELb0ELb0EdPKdS1_PdEviT_T9_T10_S3_lS5_S3_lS4_T11_S3_li.num_agpr, 0
	.set _ZL29rocblas_internal_gemmt_kernelIiLi16ELi32ELi8ELc67ELc67ELc85ELb0ELb0EdPKdS1_PdEviT_T9_T10_S3_lS5_S3_lS4_T11_S3_li.numbered_sgpr, 34
	.set _ZL29rocblas_internal_gemmt_kernelIiLi16ELi32ELi8ELc67ELc67ELc85ELb0ELb0EdPKdS1_PdEviT_T9_T10_S3_lS5_S3_lS4_T11_S3_li.num_named_barrier, 0
	.set _ZL29rocblas_internal_gemmt_kernelIiLi16ELi32ELi8ELc67ELc67ELc85ELb0ELb0EdPKdS1_PdEviT_T9_T10_S3_lS5_S3_lS4_T11_S3_li.private_seg_size, 0
	.set _ZL29rocblas_internal_gemmt_kernelIiLi16ELi32ELi8ELc67ELc67ELc85ELb0ELb0EdPKdS1_PdEviT_T9_T10_S3_lS5_S3_lS4_T11_S3_li.uses_vcc, 1
	.set _ZL29rocblas_internal_gemmt_kernelIiLi16ELi32ELi8ELc67ELc67ELc85ELb0ELb0EdPKdS1_PdEviT_T9_T10_S3_lS5_S3_lS4_T11_S3_li.uses_flat_scratch, 0
	.set _ZL29rocblas_internal_gemmt_kernelIiLi16ELi32ELi8ELc67ELc67ELc85ELb0ELb0EdPKdS1_PdEviT_T9_T10_S3_lS5_S3_lS4_T11_S3_li.has_dyn_sized_stack, 0
	.set _ZL29rocblas_internal_gemmt_kernelIiLi16ELi32ELi8ELc67ELc67ELc85ELb0ELb0EdPKdS1_PdEviT_T9_T10_S3_lS5_S3_lS4_T11_S3_li.has_recursion, 0
	.set _ZL29rocblas_internal_gemmt_kernelIiLi16ELi32ELi8ELc67ELc67ELc85ELb0ELb0EdPKdS1_PdEviT_T9_T10_S3_lS5_S3_lS4_T11_S3_li.has_indirect_call, 0
	.section	.AMDGPU.csdata,"",@progbits
; Kernel info:
; codeLenInByte = 1664
; TotalNumSgprs: 36
; NumVgprs: 50
; ScratchSize: 0
; MemoryBound: 0
; FloatMode: 240
; IeeeMode: 1
; LDSByteSize: 4096 bytes/workgroup (compile time only)
; SGPRBlocks: 0
; VGPRBlocks: 3
; NumSGPRsForWavesPerEU: 36
; NumVGPRsForWavesPerEU: 50
; NamedBarCnt: 0
; Occupancy: 16
; WaveLimiterHint : 0
; COMPUTE_PGM_RSRC2:SCRATCH_EN: 0
; COMPUTE_PGM_RSRC2:USER_SGPR: 2
; COMPUTE_PGM_RSRC2:TRAP_HANDLER: 0
; COMPUTE_PGM_RSRC2:TGID_X_EN: 1
; COMPUTE_PGM_RSRC2:TGID_Y_EN: 1
; COMPUTE_PGM_RSRC2:TGID_Z_EN: 1
; COMPUTE_PGM_RSRC2:TIDIG_COMP_CNT: 1
	.section	.text._ZL29rocblas_internal_gemmt_kernelIiLi16ELi32ELi8ELc78ELc78ELc76ELb0ELb0EdPKdS1_PdEviT_T9_T10_S3_lS5_S3_lS4_T11_S3_li,"axG",@progbits,_ZL29rocblas_internal_gemmt_kernelIiLi16ELi32ELi8ELc78ELc78ELc76ELb0ELb0EdPKdS1_PdEviT_T9_T10_S3_lS5_S3_lS4_T11_S3_li,comdat
	.globl	_ZL29rocblas_internal_gemmt_kernelIiLi16ELi32ELi8ELc78ELc78ELc76ELb0ELb0EdPKdS1_PdEviT_T9_T10_S3_lS5_S3_lS4_T11_S3_li ; -- Begin function _ZL29rocblas_internal_gemmt_kernelIiLi16ELi32ELi8ELc78ELc78ELc76ELb0ELb0EdPKdS1_PdEviT_T9_T10_S3_lS5_S3_lS4_T11_S3_li
	.p2align	8
	.type	_ZL29rocblas_internal_gemmt_kernelIiLi16ELi32ELi8ELc78ELc78ELc76ELb0ELb0EdPKdS1_PdEviT_T9_T10_S3_lS5_S3_lS4_T11_S3_li,@function
_ZL29rocblas_internal_gemmt_kernelIiLi16ELi32ELi8ELc78ELc78ELc76ELb0ELb0EdPKdS1_PdEviT_T9_T10_S3_lS5_S3_lS4_T11_S3_li: ; @_ZL29rocblas_internal_gemmt_kernelIiLi16ELi32ELi8ELc78ELc78ELc76ELb0ELb0EdPKdS1_PdEviT_T9_T10_S3_lS5_S3_lS4_T11_S3_li
; %bb.0:
	s_load_b128 s[8:11], s[0:1], 0x38
	s_wait_kmcnt 0x0
	s_load_b64 s[20:21], s[10:11], 0x0
	s_load_b128 s[4:7], s[0:1], 0x8
	s_wait_xcnt 0x0
	s_load_b64 s[10:11], s[0:1], 0x0
	s_wait_kmcnt 0x0
	s_load_b64 s[22:23], s[4:5], 0x0
	v_cmp_neq_f64_e64 s2, s[20:21], 1.0
	s_and_b32 vcc_lo, exec_lo, s2
	s_cbranch_vccnz .LBB45_2
; %bb.1:
	s_wait_kmcnt 0x0
	v_cmp_neq_f64_e64 s2, s[22:23], 0
	s_cmp_lg_u32 s11, 0
	s_cselect_b32 s3, -1, 0
	s_delay_alu instid0(SALU_CYCLE_1)
	s_and_b32 s2, s3, s2
.LBB45_2:
	s_delay_alu instid0(SALU_CYCLE_1)
	s_and_not1_b32 vcc_lo, exec_lo, s2
	s_cbranch_vccnz .LBB45_33
; %bb.3:
	s_load_b32 s19, s[0:1], 0x60
	s_bfe_u32 s2, ttmp6, 0x40014
	s_lshr_b32 s3, ttmp7, 16
	s_add_co_i32 s2, s2, 1
	s_wait_xcnt 0x0
	s_bfe_u32 s5, ttmp6, 0x40008
	s_mul_i32 s2, s3, s2
	s_getreg_b32 s4, hwreg(HW_REG_IB_STS2, 6, 4)
	s_add_co_i32 s5, s5, s2
	s_cmp_eq_u32 s4, 0
	s_mov_b32 s25, 0
	s_cselect_b32 s24, s3, s5
	s_wait_kmcnt 0x0
	s_cmp_ge_u32 s24, s19
	s_cbranch_scc1 .LBB45_33
; %bb.4:
	s_clause 0x3
	s_load_b32 s28, s[0:1], 0x18
	s_load_b32 s2, s[0:1], 0x30
	s_load_b96 s[16:18], s[0:1], 0x48
	s_load_b128 s[12:15], s[0:1], 0x20
	v_and_b32_e32 v1, 0x3ff, v0
	v_bfe_u32 v21, v0, 10, 10
	s_load_b64 s[26:27], s[0:1], 0x58
	s_wait_xcnt 0x0
	s_bfe_u32 s1, ttmp6, 0x4000c
	s_bfe_u32 s3, ttmp6, 0x40010
	s_and_b32 s30, ttmp7, 0xffff
	s_add_co_i32 s1, s1, 1
	s_add_co_i32 s3, s3, 1
	v_lshl_add_u32 v3, v21, 4, v1
	s_and_b32 s0, ttmp6, 15
	s_mul_i32 s1, ttmp9, s1
	s_mul_i32 s31, s30, s3
	s_bfe_u32 s33, ttmp6, 0x40004
	s_add_co_i32 s0, s0, s1
	s_add_co_i32 s33, s33, s31
	v_dual_lshrrev_b32 v2, 5, v3 :: v_dual_lshrrev_b32 v4, 3, v3
	s_wait_kmcnt 0x0
	s_ashr_i32 s29, s28, 31
	s_ashr_i32 s3, s2, 31
	;; [unrolled: 1-line block ×3, first 2 shown]
	s_cmp_eq_u32 s4, 0
	v_and_b32_e32 v30, 7, v0
	s_cselect_b32 s1, s30, s33
	s_cselect_b32 s0, ttmp9, s0
	s_lshl_b32 s1, s1, 5
	s_delay_alu instid0(SALU_CYCLE_1) | instskip(SKIP_2) | instid1(VALU_DEP_2)
	v_dual_add_nc_u32 v8, s1, v4 :: v_dual_bitop2_b32 v5, 31, v3 bitop3:0x40
	s_lshl_b32 s30, s0, 5
	v_dual_mov_b32 v3, 0 :: v_dual_add_nc_u32 v12, s1, v21
	v_dual_lshlrev_b32 v20, 3, v30 :: v_dual_bitop2_b32 v10, s30, v5 bitop3:0x54
	s_delay_alu instid0(VALU_DEP_3) | instskip(NEXT) | instid1(VALU_DEP_3)
	v_ashrrev_i32_e32 v9, 31, v8
	v_mul_u64_e32 v[14:15], s[28:29], v[2:3]
	s_delay_alu instid0(VALU_DEP_4)
	v_add_nc_u32_e32 v18, 16, v12
	s_mov_b32 s4, s18
	v_cmp_neq_f64_e64 s34, s[22:23], 0
	v_mul_u64_e32 v[16:17], s[2:3], v[8:9]
	v_dual_lshlrev_b32 v9, 3, v5 :: v_dual_ashrrev_i32 v13, 31, v12
	v_ashrrev_i32_e32 v19, 31, v18
	v_lshl_or_b32 v11, v4, 6, v20
	v_cmp_neq_f64_e64 s18, s[20:21], 0
	v_dual_add_nc_u32 v0, s30, v1 :: v_dual_lshlrev_b32 v33, 3, v1
	v_mul_u64_e32 v[4:5], s[4:5], v[12:13]
	v_mul_u64_e32 v[6:7], s[4:5], v[18:19]
	v_cmp_gt_i32_e64 s1, s10, v8
	v_add_nc_u32_e32 v32, 0x800, v11
	v_dual_add_nc_u32 v8, 16, v0 :: v_dual_ashrrev_i32 v11, 31, v10
	v_cmp_gt_i32_e64 s0, s10, v10
	v_lshl_add_u32 v34, v21, 6, 0x800
	v_mov_b32_e32 v21, v3
	v_cmp_le_i32_e32 vcc_lo, v12, v0
	v_lshlrev_b64_e32 v[10:11], 3, v[10:11]
	v_cmp_gt_i32_e64 s2, s10, v0
	v_cmp_le_i32_e64 s3, v12, v8
	v_cmp_gt_i32_e64 s4, s10, v8
	s_cmp_gt_i32 s11, 0
	v_lshl_or_b32 v31, v2, 8, v9
	s_cselect_b32 s35, -1, 0
	s_and_b32 s10, vcc_lo, s2
	s_and_b32 s30, s3, s4
	v_cmp_le_i32_e32 vcc_lo, v18, v0
	v_lshl_add_u64 v[10:11], v[14:15], 3, v[10:11]
	v_cmp_le_i32_e64 s3, v18, v8
	v_ashrrev_i32_e32 v1, 31, v0
	v_ashrrev_i32_e32 v9, 31, v8
	v_lshl_add_u64 v[12:13], v[16:17], 3, v[20:21]
	v_add_nc_u64_e32 v[10:11], s[6:7], v[10:11]
	s_and_b32 s31, vcc_lo, s2
	s_and_b32 s33, s3, s4
	s_lshl_b64 s[2:3], s[12:13], 3
	v_add_nc_u64_e32 v[12:13], s[14:15], v[12:13]
	s_and_b32 s14, s34, s35
	s_lshl_b64 s[4:5], s[28:29], 6
	s_lshl_b64 s[6:7], s[8:9], 3
	s_branch .LBB45_6
.LBB45_5:                               ;   in Loop: Header=BB45_6 Depth=1
	s_wait_xcnt 0x0
	s_or_b32 exec_lo, exec_lo, s8
	s_add_co_i32 s24, s24, 0x10000
	s_delay_alu instid0(SALU_CYCLE_1)
	s_cmp_lt_u32 s24, s19
	s_cbranch_scc0 .LBB45_33
.LBB45_6:                               ; =>This Loop Header: Depth=1
                                        ;     Child Loop BB45_9 Depth 2
	v_mov_b64_e32 v[20:21], 0
	v_mov_b64_e32 v[18:19], 0
	;; [unrolled: 1-line block ×4, first 2 shown]
	s_and_not1_b32 vcc_lo, exec_lo, s14
	s_cbranch_vccnz .LBB45_13
; %bb.7:                                ;   in Loop: Header=BB45_6 Depth=1
	v_mad_nc_u64_u32 v[22:23], s2, s24, v[10:11]
	v_mad_nc_u64_u32 v[24:25], s6, s24, v[12:13]
	v_mov_b64_e32 v[14:15], 0
	v_mov_b64_e32 v[16:17], 0
	;; [unrolled: 1-line block ×4, first 2 shown]
	s_mov_b32 s8, 0
	v_mad_u32 v23, s3, s24, v23
	v_mad_u32 v25, s7, s24, v25
	s_branch .LBB45_9
.LBB45_8:                               ;   in Loop: Header=BB45_9 Depth=2
	s_wait_xcnt 0x0
	s_or_b32 exec_lo, exec_lo, s9
	s_wait_loadcnt 0x0
	ds_store_b64 v32, v[28:29]
	s_wait_dscnt 0x0
	s_barrier_signal -1
	s_barrier_wait -1
	ds_load_b128 v[26:29], v34
	ds_load_2addr_b64 v[36:39], v33 offset1:16
	ds_load_b128 v[40:43], v34 offset:1024
	ds_load_b128 v[44:47], v34 offset:16
	;; [unrolled: 1-line block ×3, first 2 shown]
	v_add_nc_u64_e32 v[22:23], s[4:5], v[22:23]
	v_add_nc_u64_e32 v[24:25], 64, v[24:25]
	s_add_co_i32 s8, s8, 8
	s_delay_alu instid0(SALU_CYCLE_1)
	s_cmp_lt_i32 s8, s11
	s_wait_dscnt 0x3
	v_fmac_f64_e32 v[20:21], v[36:37], v[26:27]
	v_fmac_f64_e32 v[18:19], v[38:39], v[26:27]
	s_wait_dscnt 0x2
	v_fmac_f64_e32 v[16:17], v[36:37], v[40:41]
	v_fmac_f64_e32 v[14:15], v[38:39], v[40:41]
	ds_load_2addr_b64 v[36:39], v33 offset0:32 offset1:48
	s_wait_dscnt 0x0
	v_fmac_f64_e32 v[20:21], v[36:37], v[28:29]
	v_fmac_f64_e32 v[18:19], v[38:39], v[28:29]
	v_fmac_f64_e32 v[16:17], v[36:37], v[42:43]
	v_fmac_f64_e32 v[14:15], v[38:39], v[42:43]
	ds_load_2addr_b64 v[26:29], v33 offset0:64 offset1:80
	s_wait_dscnt 0x0
	v_fmac_f64_e32 v[20:21], v[26:27], v[44:45]
	v_fmac_f64_e32 v[18:19], v[28:29], v[44:45]
	;; [unrolled: 6-line block ×3, first 2 shown]
	v_fmac_f64_e32 v[16:17], v[26:27], v[50:51]
	v_fmac_f64_e32 v[14:15], v[28:29], v[50:51]
	ds_load_b128 v[26:29], v34 offset:32
	ds_load_2addr_b64 v[36:39], v33 offset0:128 offset1:144
	ds_load_b128 v[40:43], v34 offset:1056
	ds_load_b128 v[44:47], v34 offset:48
	;; [unrolled: 1-line block ×3, first 2 shown]
	s_wait_dscnt 0x3
	v_fmac_f64_e32 v[20:21], v[36:37], v[26:27]
	v_fmac_f64_e32 v[18:19], v[38:39], v[26:27]
	s_wait_dscnt 0x2
	v_fmac_f64_e32 v[16:17], v[36:37], v[40:41]
	v_fmac_f64_e32 v[14:15], v[38:39], v[40:41]
	ds_load_2addr_b64 v[36:39], v33 offset0:160 offset1:176
	s_wait_dscnt 0x0
	v_fmac_f64_e32 v[20:21], v[36:37], v[28:29]
	v_fmac_f64_e32 v[18:19], v[38:39], v[28:29]
	v_fmac_f64_e32 v[16:17], v[36:37], v[42:43]
	v_fmac_f64_e32 v[14:15], v[38:39], v[42:43]
	ds_load_2addr_b64 v[26:29], v33 offset0:192 offset1:208
	s_wait_dscnt 0x0
	v_fmac_f64_e32 v[20:21], v[26:27], v[44:45]
	v_fmac_f64_e32 v[18:19], v[28:29], v[44:45]
	v_fmac_f64_e32 v[16:17], v[26:27], v[48:49]
	v_fmac_f64_e32 v[14:15], v[28:29], v[48:49]
	ds_load_2addr_b64 v[26:29], v33 offset0:224 offset1:240
	s_wait_dscnt 0x0
	s_barrier_signal -1
	s_barrier_wait -1
	v_fmac_f64_e32 v[20:21], v[26:27], v[46:47]
	v_fmac_f64_e32 v[18:19], v[28:29], v[46:47]
	;; [unrolled: 1-line block ×4, first 2 shown]
	s_cbranch_scc0 .LBB45_13
.LBB45_9:                               ;   Parent Loop BB45_6 Depth=1
                                        ; =>  This Inner Loop Header: Depth=2
	v_add_nc_u32_e32 v3, s8, v2
	v_mov_b64_e32 v[26:27], 0
	s_delay_alu instid0(VALU_DEP_2) | instskip(SKIP_1) | instid1(SALU_CYCLE_1)
	v_cmp_gt_i32_e32 vcc_lo, s11, v3
	s_and_b32 s12, s0, vcc_lo
	s_and_saveexec_b32 s9, s12
	s_cbranch_execz .LBB45_11
; %bb.10:                               ;   in Loop: Header=BB45_9 Depth=2
	global_load_b64 v[26:27], v[22:23], off
.LBB45_11:                              ;   in Loop: Header=BB45_9 Depth=2
	s_wait_xcnt 0x0
	s_or_b32 exec_lo, exec_lo, s9
	v_add_nc_u32_e32 v3, s8, v30
	v_mov_b64_e32 v[28:29], 0
	s_wait_loadcnt 0x0
	ds_store_b64 v31, v[26:27]
	v_cmp_gt_i32_e32 vcc_lo, s11, v3
	s_and_b32 s12, vcc_lo, s1
	s_delay_alu instid0(SALU_CYCLE_1)
	s_and_saveexec_b32 s9, s12
	s_cbranch_execz .LBB45_8
; %bb.12:                               ;   in Loop: Header=BB45_9 Depth=2
	global_load_b64 v[28:29], v[24:25], off
	s_branch .LBB45_8
.LBB45_13:                              ;   in Loop: Header=BB45_6 Depth=1
	s_mul_u64 s[8:9], s[26:27], s[24:25]
	s_delay_alu instid0(SALU_CYCLE_1) | instskip(NEXT) | instid1(SALU_CYCLE_1)
	s_lshl_b64 s[8:9], s[8:9], 3
	s_add_nc_u64 s[8:9], s[16:17], s[8:9]
	s_delay_alu instid0(SALU_CYCLE_1)
	v_lshl_add_u64 v[22:23], v[4:5], 3, s[8:9]
	s_and_saveexec_b32 s12, s10
	s_cbranch_execz .LBB45_17
; %bb.14:                               ;   in Loop: Header=BB45_6 Depth=1
	v_mul_f64_e32 v[20:21], s[22:23], v[20:21]
	s_delay_alu instid0(VALU_DEP_2)
	v_lshl_add_u64 v[24:25], v[0:1], 3, v[22:23]
	s_and_b32 vcc_lo, exec_lo, s18
	s_cbranch_vccz .LBB45_28
; %bb.15:                               ;   in Loop: Header=BB45_6 Depth=1
	global_load_b64 v[26:27], v[24:25], off
	s_wait_loadcnt 0x0
	v_fma_f64 v[26:27], s[20:21], v[26:27], v[20:21]
	global_store_b64 v[24:25], v[26:27], off
	s_cbranch_execnz .LBB45_17
.LBB45_16:                              ;   in Loop: Header=BB45_6 Depth=1
	global_store_b64 v[24:25], v[20:21], off
.LBB45_17:                              ;   in Loop: Header=BB45_6 Depth=1
	s_wait_xcnt 0x0
	s_or_b32 exec_lo, exec_lo, s12
	s_and_saveexec_b32 s12, s30
	s_cbranch_execz .LBB45_21
; %bb.18:                               ;   in Loop: Header=BB45_6 Depth=1
	s_delay_alu instid0(VALU_DEP_4)
	v_mul_f64_e32 v[18:19], s[22:23], v[18:19]
	v_lshl_add_u64 v[20:21], v[8:9], 3, v[22:23]
	s_and_not1_b32 vcc_lo, exec_lo, s18
	s_cbranch_vccnz .LBB45_29
; %bb.19:                               ;   in Loop: Header=BB45_6 Depth=1
	global_load_b64 v[22:23], v[20:21], off
	s_wait_loadcnt 0x0
	v_fma_f64 v[22:23], s[20:21], v[22:23], v[18:19]
	global_store_b64 v[20:21], v[22:23], off
	s_cbranch_execnz .LBB45_21
.LBB45_20:                              ;   in Loop: Header=BB45_6 Depth=1
	global_store_b64 v[20:21], v[18:19], off
.LBB45_21:                              ;   in Loop: Header=BB45_6 Depth=1
	s_wait_xcnt 0x0
	s_or_b32 exec_lo, exec_lo, s12
	v_lshl_add_u64 v[18:19], v[6:7], 3, s[8:9]
	s_and_saveexec_b32 s8, s31
	s_cbranch_execz .LBB45_25
; %bb.22:                               ;   in Loop: Header=BB45_6 Depth=1
	s_delay_alu instid0(VALU_DEP_4) | instskip(NEXT) | instid1(VALU_DEP_2)
	v_mul_f64_e32 v[16:17], s[22:23], v[16:17]
	v_lshl_add_u64 v[20:21], v[0:1], 3, v[18:19]
	s_and_not1_b32 vcc_lo, exec_lo, s18
	s_cbranch_vccnz .LBB45_30
; %bb.23:                               ;   in Loop: Header=BB45_6 Depth=1
	global_load_b64 v[22:23], v[20:21], off
	s_wait_loadcnt 0x0
	v_fma_f64 v[22:23], s[20:21], v[22:23], v[16:17]
	global_store_b64 v[20:21], v[22:23], off
	s_cbranch_execnz .LBB45_25
.LBB45_24:                              ;   in Loop: Header=BB45_6 Depth=1
	global_store_b64 v[20:21], v[16:17], off
.LBB45_25:                              ;   in Loop: Header=BB45_6 Depth=1
	s_wait_xcnt 0x0
	s_or_b32 exec_lo, exec_lo, s8
	s_and_saveexec_b32 s8, s33
	s_cbranch_execz .LBB45_5
; %bb.26:                               ;   in Loop: Header=BB45_6 Depth=1
	s_delay_alu instid0(VALU_DEP_3)
	v_mul_f64_e32 v[14:15], s[22:23], v[14:15]
	v_lshl_add_u64 v[16:17], v[8:9], 3, v[18:19]
	s_and_not1_b32 vcc_lo, exec_lo, s18
	s_cbranch_vccnz .LBB45_31
; %bb.27:                               ;   in Loop: Header=BB45_6 Depth=1
	global_load_b64 v[18:19], v[16:17], off
	s_wait_loadcnt 0x0
	v_fma_f64 v[18:19], s[20:21], v[18:19], v[14:15]
	global_store_b64 v[16:17], v[18:19], off
	s_cbranch_execnz .LBB45_5
	s_branch .LBB45_32
.LBB45_28:                              ;   in Loop: Header=BB45_6 Depth=1
	s_branch .LBB45_16
.LBB45_29:                              ;   in Loop: Header=BB45_6 Depth=1
	s_branch .LBB45_20
.LBB45_30:                              ;   in Loop: Header=BB45_6 Depth=1
	s_branch .LBB45_24
.LBB45_31:                              ;   in Loop: Header=BB45_6 Depth=1
.LBB45_32:                              ;   in Loop: Header=BB45_6 Depth=1
	global_store_b64 v[16:17], v[14:15], off
	s_branch .LBB45_5
.LBB45_33:
	s_endpgm
	.section	.rodata,"a",@progbits
	.p2align	6, 0x0
	.amdhsa_kernel _ZL29rocblas_internal_gemmt_kernelIiLi16ELi32ELi8ELc78ELc78ELc76ELb0ELb0EdPKdS1_PdEviT_T9_T10_S3_lS5_S3_lS4_T11_S3_li
		.amdhsa_group_segment_fixed_size 4096
		.amdhsa_private_segment_fixed_size 0
		.amdhsa_kernarg_size 100
		.amdhsa_user_sgpr_count 2
		.amdhsa_user_sgpr_dispatch_ptr 0
		.amdhsa_user_sgpr_queue_ptr 0
		.amdhsa_user_sgpr_kernarg_segment_ptr 1
		.amdhsa_user_sgpr_dispatch_id 0
		.amdhsa_user_sgpr_kernarg_preload_length 0
		.amdhsa_user_sgpr_kernarg_preload_offset 0
		.amdhsa_user_sgpr_private_segment_size 0
		.amdhsa_wavefront_size32 1
		.amdhsa_uses_dynamic_stack 0
		.amdhsa_enable_private_segment 0
		.amdhsa_system_sgpr_workgroup_id_x 1
		.amdhsa_system_sgpr_workgroup_id_y 1
		.amdhsa_system_sgpr_workgroup_id_z 1
		.amdhsa_system_sgpr_workgroup_info 0
		.amdhsa_system_vgpr_workitem_id 1
		.amdhsa_next_free_vgpr 52
		.amdhsa_next_free_sgpr 36
		.amdhsa_named_barrier_count 0
		.amdhsa_reserve_vcc 1
		.amdhsa_float_round_mode_32 0
		.amdhsa_float_round_mode_16_64 0
		.amdhsa_float_denorm_mode_32 3
		.amdhsa_float_denorm_mode_16_64 3
		.amdhsa_fp16_overflow 0
		.amdhsa_memory_ordered 1
		.amdhsa_forward_progress 1
		.amdhsa_inst_pref_size 13
		.amdhsa_round_robin_scheduling 0
		.amdhsa_exception_fp_ieee_invalid_op 0
		.amdhsa_exception_fp_denorm_src 0
		.amdhsa_exception_fp_ieee_div_zero 0
		.amdhsa_exception_fp_ieee_overflow 0
		.amdhsa_exception_fp_ieee_underflow 0
		.amdhsa_exception_fp_ieee_inexact 0
		.amdhsa_exception_int_div_zero 0
	.end_amdhsa_kernel
	.section	.text._ZL29rocblas_internal_gemmt_kernelIiLi16ELi32ELi8ELc78ELc78ELc76ELb0ELb0EdPKdS1_PdEviT_T9_T10_S3_lS5_S3_lS4_T11_S3_li,"axG",@progbits,_ZL29rocblas_internal_gemmt_kernelIiLi16ELi32ELi8ELc78ELc78ELc76ELb0ELb0EdPKdS1_PdEviT_T9_T10_S3_lS5_S3_lS4_T11_S3_li,comdat
.Lfunc_end45:
	.size	_ZL29rocblas_internal_gemmt_kernelIiLi16ELi32ELi8ELc78ELc78ELc76ELb0ELb0EdPKdS1_PdEviT_T9_T10_S3_lS5_S3_lS4_T11_S3_li, .Lfunc_end45-_ZL29rocblas_internal_gemmt_kernelIiLi16ELi32ELi8ELc78ELc78ELc76ELb0ELb0EdPKdS1_PdEviT_T9_T10_S3_lS5_S3_lS4_T11_S3_li
                                        ; -- End function
	.set _ZL29rocblas_internal_gemmt_kernelIiLi16ELi32ELi8ELc78ELc78ELc76ELb0ELb0EdPKdS1_PdEviT_T9_T10_S3_lS5_S3_lS4_T11_S3_li.num_vgpr, 52
	.set _ZL29rocblas_internal_gemmt_kernelIiLi16ELi32ELi8ELc78ELc78ELc76ELb0ELb0EdPKdS1_PdEviT_T9_T10_S3_lS5_S3_lS4_T11_S3_li.num_agpr, 0
	.set _ZL29rocblas_internal_gemmt_kernelIiLi16ELi32ELi8ELc78ELc78ELc76ELb0ELb0EdPKdS1_PdEviT_T9_T10_S3_lS5_S3_lS4_T11_S3_li.numbered_sgpr, 36
	.set _ZL29rocblas_internal_gemmt_kernelIiLi16ELi32ELi8ELc78ELc78ELc76ELb0ELb0EdPKdS1_PdEviT_T9_T10_S3_lS5_S3_lS4_T11_S3_li.num_named_barrier, 0
	.set _ZL29rocblas_internal_gemmt_kernelIiLi16ELi32ELi8ELc78ELc78ELc76ELb0ELb0EdPKdS1_PdEviT_T9_T10_S3_lS5_S3_lS4_T11_S3_li.private_seg_size, 0
	.set _ZL29rocblas_internal_gemmt_kernelIiLi16ELi32ELi8ELc78ELc78ELc76ELb0ELb0EdPKdS1_PdEviT_T9_T10_S3_lS5_S3_lS4_T11_S3_li.uses_vcc, 1
	.set _ZL29rocblas_internal_gemmt_kernelIiLi16ELi32ELi8ELc78ELc78ELc76ELb0ELb0EdPKdS1_PdEviT_T9_T10_S3_lS5_S3_lS4_T11_S3_li.uses_flat_scratch, 0
	.set _ZL29rocblas_internal_gemmt_kernelIiLi16ELi32ELi8ELc78ELc78ELc76ELb0ELb0EdPKdS1_PdEviT_T9_T10_S3_lS5_S3_lS4_T11_S3_li.has_dyn_sized_stack, 0
	.set _ZL29rocblas_internal_gemmt_kernelIiLi16ELi32ELi8ELc78ELc78ELc76ELb0ELb0EdPKdS1_PdEviT_T9_T10_S3_lS5_S3_lS4_T11_S3_li.has_recursion, 0
	.set _ZL29rocblas_internal_gemmt_kernelIiLi16ELi32ELi8ELc78ELc78ELc76ELb0ELb0EdPKdS1_PdEviT_T9_T10_S3_lS5_S3_lS4_T11_S3_li.has_indirect_call, 0
	.section	.AMDGPU.csdata,"",@progbits
; Kernel info:
; codeLenInByte = 1660
; TotalNumSgprs: 38
; NumVgprs: 52
; ScratchSize: 0
; MemoryBound: 0
; FloatMode: 240
; IeeeMode: 1
; LDSByteSize: 4096 bytes/workgroup (compile time only)
; SGPRBlocks: 0
; VGPRBlocks: 3
; NumSGPRsForWavesPerEU: 38
; NumVGPRsForWavesPerEU: 52
; NamedBarCnt: 0
; Occupancy: 16
; WaveLimiterHint : 0
; COMPUTE_PGM_RSRC2:SCRATCH_EN: 0
; COMPUTE_PGM_RSRC2:USER_SGPR: 2
; COMPUTE_PGM_RSRC2:TRAP_HANDLER: 0
; COMPUTE_PGM_RSRC2:TGID_X_EN: 1
; COMPUTE_PGM_RSRC2:TGID_Y_EN: 1
; COMPUTE_PGM_RSRC2:TGID_Z_EN: 1
; COMPUTE_PGM_RSRC2:TIDIG_COMP_CNT: 1
	.section	.text._ZL29rocblas_internal_gemmt_kernelIiLi16ELi32ELi8ELc78ELc84ELc76ELb0ELb0EdPKdS1_PdEviT_T9_T10_S3_lS5_S3_lS4_T11_S3_li,"axG",@progbits,_ZL29rocblas_internal_gemmt_kernelIiLi16ELi32ELi8ELc78ELc84ELc76ELb0ELb0EdPKdS1_PdEviT_T9_T10_S3_lS5_S3_lS4_T11_S3_li,comdat
	.globl	_ZL29rocblas_internal_gemmt_kernelIiLi16ELi32ELi8ELc78ELc84ELc76ELb0ELb0EdPKdS1_PdEviT_T9_T10_S3_lS5_S3_lS4_T11_S3_li ; -- Begin function _ZL29rocblas_internal_gemmt_kernelIiLi16ELi32ELi8ELc78ELc84ELc76ELb0ELb0EdPKdS1_PdEviT_T9_T10_S3_lS5_S3_lS4_T11_S3_li
	.p2align	8
	.type	_ZL29rocblas_internal_gemmt_kernelIiLi16ELi32ELi8ELc78ELc84ELc76ELb0ELb0EdPKdS1_PdEviT_T9_T10_S3_lS5_S3_lS4_T11_S3_li,@function
_ZL29rocblas_internal_gemmt_kernelIiLi16ELi32ELi8ELc78ELc84ELc76ELb0ELb0EdPKdS1_PdEviT_T9_T10_S3_lS5_S3_lS4_T11_S3_li: ; @_ZL29rocblas_internal_gemmt_kernelIiLi16ELi32ELi8ELc78ELc84ELc76ELb0ELb0EdPKdS1_PdEviT_T9_T10_S3_lS5_S3_lS4_T11_S3_li
; %bb.0:
	s_load_b128 s[8:11], s[0:1], 0x38
	s_wait_kmcnt 0x0
	s_load_b64 s[20:21], s[10:11], 0x0
	s_load_b128 s[4:7], s[0:1], 0x8
	s_wait_xcnt 0x0
	s_load_b64 s[10:11], s[0:1], 0x0
	s_wait_kmcnt 0x0
	s_load_b64 s[22:23], s[4:5], 0x0
	v_cmp_neq_f64_e64 s2, s[20:21], 1.0
	s_and_b32 vcc_lo, exec_lo, s2
	s_cbranch_vccnz .LBB46_2
; %bb.1:
	s_wait_kmcnt 0x0
	v_cmp_neq_f64_e64 s2, s[22:23], 0
	s_cmp_lg_u32 s11, 0
	s_cselect_b32 s3, -1, 0
	s_delay_alu instid0(SALU_CYCLE_1)
	s_and_b32 s2, s3, s2
.LBB46_2:
	s_delay_alu instid0(SALU_CYCLE_1)
	s_and_not1_b32 vcc_lo, exec_lo, s2
	s_cbranch_vccnz .LBB46_33
; %bb.3:
	s_load_b32 s19, s[0:1], 0x60
	s_bfe_u32 s2, ttmp6, 0x40014
	s_lshr_b32 s3, ttmp7, 16
	s_add_co_i32 s2, s2, 1
	s_wait_xcnt 0x0
	s_bfe_u32 s5, ttmp6, 0x40008
	s_mul_i32 s4, s3, s2
	s_getreg_b32 s2, hwreg(HW_REG_IB_STS2, 6, 4)
	s_add_co_i32 s5, s5, s4
	s_cmp_eq_u32 s2, 0
	s_mov_b32 s25, 0
	s_cselect_b32 s24, s3, s5
	s_wait_kmcnt 0x0
	s_cmp_ge_u32 s24, s19
	s_cbranch_scc1 .LBB46_33
; %bb.4:
	s_clause 0x4
	s_load_b32 s28, s[0:1], 0x18
	s_load_b32 s30, s[0:1], 0x30
	s_load_b96 s[16:18], s[0:1], 0x48
	s_load_b128 s[12:15], s[0:1], 0x20
	s_load_b64 s[26:27], s[0:1], 0x58
	s_wait_xcnt 0x0
	s_bfe_u32 s1, ttmp6, 0x4000c
	s_bfe_u32 s4, ttmp6, 0x40010
	v_and_b32_e32 v5, 0x3ff, v0
	v_bfe_u32 v11, v0, 10, 10
	s_and_b32 s3, ttmp7, 0xffff
	s_add_co_i32 s1, s1, 1
	s_add_co_i32 s33, s4, 1
	s_and_b32 s0, ttmp6, 15
	s_mul_i32 s1, ttmp9, s1
	v_lshl_add_u32 v1, v11, 4, v5
	s_add_co_i32 s0, s0, s1
	v_and_b32_e32 v0, 7, v0
	v_cmp_neq_f64_e64 s36, s[22:23], 0
	v_lshl_add_u32 v33, v11, 6, 0x800
	v_dual_lshrrev_b32 v4, 3, v1 :: v_dual_bitop2_b32 v6, 31, v1 bitop3:0x40
	s_wait_kmcnt 0x0
	s_ashr_i32 s29, s28, 31
	s_ashr_i32 s5, s18, 31
	s_mov_b32 s4, s18
	s_mul_i32 s18, s3, s33
	s_bfe_u32 s33, ttmp6, 0x40004
	s_ashr_i32 s31, s30, 31
	s_add_co_i32 s33, s33, s18
	s_cmp_eq_u32 s2, 0
	v_lshrrev_b32_e32 v2, 5, v1
	s_cselect_b32 s0, ttmp9, s0
	s_cselect_b32 s1, s3, s33
	s_lshl_b32 s2, s0, 5
	s_delay_alu instid0(SALU_CYCLE_1) | instskip(SKIP_2) | instid1(VALU_DEP_2)
	v_dual_mov_b32 v3, 0 :: v_dual_bitop2_b32 v12, s2, v6 bitop3:0x54
	s_lshl_b32 s0, s1, 5
	v_cmp_neq_f64_e64 s18, s[20:21], 0
	v_dual_mov_b32 v1, v3 :: v_dual_add_nc_u32 v14, s0, v4
	v_add_nc_u32_e32 v16, s0, v11
	v_mul_u64_e32 v[18:19], s[28:29], v[2:3]
	v_lshlrev_b32_e32 v3, 3, v6
	s_delay_alu instid0(VALU_DEP_4)
	v_ashrrev_i32_e32 v15, 31, v14
	v_mul_u64_e32 v[20:21], s[30:31], v[0:1]
	v_dual_add_nc_u32 v22, 16, v16 :: v_dual_ashrrev_i32 v17, 31, v16
	v_lshlrev_b32_e32 v6, 3, v0
	v_lshl_or_b32 v1, v2, 8, v3
	v_cmp_gt_i32_e64 s0, s10, v12
	s_delay_alu instid0(VALU_DEP_4)
	v_ashrrev_i32_e32 v23, 31, v22
	v_cmp_gt_i32_e64 s1, s10, v14
	v_lshl_or_b32 v3, v4, 6, v6
	v_mul_u64_e32 v[6:7], s[4:5], v[16:17]
	v_add_nc_u32_e32 v4, s2, v5
	v_mul_u64_e32 v[8:9], s[4:5], v[22:23]
	v_lshlrev_b32_e32 v32, 3, v5
	v_lshlrev_b64_e32 v[14:15], 3, v[14:15]
	s_cmp_gt_i32 s11, 0
	v_add_nc_u32_e32 v10, 16, v4
	v_ashrrev_i32_e32 v13, 31, v12
	v_cmp_le_i32_e32 vcc_lo, v16, v4
	v_cmp_gt_i32_e64 s2, s10, v4
	s_cselect_b32 s37, -1, 0
	v_ashrrev_i32_e32 v11, 31, v10
	v_lshlrev_b64_e32 v[12:13], 3, v[12:13]
	v_cmp_le_i32_e64 s3, v16, v10
	v_cmp_gt_i32_e64 s4, s10, v10
	s_and_b32 s10, vcc_lo, s2
	v_cmp_le_i32_e32 vcc_lo, v22, v4
	v_add_nc_u32_e32 v3, 0x800, v3
	v_ashrrev_i32_e32 v5, 31, v4
	s_and_b32 s33, s3, s4
	v_lshl_add_u64 v[12:13], v[18:19], 3, v[12:13]
	v_cmp_le_i32_e64 s3, v22, v10
	s_and_b32 s34, vcc_lo, s2
	v_lshl_add_u64 v[14:15], v[20:21], 3, v[14:15]
	v_add_nc_u64_e32 v[12:13], s[6:7], v[12:13]
	s_and_b32 s35, s3, s4
	s_lshl_b64 s[2:3], s[12:13], 3
	s_delay_alu instid0(VALU_DEP_2)
	v_add_nc_u64_e32 v[14:15], s[14:15], v[14:15]
	s_and_b32 s14, s36, s37
	s_lshl_b64 s[4:5], s[28:29], 6
	s_lshl_b64 s[6:7], s[8:9], 3
	;; [unrolled: 1-line block ×3, first 2 shown]
	s_branch .LBB46_6
.LBB46_5:                               ;   in Loop: Header=BB46_6 Depth=1
	s_wait_xcnt 0x0
	s_or_b32 exec_lo, exec_lo, s12
	s_add_co_i32 s24, s24, 0x10000
	s_delay_alu instid0(SALU_CYCLE_1)
	s_cmp_lt_u32 s24, s19
	s_cbranch_scc0 .LBB46_33
.LBB46_6:                               ; =>This Loop Header: Depth=1
                                        ;     Child Loop BB46_9 Depth 2
	v_mov_b64_e32 v[22:23], 0
	v_mov_b64_e32 v[20:21], 0
	;; [unrolled: 1-line block ×4, first 2 shown]
	s_and_not1_b32 vcc_lo, exec_lo, s14
	s_cbranch_vccnz .LBB46_13
; %bb.7:                                ;   in Loop: Header=BB46_6 Depth=1
	v_mad_nc_u64_u32 v[24:25], s2, s24, v[12:13]
	v_mad_nc_u64_u32 v[26:27], s6, s24, v[14:15]
	v_mov_b64_e32 v[16:17], 0
	v_mov_b64_e32 v[18:19], 0
	;; [unrolled: 1-line block ×4, first 2 shown]
	s_mov_b32 s12, 0
	v_mad_u32 v25, s3, s24, v25
	v_mad_u32 v27, s7, s24, v27
	s_branch .LBB46_9
.LBB46_8:                               ;   in Loop: Header=BB46_9 Depth=2
	s_wait_xcnt 0x0
	s_or_b32 exec_lo, exec_lo, s13
	s_wait_loadcnt 0x0
	ds_store_b64 v3, v[30:31]
	s_wait_dscnt 0x0
	s_barrier_signal -1
	s_barrier_wait -1
	ds_load_b128 v[28:31], v33
	ds_load_2addr_b64 v[34:37], v32 offset1:16
	ds_load_b128 v[38:41], v33 offset:1024
	ds_load_b128 v[42:45], v33 offset:16
	;; [unrolled: 1-line block ×3, first 2 shown]
	v_add_nc_u64_e32 v[24:25], s[4:5], v[24:25]
	v_add_nc_u64_e32 v[26:27], s[8:9], v[26:27]
	s_add_co_i32 s12, s12, 8
	s_delay_alu instid0(SALU_CYCLE_1)
	s_cmp_lt_i32 s12, s11
	s_wait_dscnt 0x3
	v_fmac_f64_e32 v[22:23], v[34:35], v[28:29]
	v_fmac_f64_e32 v[20:21], v[36:37], v[28:29]
	s_wait_dscnt 0x2
	v_fmac_f64_e32 v[18:19], v[34:35], v[38:39]
	v_fmac_f64_e32 v[16:17], v[36:37], v[38:39]
	ds_load_2addr_b64 v[34:37], v32 offset0:32 offset1:48
	s_wait_dscnt 0x0
	v_fmac_f64_e32 v[22:23], v[34:35], v[30:31]
	v_fmac_f64_e32 v[20:21], v[36:37], v[30:31]
	v_fmac_f64_e32 v[18:19], v[34:35], v[40:41]
	v_fmac_f64_e32 v[16:17], v[36:37], v[40:41]
	ds_load_2addr_b64 v[28:31], v32 offset0:64 offset1:80
	s_wait_dscnt 0x0
	v_fmac_f64_e32 v[22:23], v[28:29], v[42:43]
	v_fmac_f64_e32 v[20:21], v[30:31], v[42:43]
	;; [unrolled: 6-line block ×3, first 2 shown]
	v_fmac_f64_e32 v[18:19], v[28:29], v[48:49]
	v_fmac_f64_e32 v[16:17], v[30:31], v[48:49]
	ds_load_b128 v[28:31], v33 offset:32
	ds_load_2addr_b64 v[34:37], v32 offset0:128 offset1:144
	ds_load_b128 v[38:41], v33 offset:1056
	ds_load_b128 v[42:45], v33 offset:48
	;; [unrolled: 1-line block ×3, first 2 shown]
	s_wait_dscnt 0x3
	v_fmac_f64_e32 v[22:23], v[34:35], v[28:29]
	v_fmac_f64_e32 v[20:21], v[36:37], v[28:29]
	s_wait_dscnt 0x2
	v_fmac_f64_e32 v[18:19], v[34:35], v[38:39]
	v_fmac_f64_e32 v[16:17], v[36:37], v[38:39]
	ds_load_2addr_b64 v[34:37], v32 offset0:160 offset1:176
	s_wait_dscnt 0x0
	v_fmac_f64_e32 v[22:23], v[34:35], v[30:31]
	v_fmac_f64_e32 v[20:21], v[36:37], v[30:31]
	;; [unrolled: 1-line block ×4, first 2 shown]
	ds_load_2addr_b64 v[28:31], v32 offset0:192 offset1:208
	s_wait_dscnt 0x0
	v_fmac_f64_e32 v[22:23], v[28:29], v[42:43]
	v_fmac_f64_e32 v[20:21], v[30:31], v[42:43]
	;; [unrolled: 1-line block ×4, first 2 shown]
	ds_load_2addr_b64 v[28:31], v32 offset0:224 offset1:240
	s_wait_dscnt 0x0
	s_barrier_signal -1
	s_barrier_wait -1
	v_fmac_f64_e32 v[22:23], v[28:29], v[44:45]
	v_fmac_f64_e32 v[20:21], v[30:31], v[44:45]
	;; [unrolled: 1-line block ×4, first 2 shown]
	s_cbranch_scc0 .LBB46_13
.LBB46_9:                               ;   Parent Loop BB46_6 Depth=1
                                        ; =>  This Inner Loop Header: Depth=2
	v_add_nc_u32_e32 v28, s12, v2
	s_delay_alu instid0(VALU_DEP_1) | instskip(SKIP_2) | instid1(SALU_CYCLE_1)
	v_cmp_gt_i32_e32 vcc_lo, s11, v28
	v_mov_b64_e32 v[28:29], 0
	s_and_b32 s15, s0, vcc_lo
	s_and_saveexec_b32 s13, s15
	s_cbranch_execz .LBB46_11
; %bb.10:                               ;   in Loop: Header=BB46_9 Depth=2
	global_load_b64 v[28:29], v[24:25], off
.LBB46_11:                              ;   in Loop: Header=BB46_9 Depth=2
	s_wait_xcnt 0x0
	s_or_b32 exec_lo, exec_lo, s13
	v_add_nc_u32_e32 v30, s12, v0
	s_wait_loadcnt 0x0
	ds_store_b64 v1, v[28:29]
	v_cmp_gt_i32_e32 vcc_lo, s11, v30
	v_mov_b64_e32 v[30:31], 0
	s_and_b32 s15, vcc_lo, s1
	s_delay_alu instid0(SALU_CYCLE_1)
	s_and_saveexec_b32 s13, s15
	s_cbranch_execz .LBB46_8
; %bb.12:                               ;   in Loop: Header=BB46_9 Depth=2
	global_load_b64 v[30:31], v[26:27], off
	s_branch .LBB46_8
.LBB46_13:                              ;   in Loop: Header=BB46_6 Depth=1
	s_mul_u64 s[12:13], s[26:27], s[24:25]
	s_delay_alu instid0(SALU_CYCLE_1) | instskip(NEXT) | instid1(SALU_CYCLE_1)
	s_lshl_b64 s[12:13], s[12:13], 3
	s_add_nc_u64 s[12:13], s[16:17], s[12:13]
	s_delay_alu instid0(SALU_CYCLE_1)
	v_lshl_add_u64 v[24:25], v[6:7], 3, s[12:13]
	s_and_saveexec_b32 s15, s10
	s_cbranch_execz .LBB46_17
; %bb.14:                               ;   in Loop: Header=BB46_6 Depth=1
	v_mul_f64_e32 v[22:23], s[22:23], v[22:23]
	s_delay_alu instid0(VALU_DEP_2)
	v_lshl_add_u64 v[26:27], v[4:5], 3, v[24:25]
	s_and_b32 vcc_lo, exec_lo, s18
	s_cbranch_vccz .LBB46_28
; %bb.15:                               ;   in Loop: Header=BB46_6 Depth=1
	global_load_b64 v[28:29], v[26:27], off
	s_wait_loadcnt 0x0
	v_fma_f64 v[28:29], s[20:21], v[28:29], v[22:23]
	global_store_b64 v[26:27], v[28:29], off
	s_cbranch_execnz .LBB46_17
.LBB46_16:                              ;   in Loop: Header=BB46_6 Depth=1
	global_store_b64 v[26:27], v[22:23], off
.LBB46_17:                              ;   in Loop: Header=BB46_6 Depth=1
	s_wait_xcnt 0x0
	s_or_b32 exec_lo, exec_lo, s15
	s_and_saveexec_b32 s15, s33
	s_cbranch_execz .LBB46_21
; %bb.18:                               ;   in Loop: Header=BB46_6 Depth=1
	s_delay_alu instid0(VALU_DEP_4)
	v_mul_f64_e32 v[20:21], s[22:23], v[20:21]
	v_lshl_add_u64 v[22:23], v[10:11], 3, v[24:25]
	s_and_not1_b32 vcc_lo, exec_lo, s18
	s_cbranch_vccnz .LBB46_29
; %bb.19:                               ;   in Loop: Header=BB46_6 Depth=1
	global_load_b64 v[24:25], v[22:23], off
	s_wait_loadcnt 0x0
	v_fma_f64 v[24:25], s[20:21], v[24:25], v[20:21]
	global_store_b64 v[22:23], v[24:25], off
	s_cbranch_execnz .LBB46_21
.LBB46_20:                              ;   in Loop: Header=BB46_6 Depth=1
	global_store_b64 v[22:23], v[20:21], off
.LBB46_21:                              ;   in Loop: Header=BB46_6 Depth=1
	s_wait_xcnt 0x0
	s_or_b32 exec_lo, exec_lo, s15
	v_lshl_add_u64 v[20:21], v[8:9], 3, s[12:13]
	s_and_saveexec_b32 s12, s34
	s_cbranch_execz .LBB46_25
; %bb.22:                               ;   in Loop: Header=BB46_6 Depth=1
	s_delay_alu instid0(VALU_DEP_4) | instskip(NEXT) | instid1(VALU_DEP_2)
	v_mul_f64_e32 v[18:19], s[22:23], v[18:19]
	v_lshl_add_u64 v[22:23], v[4:5], 3, v[20:21]
	s_and_not1_b32 vcc_lo, exec_lo, s18
	s_cbranch_vccnz .LBB46_30
; %bb.23:                               ;   in Loop: Header=BB46_6 Depth=1
	global_load_b64 v[24:25], v[22:23], off
	s_wait_loadcnt 0x0
	v_fma_f64 v[24:25], s[20:21], v[24:25], v[18:19]
	global_store_b64 v[22:23], v[24:25], off
	s_cbranch_execnz .LBB46_25
.LBB46_24:                              ;   in Loop: Header=BB46_6 Depth=1
	global_store_b64 v[22:23], v[18:19], off
.LBB46_25:                              ;   in Loop: Header=BB46_6 Depth=1
	s_wait_xcnt 0x0
	s_or_b32 exec_lo, exec_lo, s12
	s_and_saveexec_b32 s12, s35
	s_cbranch_execz .LBB46_5
; %bb.26:                               ;   in Loop: Header=BB46_6 Depth=1
	s_delay_alu instid0(VALU_DEP_3)
	v_mul_f64_e32 v[16:17], s[22:23], v[16:17]
	v_lshl_add_u64 v[18:19], v[10:11], 3, v[20:21]
	s_and_not1_b32 vcc_lo, exec_lo, s18
	s_cbranch_vccnz .LBB46_31
; %bb.27:                               ;   in Loop: Header=BB46_6 Depth=1
	global_load_b64 v[20:21], v[18:19], off
	s_wait_loadcnt 0x0
	v_fma_f64 v[20:21], s[20:21], v[20:21], v[16:17]
	global_store_b64 v[18:19], v[20:21], off
	s_cbranch_execnz .LBB46_5
	s_branch .LBB46_32
.LBB46_28:                              ;   in Loop: Header=BB46_6 Depth=1
	s_branch .LBB46_16
.LBB46_29:                              ;   in Loop: Header=BB46_6 Depth=1
	s_branch .LBB46_20
.LBB46_30:                              ;   in Loop: Header=BB46_6 Depth=1
	s_branch .LBB46_24
.LBB46_31:                              ;   in Loop: Header=BB46_6 Depth=1
.LBB46_32:                              ;   in Loop: Header=BB46_6 Depth=1
	global_store_b64 v[18:19], v[16:17], off
	s_branch .LBB46_5
.LBB46_33:
	s_endpgm
	.section	.rodata,"a",@progbits
	.p2align	6, 0x0
	.amdhsa_kernel _ZL29rocblas_internal_gemmt_kernelIiLi16ELi32ELi8ELc78ELc84ELc76ELb0ELb0EdPKdS1_PdEviT_T9_T10_S3_lS5_S3_lS4_T11_S3_li
		.amdhsa_group_segment_fixed_size 4096
		.amdhsa_private_segment_fixed_size 0
		.amdhsa_kernarg_size 100
		.amdhsa_user_sgpr_count 2
		.amdhsa_user_sgpr_dispatch_ptr 0
		.amdhsa_user_sgpr_queue_ptr 0
		.amdhsa_user_sgpr_kernarg_segment_ptr 1
		.amdhsa_user_sgpr_dispatch_id 0
		.amdhsa_user_sgpr_kernarg_preload_length 0
		.amdhsa_user_sgpr_kernarg_preload_offset 0
		.amdhsa_user_sgpr_private_segment_size 0
		.amdhsa_wavefront_size32 1
		.amdhsa_uses_dynamic_stack 0
		.amdhsa_enable_private_segment 0
		.amdhsa_system_sgpr_workgroup_id_x 1
		.amdhsa_system_sgpr_workgroup_id_y 1
		.amdhsa_system_sgpr_workgroup_id_z 1
		.amdhsa_system_sgpr_workgroup_info 0
		.amdhsa_system_vgpr_workitem_id 1
		.amdhsa_next_free_vgpr 50
		.amdhsa_next_free_sgpr 38
		.amdhsa_named_barrier_count 0
		.amdhsa_reserve_vcc 1
		.amdhsa_float_round_mode_32 0
		.amdhsa_float_round_mode_16_64 0
		.amdhsa_float_denorm_mode_32 3
		.amdhsa_float_denorm_mode_16_64 3
		.amdhsa_fp16_overflow 0
		.amdhsa_memory_ordered 1
		.amdhsa_forward_progress 1
		.amdhsa_inst_pref_size 13
		.amdhsa_round_robin_scheduling 0
		.amdhsa_exception_fp_ieee_invalid_op 0
		.amdhsa_exception_fp_denorm_src 0
		.amdhsa_exception_fp_ieee_div_zero 0
		.amdhsa_exception_fp_ieee_overflow 0
		.amdhsa_exception_fp_ieee_underflow 0
		.amdhsa_exception_fp_ieee_inexact 0
		.amdhsa_exception_int_div_zero 0
	.end_amdhsa_kernel
	.section	.text._ZL29rocblas_internal_gemmt_kernelIiLi16ELi32ELi8ELc78ELc84ELc76ELb0ELb0EdPKdS1_PdEviT_T9_T10_S3_lS5_S3_lS4_T11_S3_li,"axG",@progbits,_ZL29rocblas_internal_gemmt_kernelIiLi16ELi32ELi8ELc78ELc84ELc76ELb0ELb0EdPKdS1_PdEviT_T9_T10_S3_lS5_S3_lS4_T11_S3_li,comdat
.Lfunc_end46:
	.size	_ZL29rocblas_internal_gemmt_kernelIiLi16ELi32ELi8ELc78ELc84ELc76ELb0ELb0EdPKdS1_PdEviT_T9_T10_S3_lS5_S3_lS4_T11_S3_li, .Lfunc_end46-_ZL29rocblas_internal_gemmt_kernelIiLi16ELi32ELi8ELc78ELc84ELc76ELb0ELb0EdPKdS1_PdEviT_T9_T10_S3_lS5_S3_lS4_T11_S3_li
                                        ; -- End function
	.set _ZL29rocblas_internal_gemmt_kernelIiLi16ELi32ELi8ELc78ELc84ELc76ELb0ELb0EdPKdS1_PdEviT_T9_T10_S3_lS5_S3_lS4_T11_S3_li.num_vgpr, 50
	.set _ZL29rocblas_internal_gemmt_kernelIiLi16ELi32ELi8ELc78ELc84ELc76ELb0ELb0EdPKdS1_PdEviT_T9_T10_S3_lS5_S3_lS4_T11_S3_li.num_agpr, 0
	.set _ZL29rocblas_internal_gemmt_kernelIiLi16ELi32ELi8ELc78ELc84ELc76ELb0ELb0EdPKdS1_PdEviT_T9_T10_S3_lS5_S3_lS4_T11_S3_li.numbered_sgpr, 38
	.set _ZL29rocblas_internal_gemmt_kernelIiLi16ELi32ELi8ELc78ELc84ELc76ELb0ELb0EdPKdS1_PdEviT_T9_T10_S3_lS5_S3_lS4_T11_S3_li.num_named_barrier, 0
	.set _ZL29rocblas_internal_gemmt_kernelIiLi16ELi32ELi8ELc78ELc84ELc76ELb0ELb0EdPKdS1_PdEviT_T9_T10_S3_lS5_S3_lS4_T11_S3_li.private_seg_size, 0
	.set _ZL29rocblas_internal_gemmt_kernelIiLi16ELi32ELi8ELc78ELc84ELc76ELb0ELb0EdPKdS1_PdEviT_T9_T10_S3_lS5_S3_lS4_T11_S3_li.uses_vcc, 1
	.set _ZL29rocblas_internal_gemmt_kernelIiLi16ELi32ELi8ELc78ELc84ELc76ELb0ELb0EdPKdS1_PdEviT_T9_T10_S3_lS5_S3_lS4_T11_S3_li.uses_flat_scratch, 0
	.set _ZL29rocblas_internal_gemmt_kernelIiLi16ELi32ELi8ELc78ELc84ELc76ELb0ELb0EdPKdS1_PdEviT_T9_T10_S3_lS5_S3_lS4_T11_S3_li.has_dyn_sized_stack, 0
	.set _ZL29rocblas_internal_gemmt_kernelIiLi16ELi32ELi8ELc78ELc84ELc76ELb0ELb0EdPKdS1_PdEviT_T9_T10_S3_lS5_S3_lS4_T11_S3_li.has_recursion, 0
	.set _ZL29rocblas_internal_gemmt_kernelIiLi16ELi32ELi8ELc78ELc84ELc76ELb0ELb0EdPKdS1_PdEviT_T9_T10_S3_lS5_S3_lS4_T11_S3_li.has_indirect_call, 0
	.section	.AMDGPU.csdata,"",@progbits
; Kernel info:
; codeLenInByte = 1660
; TotalNumSgprs: 40
; NumVgprs: 50
; ScratchSize: 0
; MemoryBound: 0
; FloatMode: 240
; IeeeMode: 1
; LDSByteSize: 4096 bytes/workgroup (compile time only)
; SGPRBlocks: 0
; VGPRBlocks: 3
; NumSGPRsForWavesPerEU: 40
; NumVGPRsForWavesPerEU: 50
; NamedBarCnt: 0
; Occupancy: 16
; WaveLimiterHint : 0
; COMPUTE_PGM_RSRC2:SCRATCH_EN: 0
; COMPUTE_PGM_RSRC2:USER_SGPR: 2
; COMPUTE_PGM_RSRC2:TRAP_HANDLER: 0
; COMPUTE_PGM_RSRC2:TGID_X_EN: 1
; COMPUTE_PGM_RSRC2:TGID_Y_EN: 1
; COMPUTE_PGM_RSRC2:TGID_Z_EN: 1
; COMPUTE_PGM_RSRC2:TIDIG_COMP_CNT: 1
	.section	.text._ZL29rocblas_internal_gemmt_kernelIiLi16ELi32ELi8ELc78ELc67ELc76ELb0ELb0EdPKdS1_PdEviT_T9_T10_S3_lS5_S3_lS4_T11_S3_li,"axG",@progbits,_ZL29rocblas_internal_gemmt_kernelIiLi16ELi32ELi8ELc78ELc67ELc76ELb0ELb0EdPKdS1_PdEviT_T9_T10_S3_lS5_S3_lS4_T11_S3_li,comdat
	.globl	_ZL29rocblas_internal_gemmt_kernelIiLi16ELi32ELi8ELc78ELc67ELc76ELb0ELb0EdPKdS1_PdEviT_T9_T10_S3_lS5_S3_lS4_T11_S3_li ; -- Begin function _ZL29rocblas_internal_gemmt_kernelIiLi16ELi32ELi8ELc78ELc67ELc76ELb0ELb0EdPKdS1_PdEviT_T9_T10_S3_lS5_S3_lS4_T11_S3_li
	.p2align	8
	.type	_ZL29rocblas_internal_gemmt_kernelIiLi16ELi32ELi8ELc78ELc67ELc76ELb0ELb0EdPKdS1_PdEviT_T9_T10_S3_lS5_S3_lS4_T11_S3_li,@function
_ZL29rocblas_internal_gemmt_kernelIiLi16ELi32ELi8ELc78ELc67ELc76ELb0ELb0EdPKdS1_PdEviT_T9_T10_S3_lS5_S3_lS4_T11_S3_li: ; @_ZL29rocblas_internal_gemmt_kernelIiLi16ELi32ELi8ELc78ELc67ELc76ELb0ELb0EdPKdS1_PdEviT_T9_T10_S3_lS5_S3_lS4_T11_S3_li
; %bb.0:
	s_load_b128 s[8:11], s[0:1], 0x38
	s_wait_kmcnt 0x0
	s_load_b64 s[20:21], s[10:11], 0x0
	s_load_b128 s[4:7], s[0:1], 0x8
	s_wait_xcnt 0x0
	s_load_b64 s[10:11], s[0:1], 0x0
	s_wait_kmcnt 0x0
	s_load_b64 s[22:23], s[4:5], 0x0
	v_cmp_neq_f64_e64 s2, s[20:21], 1.0
	s_and_b32 vcc_lo, exec_lo, s2
	s_cbranch_vccnz .LBB47_2
; %bb.1:
	s_wait_kmcnt 0x0
	v_cmp_neq_f64_e64 s2, s[22:23], 0
	s_cmp_lg_u32 s11, 0
	s_cselect_b32 s3, -1, 0
	s_delay_alu instid0(SALU_CYCLE_1)
	s_and_b32 s2, s3, s2
.LBB47_2:
	s_delay_alu instid0(SALU_CYCLE_1)
	s_and_not1_b32 vcc_lo, exec_lo, s2
	s_cbranch_vccnz .LBB47_33
; %bb.3:
	s_load_b32 s19, s[0:1], 0x60
	s_bfe_u32 s2, ttmp6, 0x40014
	s_lshr_b32 s3, ttmp7, 16
	s_add_co_i32 s2, s2, 1
	s_wait_xcnt 0x0
	s_bfe_u32 s5, ttmp6, 0x40008
	s_mul_i32 s4, s3, s2
	s_getreg_b32 s2, hwreg(HW_REG_IB_STS2, 6, 4)
	s_add_co_i32 s5, s5, s4
	s_cmp_eq_u32 s2, 0
	s_mov_b32 s25, 0
	s_cselect_b32 s24, s3, s5
	s_wait_kmcnt 0x0
	s_cmp_ge_u32 s24, s19
	s_cbranch_scc1 .LBB47_33
; %bb.4:
	s_clause 0x4
	s_load_b32 s28, s[0:1], 0x18
	s_load_b32 s30, s[0:1], 0x30
	s_load_b96 s[16:18], s[0:1], 0x48
	s_load_b128 s[12:15], s[0:1], 0x20
	s_load_b64 s[26:27], s[0:1], 0x58
	s_wait_xcnt 0x0
	s_bfe_u32 s1, ttmp6, 0x4000c
	s_bfe_u32 s4, ttmp6, 0x40010
	v_and_b32_e32 v5, 0x3ff, v0
	v_bfe_u32 v11, v0, 10, 10
	s_and_b32 s3, ttmp7, 0xffff
	s_add_co_i32 s1, s1, 1
	s_add_co_i32 s33, s4, 1
	s_and_b32 s0, ttmp6, 15
	s_mul_i32 s1, ttmp9, s1
	v_lshl_add_u32 v1, v11, 4, v5
	s_add_co_i32 s0, s0, s1
	v_and_b32_e32 v0, 7, v0
	v_cmp_neq_f64_e64 s36, s[22:23], 0
	v_lshl_add_u32 v33, v11, 6, 0x800
	v_dual_lshrrev_b32 v4, 3, v1 :: v_dual_bitop2_b32 v6, 31, v1 bitop3:0x40
	s_wait_kmcnt 0x0
	s_ashr_i32 s29, s28, 31
	s_ashr_i32 s5, s18, 31
	s_mov_b32 s4, s18
	s_mul_i32 s18, s3, s33
	s_bfe_u32 s33, ttmp6, 0x40004
	s_ashr_i32 s31, s30, 31
	s_add_co_i32 s33, s33, s18
	s_cmp_eq_u32 s2, 0
	v_lshrrev_b32_e32 v2, 5, v1
	s_cselect_b32 s0, ttmp9, s0
	s_cselect_b32 s1, s3, s33
	s_lshl_b32 s2, s0, 5
	s_delay_alu instid0(SALU_CYCLE_1) | instskip(SKIP_2) | instid1(VALU_DEP_2)
	v_dual_mov_b32 v3, 0 :: v_dual_bitop2_b32 v12, s2, v6 bitop3:0x54
	s_lshl_b32 s0, s1, 5
	v_cmp_neq_f64_e64 s18, s[20:21], 0
	v_dual_mov_b32 v1, v3 :: v_dual_add_nc_u32 v14, s0, v4
	v_add_nc_u32_e32 v16, s0, v11
	v_mul_u64_e32 v[18:19], s[28:29], v[2:3]
	v_lshlrev_b32_e32 v3, 3, v6
	s_delay_alu instid0(VALU_DEP_4)
	v_ashrrev_i32_e32 v15, 31, v14
	v_mul_u64_e32 v[20:21], s[30:31], v[0:1]
	v_dual_add_nc_u32 v22, 16, v16 :: v_dual_ashrrev_i32 v17, 31, v16
	v_lshlrev_b32_e32 v6, 3, v0
	v_lshl_or_b32 v1, v2, 8, v3
	v_cmp_gt_i32_e64 s0, s10, v12
	s_delay_alu instid0(VALU_DEP_4)
	v_ashrrev_i32_e32 v23, 31, v22
	v_cmp_gt_i32_e64 s1, s10, v14
	v_lshl_or_b32 v3, v4, 6, v6
	v_mul_u64_e32 v[6:7], s[4:5], v[16:17]
	v_add_nc_u32_e32 v4, s2, v5
	v_mul_u64_e32 v[8:9], s[4:5], v[22:23]
	v_lshlrev_b32_e32 v32, 3, v5
	v_lshlrev_b64_e32 v[14:15], 3, v[14:15]
	s_cmp_gt_i32 s11, 0
	v_add_nc_u32_e32 v10, 16, v4
	v_ashrrev_i32_e32 v13, 31, v12
	v_cmp_le_i32_e32 vcc_lo, v16, v4
	v_cmp_gt_i32_e64 s2, s10, v4
	s_cselect_b32 s37, -1, 0
	v_ashrrev_i32_e32 v11, 31, v10
	v_lshlrev_b64_e32 v[12:13], 3, v[12:13]
	v_cmp_le_i32_e64 s3, v16, v10
	v_cmp_gt_i32_e64 s4, s10, v10
	s_and_b32 s10, vcc_lo, s2
	v_cmp_le_i32_e32 vcc_lo, v22, v4
	v_add_nc_u32_e32 v3, 0x800, v3
	v_ashrrev_i32_e32 v5, 31, v4
	s_and_b32 s33, s3, s4
	v_lshl_add_u64 v[12:13], v[18:19], 3, v[12:13]
	v_cmp_le_i32_e64 s3, v22, v10
	s_and_b32 s34, vcc_lo, s2
	v_lshl_add_u64 v[14:15], v[20:21], 3, v[14:15]
	v_add_nc_u64_e32 v[12:13], s[6:7], v[12:13]
	s_and_b32 s35, s3, s4
	s_lshl_b64 s[2:3], s[12:13], 3
	s_delay_alu instid0(VALU_DEP_2)
	v_add_nc_u64_e32 v[14:15], s[14:15], v[14:15]
	s_and_b32 s14, s36, s37
	s_lshl_b64 s[4:5], s[28:29], 6
	s_lshl_b64 s[6:7], s[8:9], 3
	s_lshl_b64 s[8:9], s[30:31], 6
	s_branch .LBB47_6
.LBB47_5:                               ;   in Loop: Header=BB47_6 Depth=1
	s_wait_xcnt 0x0
	s_or_b32 exec_lo, exec_lo, s12
	s_add_co_i32 s24, s24, 0x10000
	s_delay_alu instid0(SALU_CYCLE_1)
	s_cmp_lt_u32 s24, s19
	s_cbranch_scc0 .LBB47_33
.LBB47_6:                               ; =>This Loop Header: Depth=1
                                        ;     Child Loop BB47_9 Depth 2
	v_mov_b64_e32 v[22:23], 0
	v_mov_b64_e32 v[20:21], 0
	;; [unrolled: 1-line block ×4, first 2 shown]
	s_and_not1_b32 vcc_lo, exec_lo, s14
	s_cbranch_vccnz .LBB47_13
; %bb.7:                                ;   in Loop: Header=BB47_6 Depth=1
	v_mad_nc_u64_u32 v[24:25], s2, s24, v[12:13]
	v_mad_nc_u64_u32 v[26:27], s6, s24, v[14:15]
	v_mov_b64_e32 v[16:17], 0
	v_mov_b64_e32 v[18:19], 0
	;; [unrolled: 1-line block ×4, first 2 shown]
	s_mov_b32 s12, 0
	v_mad_u32 v25, s3, s24, v25
	v_mad_u32 v27, s7, s24, v27
	s_branch .LBB47_9
.LBB47_8:                               ;   in Loop: Header=BB47_9 Depth=2
	s_wait_xcnt 0x0
	s_or_b32 exec_lo, exec_lo, s13
	s_wait_loadcnt 0x0
	ds_store_b64 v3, v[30:31]
	s_wait_dscnt 0x0
	s_barrier_signal -1
	s_barrier_wait -1
	ds_load_b128 v[28:31], v33
	ds_load_2addr_b64 v[34:37], v32 offset1:16
	ds_load_b128 v[38:41], v33 offset:1024
	ds_load_b128 v[42:45], v33 offset:16
	;; [unrolled: 1-line block ×3, first 2 shown]
	v_add_nc_u64_e32 v[24:25], s[4:5], v[24:25]
	v_add_nc_u64_e32 v[26:27], s[8:9], v[26:27]
	s_add_co_i32 s12, s12, 8
	s_delay_alu instid0(SALU_CYCLE_1)
	s_cmp_lt_i32 s12, s11
	s_wait_dscnt 0x3
	v_fmac_f64_e32 v[22:23], v[34:35], v[28:29]
	v_fmac_f64_e32 v[20:21], v[36:37], v[28:29]
	s_wait_dscnt 0x2
	v_fmac_f64_e32 v[18:19], v[34:35], v[38:39]
	v_fmac_f64_e32 v[16:17], v[36:37], v[38:39]
	ds_load_2addr_b64 v[34:37], v32 offset0:32 offset1:48
	s_wait_dscnt 0x0
	v_fmac_f64_e32 v[22:23], v[34:35], v[30:31]
	v_fmac_f64_e32 v[20:21], v[36:37], v[30:31]
	v_fmac_f64_e32 v[18:19], v[34:35], v[40:41]
	v_fmac_f64_e32 v[16:17], v[36:37], v[40:41]
	ds_load_2addr_b64 v[28:31], v32 offset0:64 offset1:80
	s_wait_dscnt 0x0
	v_fmac_f64_e32 v[22:23], v[28:29], v[42:43]
	v_fmac_f64_e32 v[20:21], v[30:31], v[42:43]
	;; [unrolled: 6-line block ×3, first 2 shown]
	v_fmac_f64_e32 v[18:19], v[28:29], v[48:49]
	v_fmac_f64_e32 v[16:17], v[30:31], v[48:49]
	ds_load_b128 v[28:31], v33 offset:32
	ds_load_2addr_b64 v[34:37], v32 offset0:128 offset1:144
	ds_load_b128 v[38:41], v33 offset:1056
	ds_load_b128 v[42:45], v33 offset:48
	;; [unrolled: 1-line block ×3, first 2 shown]
	s_wait_dscnt 0x3
	v_fmac_f64_e32 v[22:23], v[34:35], v[28:29]
	v_fmac_f64_e32 v[20:21], v[36:37], v[28:29]
	s_wait_dscnt 0x2
	v_fmac_f64_e32 v[18:19], v[34:35], v[38:39]
	v_fmac_f64_e32 v[16:17], v[36:37], v[38:39]
	ds_load_2addr_b64 v[34:37], v32 offset0:160 offset1:176
	s_wait_dscnt 0x0
	v_fmac_f64_e32 v[22:23], v[34:35], v[30:31]
	v_fmac_f64_e32 v[20:21], v[36:37], v[30:31]
	;; [unrolled: 1-line block ×4, first 2 shown]
	ds_load_2addr_b64 v[28:31], v32 offset0:192 offset1:208
	s_wait_dscnt 0x0
	v_fmac_f64_e32 v[22:23], v[28:29], v[42:43]
	v_fmac_f64_e32 v[20:21], v[30:31], v[42:43]
	;; [unrolled: 1-line block ×4, first 2 shown]
	ds_load_2addr_b64 v[28:31], v32 offset0:224 offset1:240
	s_wait_dscnt 0x0
	s_barrier_signal -1
	s_barrier_wait -1
	v_fmac_f64_e32 v[22:23], v[28:29], v[44:45]
	v_fmac_f64_e32 v[20:21], v[30:31], v[44:45]
	;; [unrolled: 1-line block ×4, first 2 shown]
	s_cbranch_scc0 .LBB47_13
.LBB47_9:                               ;   Parent Loop BB47_6 Depth=1
                                        ; =>  This Inner Loop Header: Depth=2
	v_add_nc_u32_e32 v28, s12, v2
	s_delay_alu instid0(VALU_DEP_1) | instskip(SKIP_2) | instid1(SALU_CYCLE_1)
	v_cmp_gt_i32_e32 vcc_lo, s11, v28
	v_mov_b64_e32 v[28:29], 0
	s_and_b32 s15, s0, vcc_lo
	s_and_saveexec_b32 s13, s15
	s_cbranch_execz .LBB47_11
; %bb.10:                               ;   in Loop: Header=BB47_9 Depth=2
	global_load_b64 v[28:29], v[24:25], off
.LBB47_11:                              ;   in Loop: Header=BB47_9 Depth=2
	s_wait_xcnt 0x0
	s_or_b32 exec_lo, exec_lo, s13
	v_add_nc_u32_e32 v30, s12, v0
	s_wait_loadcnt 0x0
	ds_store_b64 v1, v[28:29]
	v_cmp_gt_i32_e32 vcc_lo, s11, v30
	v_mov_b64_e32 v[30:31], 0
	s_and_b32 s15, vcc_lo, s1
	s_delay_alu instid0(SALU_CYCLE_1)
	s_and_saveexec_b32 s13, s15
	s_cbranch_execz .LBB47_8
; %bb.12:                               ;   in Loop: Header=BB47_9 Depth=2
	global_load_b64 v[30:31], v[26:27], off
	s_branch .LBB47_8
.LBB47_13:                              ;   in Loop: Header=BB47_6 Depth=1
	s_mul_u64 s[12:13], s[26:27], s[24:25]
	s_delay_alu instid0(SALU_CYCLE_1) | instskip(NEXT) | instid1(SALU_CYCLE_1)
	s_lshl_b64 s[12:13], s[12:13], 3
	s_add_nc_u64 s[12:13], s[16:17], s[12:13]
	s_delay_alu instid0(SALU_CYCLE_1)
	v_lshl_add_u64 v[24:25], v[6:7], 3, s[12:13]
	s_and_saveexec_b32 s15, s10
	s_cbranch_execz .LBB47_17
; %bb.14:                               ;   in Loop: Header=BB47_6 Depth=1
	v_mul_f64_e32 v[22:23], s[22:23], v[22:23]
	s_delay_alu instid0(VALU_DEP_2)
	v_lshl_add_u64 v[26:27], v[4:5], 3, v[24:25]
	s_and_b32 vcc_lo, exec_lo, s18
	s_cbranch_vccz .LBB47_28
; %bb.15:                               ;   in Loop: Header=BB47_6 Depth=1
	global_load_b64 v[28:29], v[26:27], off
	s_wait_loadcnt 0x0
	v_fma_f64 v[28:29], s[20:21], v[28:29], v[22:23]
	global_store_b64 v[26:27], v[28:29], off
	s_cbranch_execnz .LBB47_17
.LBB47_16:                              ;   in Loop: Header=BB47_6 Depth=1
	global_store_b64 v[26:27], v[22:23], off
.LBB47_17:                              ;   in Loop: Header=BB47_6 Depth=1
	s_wait_xcnt 0x0
	s_or_b32 exec_lo, exec_lo, s15
	s_and_saveexec_b32 s15, s33
	s_cbranch_execz .LBB47_21
; %bb.18:                               ;   in Loop: Header=BB47_6 Depth=1
	s_delay_alu instid0(VALU_DEP_4)
	v_mul_f64_e32 v[20:21], s[22:23], v[20:21]
	v_lshl_add_u64 v[22:23], v[10:11], 3, v[24:25]
	s_and_not1_b32 vcc_lo, exec_lo, s18
	s_cbranch_vccnz .LBB47_29
; %bb.19:                               ;   in Loop: Header=BB47_6 Depth=1
	global_load_b64 v[24:25], v[22:23], off
	s_wait_loadcnt 0x0
	v_fma_f64 v[24:25], s[20:21], v[24:25], v[20:21]
	global_store_b64 v[22:23], v[24:25], off
	s_cbranch_execnz .LBB47_21
.LBB47_20:                              ;   in Loop: Header=BB47_6 Depth=1
	global_store_b64 v[22:23], v[20:21], off
.LBB47_21:                              ;   in Loop: Header=BB47_6 Depth=1
	s_wait_xcnt 0x0
	s_or_b32 exec_lo, exec_lo, s15
	v_lshl_add_u64 v[20:21], v[8:9], 3, s[12:13]
	s_and_saveexec_b32 s12, s34
	s_cbranch_execz .LBB47_25
; %bb.22:                               ;   in Loop: Header=BB47_6 Depth=1
	s_delay_alu instid0(VALU_DEP_4) | instskip(NEXT) | instid1(VALU_DEP_2)
	v_mul_f64_e32 v[18:19], s[22:23], v[18:19]
	v_lshl_add_u64 v[22:23], v[4:5], 3, v[20:21]
	s_and_not1_b32 vcc_lo, exec_lo, s18
	s_cbranch_vccnz .LBB47_30
; %bb.23:                               ;   in Loop: Header=BB47_6 Depth=1
	global_load_b64 v[24:25], v[22:23], off
	s_wait_loadcnt 0x0
	v_fma_f64 v[24:25], s[20:21], v[24:25], v[18:19]
	global_store_b64 v[22:23], v[24:25], off
	s_cbranch_execnz .LBB47_25
.LBB47_24:                              ;   in Loop: Header=BB47_6 Depth=1
	global_store_b64 v[22:23], v[18:19], off
.LBB47_25:                              ;   in Loop: Header=BB47_6 Depth=1
	s_wait_xcnt 0x0
	s_or_b32 exec_lo, exec_lo, s12
	s_and_saveexec_b32 s12, s35
	s_cbranch_execz .LBB47_5
; %bb.26:                               ;   in Loop: Header=BB47_6 Depth=1
	s_delay_alu instid0(VALU_DEP_3)
	v_mul_f64_e32 v[16:17], s[22:23], v[16:17]
	v_lshl_add_u64 v[18:19], v[10:11], 3, v[20:21]
	s_and_not1_b32 vcc_lo, exec_lo, s18
	s_cbranch_vccnz .LBB47_31
; %bb.27:                               ;   in Loop: Header=BB47_6 Depth=1
	global_load_b64 v[20:21], v[18:19], off
	s_wait_loadcnt 0x0
	v_fma_f64 v[20:21], s[20:21], v[20:21], v[16:17]
	global_store_b64 v[18:19], v[20:21], off
	s_cbranch_execnz .LBB47_5
	s_branch .LBB47_32
.LBB47_28:                              ;   in Loop: Header=BB47_6 Depth=1
	s_branch .LBB47_16
.LBB47_29:                              ;   in Loop: Header=BB47_6 Depth=1
	s_branch .LBB47_20
.LBB47_30:                              ;   in Loop: Header=BB47_6 Depth=1
	s_branch .LBB47_24
.LBB47_31:                              ;   in Loop: Header=BB47_6 Depth=1
.LBB47_32:                              ;   in Loop: Header=BB47_6 Depth=1
	global_store_b64 v[18:19], v[16:17], off
	s_branch .LBB47_5
.LBB47_33:
	s_endpgm
	.section	.rodata,"a",@progbits
	.p2align	6, 0x0
	.amdhsa_kernel _ZL29rocblas_internal_gemmt_kernelIiLi16ELi32ELi8ELc78ELc67ELc76ELb0ELb0EdPKdS1_PdEviT_T9_T10_S3_lS5_S3_lS4_T11_S3_li
		.amdhsa_group_segment_fixed_size 4096
		.amdhsa_private_segment_fixed_size 0
		.amdhsa_kernarg_size 100
		.amdhsa_user_sgpr_count 2
		.amdhsa_user_sgpr_dispatch_ptr 0
		.amdhsa_user_sgpr_queue_ptr 0
		.amdhsa_user_sgpr_kernarg_segment_ptr 1
		.amdhsa_user_sgpr_dispatch_id 0
		.amdhsa_user_sgpr_kernarg_preload_length 0
		.amdhsa_user_sgpr_kernarg_preload_offset 0
		.amdhsa_user_sgpr_private_segment_size 0
		.amdhsa_wavefront_size32 1
		.amdhsa_uses_dynamic_stack 0
		.amdhsa_enable_private_segment 0
		.amdhsa_system_sgpr_workgroup_id_x 1
		.amdhsa_system_sgpr_workgroup_id_y 1
		.amdhsa_system_sgpr_workgroup_id_z 1
		.amdhsa_system_sgpr_workgroup_info 0
		.amdhsa_system_vgpr_workitem_id 1
		.amdhsa_next_free_vgpr 50
		.amdhsa_next_free_sgpr 38
		.amdhsa_named_barrier_count 0
		.amdhsa_reserve_vcc 1
		.amdhsa_float_round_mode_32 0
		.amdhsa_float_round_mode_16_64 0
		.amdhsa_float_denorm_mode_32 3
		.amdhsa_float_denorm_mode_16_64 3
		.amdhsa_fp16_overflow 0
		.amdhsa_memory_ordered 1
		.amdhsa_forward_progress 1
		.amdhsa_inst_pref_size 13
		.amdhsa_round_robin_scheduling 0
		.amdhsa_exception_fp_ieee_invalid_op 0
		.amdhsa_exception_fp_denorm_src 0
		.amdhsa_exception_fp_ieee_div_zero 0
		.amdhsa_exception_fp_ieee_overflow 0
		.amdhsa_exception_fp_ieee_underflow 0
		.amdhsa_exception_fp_ieee_inexact 0
		.amdhsa_exception_int_div_zero 0
	.end_amdhsa_kernel
	.section	.text._ZL29rocblas_internal_gemmt_kernelIiLi16ELi32ELi8ELc78ELc67ELc76ELb0ELb0EdPKdS1_PdEviT_T9_T10_S3_lS5_S3_lS4_T11_S3_li,"axG",@progbits,_ZL29rocblas_internal_gemmt_kernelIiLi16ELi32ELi8ELc78ELc67ELc76ELb0ELb0EdPKdS1_PdEviT_T9_T10_S3_lS5_S3_lS4_T11_S3_li,comdat
.Lfunc_end47:
	.size	_ZL29rocblas_internal_gemmt_kernelIiLi16ELi32ELi8ELc78ELc67ELc76ELb0ELb0EdPKdS1_PdEviT_T9_T10_S3_lS5_S3_lS4_T11_S3_li, .Lfunc_end47-_ZL29rocblas_internal_gemmt_kernelIiLi16ELi32ELi8ELc78ELc67ELc76ELb0ELb0EdPKdS1_PdEviT_T9_T10_S3_lS5_S3_lS4_T11_S3_li
                                        ; -- End function
	.set _ZL29rocblas_internal_gemmt_kernelIiLi16ELi32ELi8ELc78ELc67ELc76ELb0ELb0EdPKdS1_PdEviT_T9_T10_S3_lS5_S3_lS4_T11_S3_li.num_vgpr, 50
	.set _ZL29rocblas_internal_gemmt_kernelIiLi16ELi32ELi8ELc78ELc67ELc76ELb0ELb0EdPKdS1_PdEviT_T9_T10_S3_lS5_S3_lS4_T11_S3_li.num_agpr, 0
	.set _ZL29rocblas_internal_gemmt_kernelIiLi16ELi32ELi8ELc78ELc67ELc76ELb0ELb0EdPKdS1_PdEviT_T9_T10_S3_lS5_S3_lS4_T11_S3_li.numbered_sgpr, 38
	.set _ZL29rocblas_internal_gemmt_kernelIiLi16ELi32ELi8ELc78ELc67ELc76ELb0ELb0EdPKdS1_PdEviT_T9_T10_S3_lS5_S3_lS4_T11_S3_li.num_named_barrier, 0
	.set _ZL29rocblas_internal_gemmt_kernelIiLi16ELi32ELi8ELc78ELc67ELc76ELb0ELb0EdPKdS1_PdEviT_T9_T10_S3_lS5_S3_lS4_T11_S3_li.private_seg_size, 0
	.set _ZL29rocblas_internal_gemmt_kernelIiLi16ELi32ELi8ELc78ELc67ELc76ELb0ELb0EdPKdS1_PdEviT_T9_T10_S3_lS5_S3_lS4_T11_S3_li.uses_vcc, 1
	.set _ZL29rocblas_internal_gemmt_kernelIiLi16ELi32ELi8ELc78ELc67ELc76ELb0ELb0EdPKdS1_PdEviT_T9_T10_S3_lS5_S3_lS4_T11_S3_li.uses_flat_scratch, 0
	.set _ZL29rocblas_internal_gemmt_kernelIiLi16ELi32ELi8ELc78ELc67ELc76ELb0ELb0EdPKdS1_PdEviT_T9_T10_S3_lS5_S3_lS4_T11_S3_li.has_dyn_sized_stack, 0
	.set _ZL29rocblas_internal_gemmt_kernelIiLi16ELi32ELi8ELc78ELc67ELc76ELb0ELb0EdPKdS1_PdEviT_T9_T10_S3_lS5_S3_lS4_T11_S3_li.has_recursion, 0
	.set _ZL29rocblas_internal_gemmt_kernelIiLi16ELi32ELi8ELc78ELc67ELc76ELb0ELb0EdPKdS1_PdEviT_T9_T10_S3_lS5_S3_lS4_T11_S3_li.has_indirect_call, 0
	.section	.AMDGPU.csdata,"",@progbits
; Kernel info:
; codeLenInByte = 1660
; TotalNumSgprs: 40
; NumVgprs: 50
; ScratchSize: 0
; MemoryBound: 0
; FloatMode: 240
; IeeeMode: 1
; LDSByteSize: 4096 bytes/workgroup (compile time only)
; SGPRBlocks: 0
; VGPRBlocks: 3
; NumSGPRsForWavesPerEU: 40
; NumVGPRsForWavesPerEU: 50
; NamedBarCnt: 0
; Occupancy: 16
; WaveLimiterHint : 0
; COMPUTE_PGM_RSRC2:SCRATCH_EN: 0
; COMPUTE_PGM_RSRC2:USER_SGPR: 2
; COMPUTE_PGM_RSRC2:TRAP_HANDLER: 0
; COMPUTE_PGM_RSRC2:TGID_X_EN: 1
; COMPUTE_PGM_RSRC2:TGID_Y_EN: 1
; COMPUTE_PGM_RSRC2:TGID_Z_EN: 1
; COMPUTE_PGM_RSRC2:TIDIG_COMP_CNT: 1
	.section	.text._ZL29rocblas_internal_gemmt_kernelIiLi16ELi32ELi8ELc84ELc78ELc76ELb0ELb0EdPKdS1_PdEviT_T9_T10_S3_lS5_S3_lS4_T11_S3_li,"axG",@progbits,_ZL29rocblas_internal_gemmt_kernelIiLi16ELi32ELi8ELc84ELc78ELc76ELb0ELb0EdPKdS1_PdEviT_T9_T10_S3_lS5_S3_lS4_T11_S3_li,comdat
	.globl	_ZL29rocblas_internal_gemmt_kernelIiLi16ELi32ELi8ELc84ELc78ELc76ELb0ELb0EdPKdS1_PdEviT_T9_T10_S3_lS5_S3_lS4_T11_S3_li ; -- Begin function _ZL29rocblas_internal_gemmt_kernelIiLi16ELi32ELi8ELc84ELc78ELc76ELb0ELb0EdPKdS1_PdEviT_T9_T10_S3_lS5_S3_lS4_T11_S3_li
	.p2align	8
	.type	_ZL29rocblas_internal_gemmt_kernelIiLi16ELi32ELi8ELc84ELc78ELc76ELb0ELb0EdPKdS1_PdEviT_T9_T10_S3_lS5_S3_lS4_T11_S3_li,@function
_ZL29rocblas_internal_gemmt_kernelIiLi16ELi32ELi8ELc84ELc78ELc76ELb0ELb0EdPKdS1_PdEviT_T9_T10_S3_lS5_S3_lS4_T11_S3_li: ; @_ZL29rocblas_internal_gemmt_kernelIiLi16ELi32ELi8ELc84ELc78ELc76ELb0ELb0EdPKdS1_PdEviT_T9_T10_S3_lS5_S3_lS4_T11_S3_li
; %bb.0:
	s_load_b128 s[8:11], s[0:1], 0x38
	s_wait_kmcnt 0x0
	s_load_b64 s[20:21], s[10:11], 0x0
	s_load_b128 s[4:7], s[0:1], 0x8
	s_wait_xcnt 0x0
	s_load_b64 s[10:11], s[0:1], 0x0
	s_wait_kmcnt 0x0
	s_load_b64 s[22:23], s[4:5], 0x0
	v_cmp_neq_f64_e64 s2, s[20:21], 1.0
	s_and_b32 vcc_lo, exec_lo, s2
	s_cbranch_vccnz .LBB48_2
; %bb.1:
	s_wait_kmcnt 0x0
	v_cmp_neq_f64_e64 s2, s[22:23], 0
	s_cmp_lg_u32 s11, 0
	s_cselect_b32 s3, -1, 0
	s_delay_alu instid0(SALU_CYCLE_1)
	s_and_b32 s2, s3, s2
.LBB48_2:
	s_delay_alu instid0(SALU_CYCLE_1)
	s_and_not1_b32 vcc_lo, exec_lo, s2
	s_cbranch_vccnz .LBB48_33
; %bb.3:
	s_load_b32 s19, s[0:1], 0x60
	s_bfe_u32 s2, ttmp6, 0x40014
	s_lshr_b32 s3, ttmp7, 16
	s_add_co_i32 s2, s2, 1
	s_wait_xcnt 0x0
	s_bfe_u32 s4, ttmp6, 0x40008
	s_mul_i32 s2, s3, s2
	s_getreg_b32 s28, hwreg(HW_REG_IB_STS2, 6, 4)
	s_add_co_i32 s4, s4, s2
	s_cmp_eq_u32 s28, 0
	s_mov_b32 s25, 0
	s_cselect_b32 s24, s3, s4
	s_wait_kmcnt 0x0
	s_cmp_ge_u32 s24, s19
	s_cbranch_scc1 .LBB48_33
; %bb.4:
	s_clause 0x3
	s_load_b32 s4, s[0:1], 0x18
	s_load_b32 s2, s[0:1], 0x30
	s_load_b96 s[16:18], s[0:1], 0x48
	s_load_b128 s[12:15], s[0:1], 0x20
	v_and_b32_e32 v1, 0x3ff, v0
	v_bfe_u32 v19, v0, 10, 10
	s_load_b64 s[26:27], s[0:1], 0x58
	s_wait_xcnt 0x0
	s_bfe_u32 s1, ttmp6, 0x4000c
	s_bfe_u32 s3, ttmp6, 0x40010
	s_and_b32 s29, ttmp7, 0xffff
	s_add_co_i32 s1, s1, 1
	s_add_co_i32 s3, s3, 1
	v_lshl_add_u32 v2, v19, 4, v1
	s_and_b32 s0, ttmp6, 15
	s_bfe_u32 s30, ttmp6, 0x40004
	s_mul_i32 s31, ttmp9, s1
	s_mul_i32 s33, s29, s3
	s_add_co_i32 s0, s0, s31
	s_add_co_i32 s30, s30, s33
	v_dual_lshrrev_b32 v3, 3, v2 :: v_dual_bitop2_b32 v4, 31, v2 bitop3:0x40
	s_wait_kmcnt 0x0
	s_ashr_i32 s5, s4, 31
	s_ashr_i32 s3, s2, 31
	;; [unrolled: 1-line block ×3, first 2 shown]
	s_cmp_eq_u32 s28, 0
	v_dual_lshrrev_b32 v28, 5, v2 :: v_dual_bitop2_b32 v29, 7, v0 bitop3:0x40
	s_cselect_b32 s0, ttmp9, s0
	s_cselect_b32 s28, s29, s30
	s_lshl_b32 s29, s0, 5
	s_lshl_b32 s28, s28, 5
	s_delay_alu instid0(SALU_CYCLE_1) | instskip(SKIP_2) | instid1(VALU_DEP_2)
	v_dual_add_nc_u32 v8, s28, v3 :: v_dual_bitop2_b32 v6, s29, v4 bitop3:0x54
	v_dual_add_nc_u32 v10, s28, v19 :: v_dual_lshlrev_b32 v18, 3, v29
	s_mov_b32 s0, s18
	v_dual_ashrrev_i32 v7, 31, v6 :: v_dual_ashrrev_i32 v9, 31, v8
	s_delay_alu instid0(VALU_DEP_2) | instskip(SKIP_2) | instid1(VALU_DEP_4)
	v_add_nc_u32_e32 v16, 16, v10
	v_cmp_neq_f64_e64 s30, s[22:23], 0
	v_cmp_neq_f64_e64 s18, s[20:21], 0
	v_mul_u64_e32 v[12:13], s[4:5], v[6:7]
	v_mul_u64_e32 v[14:15], s[2:3], v[8:9]
	v_dual_lshlrev_b32 v7, 3, v4 :: v_dual_ashrrev_i32 v11, 31, v10
	v_ashrrev_i32_e32 v17, 31, v16
	v_lshl_or_b32 v9, v3, 6, v18
	v_dual_add_nc_u32 v0, s29, v1 :: v_dual_lshlrev_b32 v32, 3, v1
	s_delay_alu instid0(VALU_DEP_4) | instskip(NEXT) | instid1(VALU_DEP_4)
	v_mul_u64_e32 v[2:3], s[0:1], v[10:11]
	v_mul_u64_e32 v[4:5], s[0:1], v[16:17]
	v_cmp_gt_i32_e64 s0, s10, v6
	v_add_nc_u32_e32 v31, 0x800, v9
	v_dual_mov_b32 v9, 0 :: v_dual_add_nc_u32 v6, 16, v0
	v_cmp_gt_i32_e64 s1, s10, v8
	v_cmp_le_i32_e32 vcc_lo, v10, v0
	v_cmp_gt_i32_e64 s2, s10, v0
	v_lshl_add_u32 v33, v19, 6, 0x800
	v_dual_mov_b32 v19, v9 :: v_dual_lshlrev_b32 v8, 3, v28
	s_cmp_gt_i32 s11, 0
	v_cmp_gt_i32_e64 s3, s10, v6
	s_cselect_b32 s5, -1, 0
	s_and_b32 s28, vcc_lo, s2
	v_cmp_le_i32_e32 vcc_lo, v10, v6
	v_cmp_le_i32_e64 s4, v16, v0
	v_lshl_or_b32 v30, v28, 8, v7
	v_dual_ashrrev_i32 v1, 31, v0 :: v_dual_ashrrev_i32 v7, 31, v6
	s_and_b32 s10, vcc_lo, s3
	v_cmp_le_i32_e32 vcc_lo, v16, v6
	s_and_b32 s29, s4, s2
	v_lshl_add_u64 v[8:9], v[12:13], 3, v[8:9]
	v_lshl_add_u64 v[10:11], v[14:15], 3, v[18:19]
	s_delay_alu instid0(VALU_DEP_2) | instskip(NEXT) | instid1(VALU_DEP_2)
	v_add_nc_u64_e32 v[8:9], s[6:7], v[8:9]
	v_add_nc_u64_e32 v[10:11], s[14:15], v[10:11]
	s_and_b32 s14, s30, s5
	s_and_b32 s15, vcc_lo, s3
	s_lshl_b64 s[2:3], s[12:13], 3
	s_lshl_b64 s[4:5], s[8:9], 3
	s_branch .LBB48_6
.LBB48_5:                               ;   in Loop: Header=BB48_6 Depth=1
	s_wait_xcnt 0x0
	s_or_b32 exec_lo, exec_lo, s6
	s_add_co_i32 s24, s24, 0x10000
	s_delay_alu instid0(SALU_CYCLE_1)
	s_cmp_lt_u32 s24, s19
	s_cbranch_scc0 .LBB48_33
.LBB48_6:                               ; =>This Loop Header: Depth=1
                                        ;     Child Loop BB48_9 Depth 2
	v_mov_b64_e32 v[18:19], 0
	v_mov_b64_e32 v[16:17], 0
	v_mov_b64_e32 v[14:15], 0
	v_mov_b64_e32 v[12:13], 0
	s_and_not1_b32 vcc_lo, exec_lo, s14
	s_cbranch_vccnz .LBB48_13
; %bb.7:                                ;   in Loop: Header=BB48_6 Depth=1
	v_mad_nc_u64_u32 v[20:21], s2, s24, v[8:9]
	v_mad_nc_u64_u32 v[22:23], s4, s24, v[10:11]
	v_mov_b64_e32 v[12:13], 0
	v_mov_b64_e32 v[14:15], 0
	;; [unrolled: 1-line block ×4, first 2 shown]
	s_mov_b32 s6, 0
	v_mad_u32 v21, s3, s24, v21
	v_mad_u32 v23, s5, s24, v23
	s_branch .LBB48_9
.LBB48_8:                               ;   in Loop: Header=BB48_9 Depth=2
	s_wait_xcnt 0x0
	s_or_b32 exec_lo, exec_lo, s7
	s_wait_loadcnt 0x0
	ds_store_b64 v31, v[26:27]
	s_wait_dscnt 0x0
	s_barrier_signal -1
	s_barrier_wait -1
	ds_load_b128 v[24:27], v33
	ds_load_2addr_b64 v[34:37], v32 offset1:16
	ds_load_b128 v[38:41], v33 offset:1024
	ds_load_b128 v[42:45], v33 offset:16
	;; [unrolled: 1-line block ×3, first 2 shown]
	v_add_nc_u64_e32 v[20:21], 64, v[20:21]
	v_add_nc_u64_e32 v[22:23], 64, v[22:23]
	s_add_co_i32 s6, s6, 8
	s_delay_alu instid0(SALU_CYCLE_1)
	s_cmp_lt_i32 s6, s11
	s_wait_dscnt 0x3
	v_fmac_f64_e32 v[18:19], v[34:35], v[24:25]
	v_fmac_f64_e32 v[16:17], v[36:37], v[24:25]
	s_wait_dscnt 0x2
	v_fmac_f64_e32 v[14:15], v[34:35], v[38:39]
	v_fmac_f64_e32 v[12:13], v[36:37], v[38:39]
	ds_load_2addr_b64 v[34:37], v32 offset0:32 offset1:48
	s_wait_dscnt 0x0
	v_fmac_f64_e32 v[18:19], v[34:35], v[26:27]
	v_fmac_f64_e32 v[16:17], v[36:37], v[26:27]
	v_fmac_f64_e32 v[14:15], v[34:35], v[40:41]
	v_fmac_f64_e32 v[12:13], v[36:37], v[40:41]
	ds_load_2addr_b64 v[24:27], v32 offset0:64 offset1:80
	s_wait_dscnt 0x0
	v_fmac_f64_e32 v[18:19], v[24:25], v[42:43]
	v_fmac_f64_e32 v[16:17], v[26:27], v[42:43]
	;; [unrolled: 6-line block ×3, first 2 shown]
	v_fmac_f64_e32 v[14:15], v[24:25], v[48:49]
	v_fmac_f64_e32 v[12:13], v[26:27], v[48:49]
	ds_load_b128 v[24:27], v33 offset:32
	ds_load_2addr_b64 v[34:37], v32 offset0:128 offset1:144
	ds_load_b128 v[38:41], v33 offset:1056
	ds_load_b128 v[42:45], v33 offset:48
	;; [unrolled: 1-line block ×3, first 2 shown]
	s_wait_dscnt 0x3
	v_fmac_f64_e32 v[18:19], v[34:35], v[24:25]
	v_fmac_f64_e32 v[16:17], v[36:37], v[24:25]
	s_wait_dscnt 0x2
	v_fmac_f64_e32 v[14:15], v[34:35], v[38:39]
	v_fmac_f64_e32 v[12:13], v[36:37], v[38:39]
	ds_load_2addr_b64 v[34:37], v32 offset0:160 offset1:176
	s_wait_dscnt 0x0
	v_fmac_f64_e32 v[18:19], v[34:35], v[26:27]
	v_fmac_f64_e32 v[16:17], v[36:37], v[26:27]
	;; [unrolled: 1-line block ×4, first 2 shown]
	ds_load_2addr_b64 v[24:27], v32 offset0:192 offset1:208
	s_wait_dscnt 0x0
	v_fmac_f64_e32 v[18:19], v[24:25], v[42:43]
	v_fmac_f64_e32 v[16:17], v[26:27], v[42:43]
	;; [unrolled: 1-line block ×4, first 2 shown]
	ds_load_2addr_b64 v[24:27], v32 offset0:224 offset1:240
	s_wait_dscnt 0x0
	s_barrier_signal -1
	s_barrier_wait -1
	v_fmac_f64_e32 v[18:19], v[24:25], v[44:45]
	v_fmac_f64_e32 v[16:17], v[26:27], v[44:45]
	;; [unrolled: 1-line block ×4, first 2 shown]
	s_cbranch_scc0 .LBB48_13
.LBB48_9:                               ;   Parent Loop BB48_6 Depth=1
                                        ; =>  This Inner Loop Header: Depth=2
	v_add_nc_u32_e32 v24, s6, v28
	s_delay_alu instid0(VALU_DEP_1) | instskip(SKIP_2) | instid1(SALU_CYCLE_1)
	v_cmp_gt_i32_e32 vcc_lo, s11, v24
	v_mov_b64_e32 v[24:25], 0
	s_and_b32 s8, s0, vcc_lo
	s_and_saveexec_b32 s7, s8
	s_cbranch_execz .LBB48_11
; %bb.10:                               ;   in Loop: Header=BB48_9 Depth=2
	global_load_b64 v[24:25], v[20:21], off
.LBB48_11:                              ;   in Loop: Header=BB48_9 Depth=2
	s_wait_xcnt 0x0
	s_or_b32 exec_lo, exec_lo, s7
	v_add_nc_u32_e32 v26, s6, v29
	s_wait_loadcnt 0x0
	ds_store_b64 v30, v[24:25]
	v_cmp_gt_i32_e32 vcc_lo, s11, v26
	v_mov_b64_e32 v[26:27], 0
	s_and_b32 s8, vcc_lo, s1
	s_delay_alu instid0(SALU_CYCLE_1)
	s_and_saveexec_b32 s7, s8
	s_cbranch_execz .LBB48_8
; %bb.12:                               ;   in Loop: Header=BB48_9 Depth=2
	global_load_b64 v[26:27], v[22:23], off
	s_branch .LBB48_8
.LBB48_13:                              ;   in Loop: Header=BB48_6 Depth=1
	s_mul_u64 s[6:7], s[26:27], s[24:25]
	s_delay_alu instid0(SALU_CYCLE_1) | instskip(NEXT) | instid1(SALU_CYCLE_1)
	s_lshl_b64 s[6:7], s[6:7], 3
	s_add_nc_u64 s[6:7], s[16:17], s[6:7]
	s_delay_alu instid0(SALU_CYCLE_1)
	v_lshl_add_u64 v[20:21], v[2:3], 3, s[6:7]
	s_and_saveexec_b32 s8, s28
	s_cbranch_execz .LBB48_17
; %bb.14:                               ;   in Loop: Header=BB48_6 Depth=1
	v_mul_f64_e32 v[18:19], s[22:23], v[18:19]
	s_delay_alu instid0(VALU_DEP_2)
	v_lshl_add_u64 v[22:23], v[0:1], 3, v[20:21]
	s_and_b32 vcc_lo, exec_lo, s18
	s_cbranch_vccz .LBB48_28
; %bb.15:                               ;   in Loop: Header=BB48_6 Depth=1
	global_load_b64 v[24:25], v[22:23], off
	s_wait_loadcnt 0x0
	v_fma_f64 v[24:25], s[20:21], v[24:25], v[18:19]
	global_store_b64 v[22:23], v[24:25], off
	s_cbranch_execnz .LBB48_17
.LBB48_16:                              ;   in Loop: Header=BB48_6 Depth=1
	global_store_b64 v[22:23], v[18:19], off
.LBB48_17:                              ;   in Loop: Header=BB48_6 Depth=1
	s_wait_xcnt 0x0
	s_or_b32 exec_lo, exec_lo, s8
	s_and_saveexec_b32 s8, s10
	s_cbranch_execz .LBB48_21
; %bb.18:                               ;   in Loop: Header=BB48_6 Depth=1
	s_delay_alu instid0(VALU_DEP_4)
	v_mul_f64_e32 v[16:17], s[22:23], v[16:17]
	v_lshl_add_u64 v[18:19], v[6:7], 3, v[20:21]
	s_and_not1_b32 vcc_lo, exec_lo, s18
	s_cbranch_vccnz .LBB48_29
; %bb.19:                               ;   in Loop: Header=BB48_6 Depth=1
	global_load_b64 v[20:21], v[18:19], off
	s_wait_loadcnt 0x0
	v_fma_f64 v[20:21], s[20:21], v[20:21], v[16:17]
	global_store_b64 v[18:19], v[20:21], off
	s_cbranch_execnz .LBB48_21
.LBB48_20:                              ;   in Loop: Header=BB48_6 Depth=1
	global_store_b64 v[18:19], v[16:17], off
.LBB48_21:                              ;   in Loop: Header=BB48_6 Depth=1
	s_wait_xcnt 0x0
	s_or_b32 exec_lo, exec_lo, s8
	v_lshl_add_u64 v[16:17], v[4:5], 3, s[6:7]
	s_and_saveexec_b32 s6, s29
	s_cbranch_execz .LBB48_25
; %bb.22:                               ;   in Loop: Header=BB48_6 Depth=1
	s_delay_alu instid0(VALU_DEP_4) | instskip(NEXT) | instid1(VALU_DEP_2)
	v_mul_f64_e32 v[14:15], s[22:23], v[14:15]
	v_lshl_add_u64 v[18:19], v[0:1], 3, v[16:17]
	s_and_not1_b32 vcc_lo, exec_lo, s18
	s_cbranch_vccnz .LBB48_30
; %bb.23:                               ;   in Loop: Header=BB48_6 Depth=1
	global_load_b64 v[20:21], v[18:19], off
	s_wait_loadcnt 0x0
	v_fma_f64 v[20:21], s[20:21], v[20:21], v[14:15]
	global_store_b64 v[18:19], v[20:21], off
	s_cbranch_execnz .LBB48_25
.LBB48_24:                              ;   in Loop: Header=BB48_6 Depth=1
	global_store_b64 v[18:19], v[14:15], off
.LBB48_25:                              ;   in Loop: Header=BB48_6 Depth=1
	s_wait_xcnt 0x0
	s_or_b32 exec_lo, exec_lo, s6
	s_and_saveexec_b32 s6, s15
	s_cbranch_execz .LBB48_5
; %bb.26:                               ;   in Loop: Header=BB48_6 Depth=1
	s_delay_alu instid0(VALU_DEP_3)
	v_mul_f64_e32 v[12:13], s[22:23], v[12:13]
	v_lshl_add_u64 v[14:15], v[6:7], 3, v[16:17]
	s_and_not1_b32 vcc_lo, exec_lo, s18
	s_cbranch_vccnz .LBB48_31
; %bb.27:                               ;   in Loop: Header=BB48_6 Depth=1
	global_load_b64 v[16:17], v[14:15], off
	s_wait_loadcnt 0x0
	v_fma_f64 v[16:17], s[20:21], v[16:17], v[12:13]
	global_store_b64 v[14:15], v[16:17], off
	s_cbranch_execnz .LBB48_5
	s_branch .LBB48_32
.LBB48_28:                              ;   in Loop: Header=BB48_6 Depth=1
	s_branch .LBB48_16
.LBB48_29:                              ;   in Loop: Header=BB48_6 Depth=1
	s_branch .LBB48_20
.LBB48_30:                              ;   in Loop: Header=BB48_6 Depth=1
	s_branch .LBB48_24
.LBB48_31:                              ;   in Loop: Header=BB48_6 Depth=1
.LBB48_32:                              ;   in Loop: Header=BB48_6 Depth=1
	global_store_b64 v[14:15], v[12:13], off
	s_branch .LBB48_5
.LBB48_33:
	s_endpgm
	.section	.rodata,"a",@progbits
	.p2align	6, 0x0
	.amdhsa_kernel _ZL29rocblas_internal_gemmt_kernelIiLi16ELi32ELi8ELc84ELc78ELc76ELb0ELb0EdPKdS1_PdEviT_T9_T10_S3_lS5_S3_lS4_T11_S3_li
		.amdhsa_group_segment_fixed_size 4096
		.amdhsa_private_segment_fixed_size 0
		.amdhsa_kernarg_size 100
		.amdhsa_user_sgpr_count 2
		.amdhsa_user_sgpr_dispatch_ptr 0
		.amdhsa_user_sgpr_queue_ptr 0
		.amdhsa_user_sgpr_kernarg_segment_ptr 1
		.amdhsa_user_sgpr_dispatch_id 0
		.amdhsa_user_sgpr_kernarg_preload_length 0
		.amdhsa_user_sgpr_kernarg_preload_offset 0
		.amdhsa_user_sgpr_private_segment_size 0
		.amdhsa_wavefront_size32 1
		.amdhsa_uses_dynamic_stack 0
		.amdhsa_enable_private_segment 0
		.amdhsa_system_sgpr_workgroup_id_x 1
		.amdhsa_system_sgpr_workgroup_id_y 1
		.amdhsa_system_sgpr_workgroup_id_z 1
		.amdhsa_system_sgpr_workgroup_info 0
		.amdhsa_system_vgpr_workitem_id 1
		.amdhsa_next_free_vgpr 50
		.amdhsa_next_free_sgpr 34
		.amdhsa_named_barrier_count 0
		.amdhsa_reserve_vcc 1
		.amdhsa_float_round_mode_32 0
		.amdhsa_float_round_mode_16_64 0
		.amdhsa_float_denorm_mode_32 3
		.amdhsa_float_denorm_mode_16_64 3
		.amdhsa_fp16_overflow 0
		.amdhsa_memory_ordered 1
		.amdhsa_forward_progress 1
		.amdhsa_inst_pref_size 13
		.amdhsa_round_robin_scheduling 0
		.amdhsa_exception_fp_ieee_invalid_op 0
		.amdhsa_exception_fp_denorm_src 0
		.amdhsa_exception_fp_ieee_div_zero 0
		.amdhsa_exception_fp_ieee_overflow 0
		.amdhsa_exception_fp_ieee_underflow 0
		.amdhsa_exception_fp_ieee_inexact 0
		.amdhsa_exception_int_div_zero 0
	.end_amdhsa_kernel
	.section	.text._ZL29rocblas_internal_gemmt_kernelIiLi16ELi32ELi8ELc84ELc78ELc76ELb0ELb0EdPKdS1_PdEviT_T9_T10_S3_lS5_S3_lS4_T11_S3_li,"axG",@progbits,_ZL29rocblas_internal_gemmt_kernelIiLi16ELi32ELi8ELc84ELc78ELc76ELb0ELb0EdPKdS1_PdEviT_T9_T10_S3_lS5_S3_lS4_T11_S3_li,comdat
.Lfunc_end48:
	.size	_ZL29rocblas_internal_gemmt_kernelIiLi16ELi32ELi8ELc84ELc78ELc76ELb0ELb0EdPKdS1_PdEviT_T9_T10_S3_lS5_S3_lS4_T11_S3_li, .Lfunc_end48-_ZL29rocblas_internal_gemmt_kernelIiLi16ELi32ELi8ELc84ELc78ELc76ELb0ELb0EdPKdS1_PdEviT_T9_T10_S3_lS5_S3_lS4_T11_S3_li
                                        ; -- End function
	.set _ZL29rocblas_internal_gemmt_kernelIiLi16ELi32ELi8ELc84ELc78ELc76ELb0ELb0EdPKdS1_PdEviT_T9_T10_S3_lS5_S3_lS4_T11_S3_li.num_vgpr, 50
	.set _ZL29rocblas_internal_gemmt_kernelIiLi16ELi32ELi8ELc84ELc78ELc76ELb0ELb0EdPKdS1_PdEviT_T9_T10_S3_lS5_S3_lS4_T11_S3_li.num_agpr, 0
	.set _ZL29rocblas_internal_gemmt_kernelIiLi16ELi32ELi8ELc84ELc78ELc76ELb0ELb0EdPKdS1_PdEviT_T9_T10_S3_lS5_S3_lS4_T11_S3_li.numbered_sgpr, 34
	.set _ZL29rocblas_internal_gemmt_kernelIiLi16ELi32ELi8ELc84ELc78ELc76ELb0ELb0EdPKdS1_PdEviT_T9_T10_S3_lS5_S3_lS4_T11_S3_li.num_named_barrier, 0
	.set _ZL29rocblas_internal_gemmt_kernelIiLi16ELi32ELi8ELc84ELc78ELc76ELb0ELb0EdPKdS1_PdEviT_T9_T10_S3_lS5_S3_lS4_T11_S3_li.private_seg_size, 0
	.set _ZL29rocblas_internal_gemmt_kernelIiLi16ELi32ELi8ELc84ELc78ELc76ELb0ELb0EdPKdS1_PdEviT_T9_T10_S3_lS5_S3_lS4_T11_S3_li.uses_vcc, 1
	.set _ZL29rocblas_internal_gemmt_kernelIiLi16ELi32ELi8ELc84ELc78ELc76ELb0ELb0EdPKdS1_PdEviT_T9_T10_S3_lS5_S3_lS4_T11_S3_li.uses_flat_scratch, 0
	.set _ZL29rocblas_internal_gemmt_kernelIiLi16ELi32ELi8ELc84ELc78ELc76ELb0ELb0EdPKdS1_PdEviT_T9_T10_S3_lS5_S3_lS4_T11_S3_li.has_dyn_sized_stack, 0
	.set _ZL29rocblas_internal_gemmt_kernelIiLi16ELi32ELi8ELc84ELc78ELc76ELb0ELb0EdPKdS1_PdEviT_T9_T10_S3_lS5_S3_lS4_T11_S3_li.has_recursion, 0
	.set _ZL29rocblas_internal_gemmt_kernelIiLi16ELi32ELi8ELc84ELc78ELc76ELb0ELb0EdPKdS1_PdEviT_T9_T10_S3_lS5_S3_lS4_T11_S3_li.has_indirect_call, 0
	.section	.AMDGPU.csdata,"",@progbits
; Kernel info:
; codeLenInByte = 1664
; TotalNumSgprs: 36
; NumVgprs: 50
; ScratchSize: 0
; MemoryBound: 0
; FloatMode: 240
; IeeeMode: 1
; LDSByteSize: 4096 bytes/workgroup (compile time only)
; SGPRBlocks: 0
; VGPRBlocks: 3
; NumSGPRsForWavesPerEU: 36
; NumVGPRsForWavesPerEU: 50
; NamedBarCnt: 0
; Occupancy: 16
; WaveLimiterHint : 0
; COMPUTE_PGM_RSRC2:SCRATCH_EN: 0
; COMPUTE_PGM_RSRC2:USER_SGPR: 2
; COMPUTE_PGM_RSRC2:TRAP_HANDLER: 0
; COMPUTE_PGM_RSRC2:TGID_X_EN: 1
; COMPUTE_PGM_RSRC2:TGID_Y_EN: 1
; COMPUTE_PGM_RSRC2:TGID_Z_EN: 1
; COMPUTE_PGM_RSRC2:TIDIG_COMP_CNT: 1
	.section	.text._ZL29rocblas_internal_gemmt_kernelIiLi16ELi32ELi8ELc84ELc84ELc76ELb0ELb0EdPKdS1_PdEviT_T9_T10_S3_lS5_S3_lS4_T11_S3_li,"axG",@progbits,_ZL29rocblas_internal_gemmt_kernelIiLi16ELi32ELi8ELc84ELc84ELc76ELb0ELb0EdPKdS1_PdEviT_T9_T10_S3_lS5_S3_lS4_T11_S3_li,comdat
	.globl	_ZL29rocblas_internal_gemmt_kernelIiLi16ELi32ELi8ELc84ELc84ELc76ELb0ELb0EdPKdS1_PdEviT_T9_T10_S3_lS5_S3_lS4_T11_S3_li ; -- Begin function _ZL29rocblas_internal_gemmt_kernelIiLi16ELi32ELi8ELc84ELc84ELc76ELb0ELb0EdPKdS1_PdEviT_T9_T10_S3_lS5_S3_lS4_T11_S3_li
	.p2align	8
	.type	_ZL29rocblas_internal_gemmt_kernelIiLi16ELi32ELi8ELc84ELc84ELc76ELb0ELb0EdPKdS1_PdEviT_T9_T10_S3_lS5_S3_lS4_T11_S3_li,@function
_ZL29rocblas_internal_gemmt_kernelIiLi16ELi32ELi8ELc84ELc84ELc76ELb0ELb0EdPKdS1_PdEviT_T9_T10_S3_lS5_S3_lS4_T11_S3_li: ; @_ZL29rocblas_internal_gemmt_kernelIiLi16ELi32ELi8ELc84ELc84ELc76ELb0ELb0EdPKdS1_PdEviT_T9_T10_S3_lS5_S3_lS4_T11_S3_li
; %bb.0:
	s_load_b128 s[8:11], s[0:1], 0x38
	s_wait_kmcnt 0x0
	s_load_b64 s[20:21], s[10:11], 0x0
	s_load_b128 s[4:7], s[0:1], 0x8
	s_wait_xcnt 0x0
	s_load_b64 s[10:11], s[0:1], 0x0
	s_wait_kmcnt 0x0
	s_load_b64 s[22:23], s[4:5], 0x0
	v_cmp_neq_f64_e64 s2, s[20:21], 1.0
	s_and_b32 vcc_lo, exec_lo, s2
	s_cbranch_vccnz .LBB49_2
; %bb.1:
	s_wait_kmcnt 0x0
	v_cmp_neq_f64_e64 s2, s[22:23], 0
	s_cmp_lg_u32 s11, 0
	s_cselect_b32 s3, -1, 0
	s_delay_alu instid0(SALU_CYCLE_1)
	s_and_b32 s2, s3, s2
.LBB49_2:
	s_delay_alu instid0(SALU_CYCLE_1)
	s_and_not1_b32 vcc_lo, exec_lo, s2
	s_cbranch_vccnz .LBB49_33
; %bb.3:
	s_load_b32 s19, s[0:1], 0x60
	s_bfe_u32 s2, ttmp6, 0x40014
	s_lshr_b32 s3, ttmp7, 16
	s_add_co_i32 s2, s2, 1
	s_wait_xcnt 0x0
	s_bfe_u32 s5, ttmp6, 0x40008
	s_mul_i32 s2, s3, s2
	s_getreg_b32 s4, hwreg(HW_REG_IB_STS2, 6, 4)
	s_add_co_i32 s5, s5, s2
	s_cmp_eq_u32 s4, 0
	s_mov_b32 s25, 0
	s_cselect_b32 s24, s3, s5
	s_wait_kmcnt 0x0
	s_cmp_ge_u32 s24, s19
	s_cbranch_scc1 .LBB49_33
; %bb.4:
	s_clause 0x3
	s_load_b32 s2, s[0:1], 0x18
	s_load_b32 s28, s[0:1], 0x30
	s_load_b96 s[16:18], s[0:1], 0x48
	s_load_b128 s[12:15], s[0:1], 0x20
	v_and_b32_e32 v9, 0x3ff, v0
	v_bfe_u32 v10, v0, 10, 10
	s_load_b64 s[26:27], s[0:1], 0x58
	s_wait_xcnt 0x0
	s_bfe_u32 s1, ttmp6, 0x4000c
	s_bfe_u32 s3, ttmp6, 0x40010
	s_and_b32 s30, ttmp7, 0xffff
	s_add_co_i32 s1, s1, 1
	s_add_co_i32 s3, s3, 1
	v_lshl_add_u32 v1, v10, 4, v9
	s_and_b32 s0, ttmp6, 15
	s_mul_i32 s1, ttmp9, s1
	s_mul_i32 s31, s30, s3
	s_bfe_u32 s33, ttmp6, 0x40004
	s_add_co_i32 s0, s0, s1
	s_add_co_i32 s33, s33, s31
	v_dual_lshrrev_b32 v5, 3, v1 :: v_dual_bitop2_b32 v4, 31, v1 bitop3:0x40
	s_wait_kmcnt 0x0
	s_ashr_i32 s3, s2, 31
	s_ashr_i32 s29, s28, 31
	;; [unrolled: 1-line block ×3, first 2 shown]
	s_cmp_eq_u32 s4, 0
	v_dual_lshrrev_b32 v30, 5, v1 :: v_dual_bitop2_b32 v0, 7, v0 bitop3:0x40
	s_cselect_b32 s0, ttmp9, s0
	s_cselect_b32 s1, s30, s33
	s_lshl_b32 s30, s0, 5
	s_delay_alu instid0(SALU_CYCLE_1) | instskip(SKIP_2) | instid1(VALU_DEP_1)
	v_dual_mov_b32 v11, 0 :: v_dual_bitop2_b32 v2, s30, v4 bitop3:0x54
	s_lshl_b32 s0, s1, 5
	s_mov_b32 s4, s18
	v_dual_mov_b32 v1, v11 :: v_dual_add_nc_u32 v12, s0, v5
	v_add_nc_u32_e32 v14, s0, v10
	v_ashrrev_i32_e32 v3, 31, v2
	v_cmp_neq_f64_e64 s34, s[22:23], 0
	v_cmp_gt_i32_e64 s0, s10, v2
	v_mul_u64_e32 v[18:19], s[28:29], v[0:1]
	v_dual_add_nc_u32 v20, 16, v14 :: v_dual_lshlrev_b32 v1, 3, v0
	v_mul_u64_e32 v[16:17], s[2:3], v[2:3]
	v_dual_lshlrev_b32 v3, 3, v4 :: v_dual_ashrrev_i32 v15, 31, v14
	s_delay_alu instid0(VALU_DEP_3) | instskip(NEXT) | instid1(VALU_DEP_4)
	v_dual_ashrrev_i32 v21, 31, v20 :: v_dual_add_nc_u32 v2, s30, v9
	v_lshl_or_b32 v8, v5, 6, v1
	v_cmp_neq_f64_e64 s18, s[20:21], 0
	s_delay_alu instid0(VALU_DEP_4) | instskip(NEXT) | instid1(VALU_DEP_4)
	v_mul_u64_e32 v[4:5], s[4:5], v[14:15]
	v_mul_u64_e32 v[6:7], s[4:5], v[20:21]
	v_ashrrev_i32_e32 v13, 31, v12
	v_cmp_gt_i32_e64 s1, s10, v12
	v_add_nc_u32_e32 v31, 0x800, v8
	v_dual_add_nc_u32 v8, 16, v2 :: v_dual_lshlrev_b32 v32, 3, v9
	s_delay_alu instid0(VALU_DEP_4)
	v_lshlrev_b64_e32 v[12:13], 3, v[12:13]
	v_lshl_add_u32 v33, v10, 6, 0x800
	v_lshlrev_b32_e32 v10, 3, v30
	v_cmp_le_i32_e32 vcc_lo, v14, v2
	v_cmp_gt_i32_e64 s2, s10, v2
	v_cmp_le_i32_e64 s3, v14, v8
	v_cmp_gt_i32_e64 s4, s10, v8
	s_cmp_gt_i32 s11, 0
	v_lshl_or_b32 v1, v30, 8, v3
	s_cselect_b32 s35, -1, 0
	s_and_b32 s10, vcc_lo, s2
	s_and_b32 s30, s3, s4
	v_cmp_le_i32_e32 vcc_lo, v20, v2
	v_cmp_le_i32_e64 s3, v20, v8
	v_dual_ashrrev_i32 v3, 31, v2 :: v_dual_ashrrev_i32 v9, 31, v8
	v_lshl_add_u64 v[12:13], v[18:19], 3, v[12:13]
	s_and_b32 s31, vcc_lo, s2
	v_lshl_add_u64 v[10:11], v[16:17], 3, v[10:11]
	s_and_b32 s33, s3, s4
	s_lshl_b64 s[2:3], s[12:13], 3
	v_add_nc_u64_e32 v[12:13], s[14:15], v[12:13]
	s_and_b32 s14, s34, s35
	v_add_nc_u64_e32 v[10:11], s[6:7], v[10:11]
	s_lshl_b64 s[4:5], s[8:9], 3
	s_lshl_b64 s[6:7], s[28:29], 6
	s_branch .LBB49_6
.LBB49_5:                               ;   in Loop: Header=BB49_6 Depth=1
	s_wait_xcnt 0x0
	s_or_b32 exec_lo, exec_lo, s8
	s_add_co_i32 s24, s24, 0x10000
	s_delay_alu instid0(SALU_CYCLE_1)
	s_cmp_lt_u32 s24, s19
	s_cbranch_scc0 .LBB49_33
.LBB49_6:                               ; =>This Loop Header: Depth=1
                                        ;     Child Loop BB49_9 Depth 2
	v_mov_b64_e32 v[20:21], 0
	v_mov_b64_e32 v[18:19], 0
	;; [unrolled: 1-line block ×4, first 2 shown]
	s_and_not1_b32 vcc_lo, exec_lo, s14
	s_cbranch_vccnz .LBB49_13
; %bb.7:                                ;   in Loop: Header=BB49_6 Depth=1
	v_mad_nc_u64_u32 v[22:23], s2, s24, v[10:11]
	v_mad_nc_u64_u32 v[24:25], s4, s24, v[12:13]
	v_mov_b64_e32 v[14:15], 0
	v_mov_b64_e32 v[16:17], 0
	;; [unrolled: 1-line block ×4, first 2 shown]
	s_mov_b32 s8, 0
	v_mad_u32 v23, s3, s24, v23
	v_mad_u32 v25, s5, s24, v25
	s_branch .LBB49_9
.LBB49_8:                               ;   in Loop: Header=BB49_9 Depth=2
	s_wait_xcnt 0x0
	s_or_b32 exec_lo, exec_lo, s9
	s_wait_loadcnt 0x0
	ds_store_b64 v31, v[28:29]
	s_wait_dscnt 0x0
	s_barrier_signal -1
	s_barrier_wait -1
	ds_load_b128 v[26:29], v33
	ds_load_2addr_b64 v[34:37], v32 offset1:16
	ds_load_b128 v[38:41], v33 offset:1024
	ds_load_b128 v[42:45], v33 offset:16
	;; [unrolled: 1-line block ×3, first 2 shown]
	v_add_nc_u64_e32 v[22:23], 64, v[22:23]
	v_add_nc_u64_e32 v[24:25], s[6:7], v[24:25]
	s_add_co_i32 s8, s8, 8
	s_delay_alu instid0(SALU_CYCLE_1)
	s_cmp_lt_i32 s8, s11
	s_wait_dscnt 0x3
	v_fmac_f64_e32 v[20:21], v[34:35], v[26:27]
	v_fmac_f64_e32 v[18:19], v[36:37], v[26:27]
	s_wait_dscnt 0x2
	v_fmac_f64_e32 v[16:17], v[34:35], v[38:39]
	v_fmac_f64_e32 v[14:15], v[36:37], v[38:39]
	ds_load_2addr_b64 v[34:37], v32 offset0:32 offset1:48
	s_wait_dscnt 0x0
	v_fmac_f64_e32 v[20:21], v[34:35], v[28:29]
	v_fmac_f64_e32 v[18:19], v[36:37], v[28:29]
	v_fmac_f64_e32 v[16:17], v[34:35], v[40:41]
	v_fmac_f64_e32 v[14:15], v[36:37], v[40:41]
	ds_load_2addr_b64 v[26:29], v32 offset0:64 offset1:80
	s_wait_dscnt 0x0
	v_fmac_f64_e32 v[20:21], v[26:27], v[42:43]
	v_fmac_f64_e32 v[18:19], v[28:29], v[42:43]
	;; [unrolled: 6-line block ×3, first 2 shown]
	v_fmac_f64_e32 v[16:17], v[26:27], v[48:49]
	v_fmac_f64_e32 v[14:15], v[28:29], v[48:49]
	ds_load_b128 v[26:29], v33 offset:32
	ds_load_2addr_b64 v[34:37], v32 offset0:128 offset1:144
	ds_load_b128 v[38:41], v33 offset:1056
	ds_load_b128 v[42:45], v33 offset:48
	;; [unrolled: 1-line block ×3, first 2 shown]
	s_wait_dscnt 0x3
	v_fmac_f64_e32 v[20:21], v[34:35], v[26:27]
	v_fmac_f64_e32 v[18:19], v[36:37], v[26:27]
	s_wait_dscnt 0x2
	v_fmac_f64_e32 v[16:17], v[34:35], v[38:39]
	v_fmac_f64_e32 v[14:15], v[36:37], v[38:39]
	ds_load_2addr_b64 v[34:37], v32 offset0:160 offset1:176
	s_wait_dscnt 0x0
	v_fmac_f64_e32 v[20:21], v[34:35], v[28:29]
	v_fmac_f64_e32 v[18:19], v[36:37], v[28:29]
	;; [unrolled: 1-line block ×4, first 2 shown]
	ds_load_2addr_b64 v[26:29], v32 offset0:192 offset1:208
	s_wait_dscnt 0x0
	v_fmac_f64_e32 v[20:21], v[26:27], v[42:43]
	v_fmac_f64_e32 v[18:19], v[28:29], v[42:43]
	;; [unrolled: 1-line block ×4, first 2 shown]
	ds_load_2addr_b64 v[26:29], v32 offset0:224 offset1:240
	s_wait_dscnt 0x0
	s_barrier_signal -1
	s_barrier_wait -1
	v_fmac_f64_e32 v[20:21], v[26:27], v[44:45]
	v_fmac_f64_e32 v[18:19], v[28:29], v[44:45]
	;; [unrolled: 1-line block ×4, first 2 shown]
	s_cbranch_scc0 .LBB49_13
.LBB49_9:                               ;   Parent Loop BB49_6 Depth=1
                                        ; =>  This Inner Loop Header: Depth=2
	v_add_nc_u32_e32 v26, s8, v30
	s_delay_alu instid0(VALU_DEP_1) | instskip(SKIP_2) | instid1(SALU_CYCLE_1)
	v_cmp_gt_i32_e32 vcc_lo, s11, v26
	v_mov_b64_e32 v[26:27], 0
	s_and_b32 s12, s0, vcc_lo
	s_and_saveexec_b32 s9, s12
	s_cbranch_execz .LBB49_11
; %bb.10:                               ;   in Loop: Header=BB49_9 Depth=2
	global_load_b64 v[26:27], v[22:23], off
.LBB49_11:                              ;   in Loop: Header=BB49_9 Depth=2
	s_wait_xcnt 0x0
	s_or_b32 exec_lo, exec_lo, s9
	v_add_nc_u32_e32 v28, s8, v0
	s_wait_loadcnt 0x0
	ds_store_b64 v1, v[26:27]
	v_cmp_gt_i32_e32 vcc_lo, s11, v28
	v_mov_b64_e32 v[28:29], 0
	s_and_b32 s12, vcc_lo, s1
	s_delay_alu instid0(SALU_CYCLE_1)
	s_and_saveexec_b32 s9, s12
	s_cbranch_execz .LBB49_8
; %bb.12:                               ;   in Loop: Header=BB49_9 Depth=2
	global_load_b64 v[28:29], v[24:25], off
	s_branch .LBB49_8
.LBB49_13:                              ;   in Loop: Header=BB49_6 Depth=1
	s_mul_u64 s[8:9], s[26:27], s[24:25]
	s_delay_alu instid0(SALU_CYCLE_1) | instskip(NEXT) | instid1(SALU_CYCLE_1)
	s_lshl_b64 s[8:9], s[8:9], 3
	s_add_nc_u64 s[8:9], s[16:17], s[8:9]
	s_delay_alu instid0(SALU_CYCLE_1)
	v_lshl_add_u64 v[22:23], v[4:5], 3, s[8:9]
	s_and_saveexec_b32 s12, s10
	s_cbranch_execz .LBB49_17
; %bb.14:                               ;   in Loop: Header=BB49_6 Depth=1
	v_mul_f64_e32 v[20:21], s[22:23], v[20:21]
	s_delay_alu instid0(VALU_DEP_2)
	v_lshl_add_u64 v[24:25], v[2:3], 3, v[22:23]
	s_and_b32 vcc_lo, exec_lo, s18
	s_cbranch_vccz .LBB49_28
; %bb.15:                               ;   in Loop: Header=BB49_6 Depth=1
	global_load_b64 v[26:27], v[24:25], off
	s_wait_loadcnt 0x0
	v_fma_f64 v[26:27], s[20:21], v[26:27], v[20:21]
	global_store_b64 v[24:25], v[26:27], off
	s_cbranch_execnz .LBB49_17
.LBB49_16:                              ;   in Loop: Header=BB49_6 Depth=1
	global_store_b64 v[24:25], v[20:21], off
.LBB49_17:                              ;   in Loop: Header=BB49_6 Depth=1
	s_wait_xcnt 0x0
	s_or_b32 exec_lo, exec_lo, s12
	s_and_saveexec_b32 s12, s30
	s_cbranch_execz .LBB49_21
; %bb.18:                               ;   in Loop: Header=BB49_6 Depth=1
	s_delay_alu instid0(VALU_DEP_4)
	v_mul_f64_e32 v[18:19], s[22:23], v[18:19]
	v_lshl_add_u64 v[20:21], v[8:9], 3, v[22:23]
	s_and_not1_b32 vcc_lo, exec_lo, s18
	s_cbranch_vccnz .LBB49_29
; %bb.19:                               ;   in Loop: Header=BB49_6 Depth=1
	global_load_b64 v[22:23], v[20:21], off
	s_wait_loadcnt 0x0
	v_fma_f64 v[22:23], s[20:21], v[22:23], v[18:19]
	global_store_b64 v[20:21], v[22:23], off
	s_cbranch_execnz .LBB49_21
.LBB49_20:                              ;   in Loop: Header=BB49_6 Depth=1
	global_store_b64 v[20:21], v[18:19], off
.LBB49_21:                              ;   in Loop: Header=BB49_6 Depth=1
	s_wait_xcnt 0x0
	s_or_b32 exec_lo, exec_lo, s12
	v_lshl_add_u64 v[18:19], v[6:7], 3, s[8:9]
	s_and_saveexec_b32 s8, s31
	s_cbranch_execz .LBB49_25
; %bb.22:                               ;   in Loop: Header=BB49_6 Depth=1
	s_delay_alu instid0(VALU_DEP_4) | instskip(NEXT) | instid1(VALU_DEP_2)
	v_mul_f64_e32 v[16:17], s[22:23], v[16:17]
	v_lshl_add_u64 v[20:21], v[2:3], 3, v[18:19]
	s_and_not1_b32 vcc_lo, exec_lo, s18
	s_cbranch_vccnz .LBB49_30
; %bb.23:                               ;   in Loop: Header=BB49_6 Depth=1
	global_load_b64 v[22:23], v[20:21], off
	s_wait_loadcnt 0x0
	v_fma_f64 v[22:23], s[20:21], v[22:23], v[16:17]
	global_store_b64 v[20:21], v[22:23], off
	s_cbranch_execnz .LBB49_25
.LBB49_24:                              ;   in Loop: Header=BB49_6 Depth=1
	global_store_b64 v[20:21], v[16:17], off
.LBB49_25:                              ;   in Loop: Header=BB49_6 Depth=1
	s_wait_xcnt 0x0
	s_or_b32 exec_lo, exec_lo, s8
	s_and_saveexec_b32 s8, s33
	s_cbranch_execz .LBB49_5
; %bb.26:                               ;   in Loop: Header=BB49_6 Depth=1
	s_delay_alu instid0(VALU_DEP_3)
	v_mul_f64_e32 v[14:15], s[22:23], v[14:15]
	v_lshl_add_u64 v[16:17], v[8:9], 3, v[18:19]
	s_and_not1_b32 vcc_lo, exec_lo, s18
	s_cbranch_vccnz .LBB49_31
; %bb.27:                               ;   in Loop: Header=BB49_6 Depth=1
	global_load_b64 v[18:19], v[16:17], off
	s_wait_loadcnt 0x0
	v_fma_f64 v[18:19], s[20:21], v[18:19], v[14:15]
	global_store_b64 v[16:17], v[18:19], off
	s_cbranch_execnz .LBB49_5
	s_branch .LBB49_32
.LBB49_28:                              ;   in Loop: Header=BB49_6 Depth=1
	s_branch .LBB49_16
.LBB49_29:                              ;   in Loop: Header=BB49_6 Depth=1
	s_branch .LBB49_20
.LBB49_30:                              ;   in Loop: Header=BB49_6 Depth=1
	s_branch .LBB49_24
.LBB49_31:                              ;   in Loop: Header=BB49_6 Depth=1
.LBB49_32:                              ;   in Loop: Header=BB49_6 Depth=1
	global_store_b64 v[16:17], v[14:15], off
	s_branch .LBB49_5
.LBB49_33:
	s_endpgm
	.section	.rodata,"a",@progbits
	.p2align	6, 0x0
	.amdhsa_kernel _ZL29rocblas_internal_gemmt_kernelIiLi16ELi32ELi8ELc84ELc84ELc76ELb0ELb0EdPKdS1_PdEviT_T9_T10_S3_lS5_S3_lS4_T11_S3_li
		.amdhsa_group_segment_fixed_size 4096
		.amdhsa_private_segment_fixed_size 0
		.amdhsa_kernarg_size 100
		.amdhsa_user_sgpr_count 2
		.amdhsa_user_sgpr_dispatch_ptr 0
		.amdhsa_user_sgpr_queue_ptr 0
		.amdhsa_user_sgpr_kernarg_segment_ptr 1
		.amdhsa_user_sgpr_dispatch_id 0
		.amdhsa_user_sgpr_kernarg_preload_length 0
		.amdhsa_user_sgpr_kernarg_preload_offset 0
		.amdhsa_user_sgpr_private_segment_size 0
		.amdhsa_wavefront_size32 1
		.amdhsa_uses_dynamic_stack 0
		.amdhsa_enable_private_segment 0
		.amdhsa_system_sgpr_workgroup_id_x 1
		.amdhsa_system_sgpr_workgroup_id_y 1
		.amdhsa_system_sgpr_workgroup_id_z 1
		.amdhsa_system_sgpr_workgroup_info 0
		.amdhsa_system_vgpr_workitem_id 1
		.amdhsa_next_free_vgpr 50
		.amdhsa_next_free_sgpr 36
		.amdhsa_named_barrier_count 0
		.amdhsa_reserve_vcc 1
		.amdhsa_float_round_mode_32 0
		.amdhsa_float_round_mode_16_64 0
		.amdhsa_float_denorm_mode_32 3
		.amdhsa_float_denorm_mode_16_64 3
		.amdhsa_fp16_overflow 0
		.amdhsa_memory_ordered 1
		.amdhsa_forward_progress 1
		.amdhsa_inst_pref_size 14
		.amdhsa_round_robin_scheduling 0
		.amdhsa_exception_fp_ieee_invalid_op 0
		.amdhsa_exception_fp_denorm_src 0
		.amdhsa_exception_fp_ieee_div_zero 0
		.amdhsa_exception_fp_ieee_overflow 0
		.amdhsa_exception_fp_ieee_underflow 0
		.amdhsa_exception_fp_ieee_inexact 0
		.amdhsa_exception_int_div_zero 0
	.end_amdhsa_kernel
	.section	.text._ZL29rocblas_internal_gemmt_kernelIiLi16ELi32ELi8ELc84ELc84ELc76ELb0ELb0EdPKdS1_PdEviT_T9_T10_S3_lS5_S3_lS4_T11_S3_li,"axG",@progbits,_ZL29rocblas_internal_gemmt_kernelIiLi16ELi32ELi8ELc84ELc84ELc76ELb0ELb0EdPKdS1_PdEviT_T9_T10_S3_lS5_S3_lS4_T11_S3_li,comdat
.Lfunc_end49:
	.size	_ZL29rocblas_internal_gemmt_kernelIiLi16ELi32ELi8ELc84ELc84ELc76ELb0ELb0EdPKdS1_PdEviT_T9_T10_S3_lS5_S3_lS4_T11_S3_li, .Lfunc_end49-_ZL29rocblas_internal_gemmt_kernelIiLi16ELi32ELi8ELc84ELc84ELc76ELb0ELb0EdPKdS1_PdEviT_T9_T10_S3_lS5_S3_lS4_T11_S3_li
                                        ; -- End function
	.set _ZL29rocblas_internal_gemmt_kernelIiLi16ELi32ELi8ELc84ELc84ELc76ELb0ELb0EdPKdS1_PdEviT_T9_T10_S3_lS5_S3_lS4_T11_S3_li.num_vgpr, 50
	.set _ZL29rocblas_internal_gemmt_kernelIiLi16ELi32ELi8ELc84ELc84ELc76ELb0ELb0EdPKdS1_PdEviT_T9_T10_S3_lS5_S3_lS4_T11_S3_li.num_agpr, 0
	.set _ZL29rocblas_internal_gemmt_kernelIiLi16ELi32ELi8ELc84ELc84ELc76ELb0ELb0EdPKdS1_PdEviT_T9_T10_S3_lS5_S3_lS4_T11_S3_li.numbered_sgpr, 36
	.set _ZL29rocblas_internal_gemmt_kernelIiLi16ELi32ELi8ELc84ELc84ELc76ELb0ELb0EdPKdS1_PdEviT_T9_T10_S3_lS5_S3_lS4_T11_S3_li.num_named_barrier, 0
	.set _ZL29rocblas_internal_gemmt_kernelIiLi16ELi32ELi8ELc84ELc84ELc76ELb0ELb0EdPKdS1_PdEviT_T9_T10_S3_lS5_S3_lS4_T11_S3_li.private_seg_size, 0
	.set _ZL29rocblas_internal_gemmt_kernelIiLi16ELi32ELi8ELc84ELc84ELc76ELb0ELb0EdPKdS1_PdEviT_T9_T10_S3_lS5_S3_lS4_T11_S3_li.uses_vcc, 1
	.set _ZL29rocblas_internal_gemmt_kernelIiLi16ELi32ELi8ELc84ELc84ELc76ELb0ELb0EdPKdS1_PdEviT_T9_T10_S3_lS5_S3_lS4_T11_S3_li.uses_flat_scratch, 0
	.set _ZL29rocblas_internal_gemmt_kernelIiLi16ELi32ELi8ELc84ELc84ELc76ELb0ELb0EdPKdS1_PdEviT_T9_T10_S3_lS5_S3_lS4_T11_S3_li.has_dyn_sized_stack, 0
	.set _ZL29rocblas_internal_gemmt_kernelIiLi16ELi32ELi8ELc84ELc84ELc76ELb0ELb0EdPKdS1_PdEviT_T9_T10_S3_lS5_S3_lS4_T11_S3_li.has_recursion, 0
	.set _ZL29rocblas_internal_gemmt_kernelIiLi16ELi32ELi8ELc84ELc84ELc76ELb0ELb0EdPKdS1_PdEviT_T9_T10_S3_lS5_S3_lS4_T11_S3_li.has_indirect_call, 0
	.section	.AMDGPU.csdata,"",@progbits
; Kernel info:
; codeLenInByte = 1676
; TotalNumSgprs: 38
; NumVgprs: 50
; ScratchSize: 0
; MemoryBound: 0
; FloatMode: 240
; IeeeMode: 1
; LDSByteSize: 4096 bytes/workgroup (compile time only)
; SGPRBlocks: 0
; VGPRBlocks: 3
; NumSGPRsForWavesPerEU: 38
; NumVGPRsForWavesPerEU: 50
; NamedBarCnt: 0
; Occupancy: 16
; WaveLimiterHint : 0
; COMPUTE_PGM_RSRC2:SCRATCH_EN: 0
; COMPUTE_PGM_RSRC2:USER_SGPR: 2
; COMPUTE_PGM_RSRC2:TRAP_HANDLER: 0
; COMPUTE_PGM_RSRC2:TGID_X_EN: 1
; COMPUTE_PGM_RSRC2:TGID_Y_EN: 1
; COMPUTE_PGM_RSRC2:TGID_Z_EN: 1
; COMPUTE_PGM_RSRC2:TIDIG_COMP_CNT: 1
	.section	.text._ZL29rocblas_internal_gemmt_kernelIiLi16ELi32ELi8ELc84ELc67ELc76ELb0ELb0EdPKdS1_PdEviT_T9_T10_S3_lS5_S3_lS4_T11_S3_li,"axG",@progbits,_ZL29rocblas_internal_gemmt_kernelIiLi16ELi32ELi8ELc84ELc67ELc76ELb0ELb0EdPKdS1_PdEviT_T9_T10_S3_lS5_S3_lS4_T11_S3_li,comdat
	.globl	_ZL29rocblas_internal_gemmt_kernelIiLi16ELi32ELi8ELc84ELc67ELc76ELb0ELb0EdPKdS1_PdEviT_T9_T10_S3_lS5_S3_lS4_T11_S3_li ; -- Begin function _ZL29rocblas_internal_gemmt_kernelIiLi16ELi32ELi8ELc84ELc67ELc76ELb0ELb0EdPKdS1_PdEviT_T9_T10_S3_lS5_S3_lS4_T11_S3_li
	.p2align	8
	.type	_ZL29rocblas_internal_gemmt_kernelIiLi16ELi32ELi8ELc84ELc67ELc76ELb0ELb0EdPKdS1_PdEviT_T9_T10_S3_lS5_S3_lS4_T11_S3_li,@function
_ZL29rocblas_internal_gemmt_kernelIiLi16ELi32ELi8ELc84ELc67ELc76ELb0ELb0EdPKdS1_PdEviT_T9_T10_S3_lS5_S3_lS4_T11_S3_li: ; @_ZL29rocblas_internal_gemmt_kernelIiLi16ELi32ELi8ELc84ELc67ELc76ELb0ELb0EdPKdS1_PdEviT_T9_T10_S3_lS5_S3_lS4_T11_S3_li
; %bb.0:
	s_load_b128 s[8:11], s[0:1], 0x38
	s_wait_kmcnt 0x0
	s_load_b64 s[20:21], s[10:11], 0x0
	s_load_b128 s[4:7], s[0:1], 0x8
	s_wait_xcnt 0x0
	s_load_b64 s[10:11], s[0:1], 0x0
	s_wait_kmcnt 0x0
	s_load_b64 s[22:23], s[4:5], 0x0
	v_cmp_neq_f64_e64 s2, s[20:21], 1.0
	s_and_b32 vcc_lo, exec_lo, s2
	s_cbranch_vccnz .LBB50_2
; %bb.1:
	s_wait_kmcnt 0x0
	v_cmp_neq_f64_e64 s2, s[22:23], 0
	s_cmp_lg_u32 s11, 0
	s_cselect_b32 s3, -1, 0
	s_delay_alu instid0(SALU_CYCLE_1)
	s_and_b32 s2, s3, s2
.LBB50_2:
	s_delay_alu instid0(SALU_CYCLE_1)
	s_and_not1_b32 vcc_lo, exec_lo, s2
	s_cbranch_vccnz .LBB50_33
; %bb.3:
	s_load_b32 s19, s[0:1], 0x60
	s_bfe_u32 s2, ttmp6, 0x40014
	s_lshr_b32 s3, ttmp7, 16
	s_add_co_i32 s2, s2, 1
	s_wait_xcnt 0x0
	s_bfe_u32 s5, ttmp6, 0x40008
	s_mul_i32 s2, s3, s2
	s_getreg_b32 s4, hwreg(HW_REG_IB_STS2, 6, 4)
	s_add_co_i32 s5, s5, s2
	s_cmp_eq_u32 s4, 0
	s_mov_b32 s25, 0
	s_cselect_b32 s24, s3, s5
	s_wait_kmcnt 0x0
	s_cmp_ge_u32 s24, s19
	s_cbranch_scc1 .LBB50_33
; %bb.4:
	s_clause 0x3
	s_load_b32 s2, s[0:1], 0x18
	s_load_b32 s28, s[0:1], 0x30
	s_load_b96 s[16:18], s[0:1], 0x48
	s_load_b128 s[12:15], s[0:1], 0x20
	v_and_b32_e32 v9, 0x3ff, v0
	v_bfe_u32 v10, v0, 10, 10
	s_load_b64 s[26:27], s[0:1], 0x58
	s_wait_xcnt 0x0
	s_bfe_u32 s1, ttmp6, 0x4000c
	s_bfe_u32 s3, ttmp6, 0x40010
	s_and_b32 s30, ttmp7, 0xffff
	s_add_co_i32 s1, s1, 1
	s_add_co_i32 s3, s3, 1
	v_lshl_add_u32 v1, v10, 4, v9
	s_and_b32 s0, ttmp6, 15
	s_mul_i32 s1, ttmp9, s1
	s_mul_i32 s31, s30, s3
	s_bfe_u32 s33, ttmp6, 0x40004
	s_add_co_i32 s0, s0, s1
	s_add_co_i32 s33, s33, s31
	v_dual_lshrrev_b32 v5, 3, v1 :: v_dual_bitop2_b32 v4, 31, v1 bitop3:0x40
	s_wait_kmcnt 0x0
	s_ashr_i32 s3, s2, 31
	s_ashr_i32 s29, s28, 31
	;; [unrolled: 1-line block ×3, first 2 shown]
	s_cmp_eq_u32 s4, 0
	v_dual_lshrrev_b32 v30, 5, v1 :: v_dual_bitop2_b32 v0, 7, v0 bitop3:0x40
	s_cselect_b32 s0, ttmp9, s0
	s_cselect_b32 s1, s30, s33
	s_lshl_b32 s30, s0, 5
	s_delay_alu instid0(SALU_CYCLE_1) | instskip(SKIP_2) | instid1(VALU_DEP_1)
	v_dual_mov_b32 v11, 0 :: v_dual_bitop2_b32 v2, s30, v4 bitop3:0x54
	s_lshl_b32 s0, s1, 5
	s_mov_b32 s4, s18
	v_dual_mov_b32 v1, v11 :: v_dual_add_nc_u32 v12, s0, v5
	v_add_nc_u32_e32 v14, s0, v10
	v_ashrrev_i32_e32 v3, 31, v2
	v_cmp_neq_f64_e64 s34, s[22:23], 0
	v_cmp_gt_i32_e64 s0, s10, v2
	v_mul_u64_e32 v[18:19], s[28:29], v[0:1]
	v_dual_add_nc_u32 v20, 16, v14 :: v_dual_lshlrev_b32 v1, 3, v0
	v_mul_u64_e32 v[16:17], s[2:3], v[2:3]
	v_dual_lshlrev_b32 v3, 3, v4 :: v_dual_ashrrev_i32 v15, 31, v14
	s_delay_alu instid0(VALU_DEP_3) | instskip(NEXT) | instid1(VALU_DEP_4)
	v_dual_ashrrev_i32 v21, 31, v20 :: v_dual_add_nc_u32 v2, s30, v9
	v_lshl_or_b32 v8, v5, 6, v1
	v_cmp_neq_f64_e64 s18, s[20:21], 0
	s_delay_alu instid0(VALU_DEP_4) | instskip(NEXT) | instid1(VALU_DEP_4)
	v_mul_u64_e32 v[4:5], s[4:5], v[14:15]
	v_mul_u64_e32 v[6:7], s[4:5], v[20:21]
	v_ashrrev_i32_e32 v13, 31, v12
	v_cmp_gt_i32_e64 s1, s10, v12
	v_add_nc_u32_e32 v31, 0x800, v8
	v_dual_add_nc_u32 v8, 16, v2 :: v_dual_lshlrev_b32 v32, 3, v9
	s_delay_alu instid0(VALU_DEP_4)
	v_lshlrev_b64_e32 v[12:13], 3, v[12:13]
	v_lshl_add_u32 v33, v10, 6, 0x800
	v_lshlrev_b32_e32 v10, 3, v30
	v_cmp_le_i32_e32 vcc_lo, v14, v2
	v_cmp_gt_i32_e64 s2, s10, v2
	v_cmp_le_i32_e64 s3, v14, v8
	v_cmp_gt_i32_e64 s4, s10, v8
	s_cmp_gt_i32 s11, 0
	v_lshl_or_b32 v1, v30, 8, v3
	s_cselect_b32 s35, -1, 0
	s_and_b32 s10, vcc_lo, s2
	s_and_b32 s30, s3, s4
	v_cmp_le_i32_e32 vcc_lo, v20, v2
	v_cmp_le_i32_e64 s3, v20, v8
	v_dual_ashrrev_i32 v3, 31, v2 :: v_dual_ashrrev_i32 v9, 31, v8
	v_lshl_add_u64 v[12:13], v[18:19], 3, v[12:13]
	s_and_b32 s31, vcc_lo, s2
	v_lshl_add_u64 v[10:11], v[16:17], 3, v[10:11]
	s_and_b32 s33, s3, s4
	s_lshl_b64 s[2:3], s[12:13], 3
	v_add_nc_u64_e32 v[12:13], s[14:15], v[12:13]
	s_and_b32 s14, s34, s35
	v_add_nc_u64_e32 v[10:11], s[6:7], v[10:11]
	s_lshl_b64 s[4:5], s[8:9], 3
	s_lshl_b64 s[6:7], s[28:29], 6
	s_branch .LBB50_6
.LBB50_5:                               ;   in Loop: Header=BB50_6 Depth=1
	s_wait_xcnt 0x0
	s_or_b32 exec_lo, exec_lo, s8
	s_add_co_i32 s24, s24, 0x10000
	s_delay_alu instid0(SALU_CYCLE_1)
	s_cmp_lt_u32 s24, s19
	s_cbranch_scc0 .LBB50_33
.LBB50_6:                               ; =>This Loop Header: Depth=1
                                        ;     Child Loop BB50_9 Depth 2
	v_mov_b64_e32 v[20:21], 0
	v_mov_b64_e32 v[18:19], 0
	;; [unrolled: 1-line block ×4, first 2 shown]
	s_and_not1_b32 vcc_lo, exec_lo, s14
	s_cbranch_vccnz .LBB50_13
; %bb.7:                                ;   in Loop: Header=BB50_6 Depth=1
	v_mad_nc_u64_u32 v[22:23], s2, s24, v[10:11]
	v_mad_nc_u64_u32 v[24:25], s4, s24, v[12:13]
	v_mov_b64_e32 v[14:15], 0
	v_mov_b64_e32 v[16:17], 0
	v_mov_b64_e32 v[18:19], 0
	v_mov_b64_e32 v[20:21], 0
	s_mov_b32 s8, 0
	v_mad_u32 v23, s3, s24, v23
	v_mad_u32 v25, s5, s24, v25
	s_branch .LBB50_9
.LBB50_8:                               ;   in Loop: Header=BB50_9 Depth=2
	s_wait_xcnt 0x0
	s_or_b32 exec_lo, exec_lo, s9
	s_wait_loadcnt 0x0
	ds_store_b64 v31, v[28:29]
	s_wait_dscnt 0x0
	s_barrier_signal -1
	s_barrier_wait -1
	ds_load_b128 v[26:29], v33
	ds_load_2addr_b64 v[34:37], v32 offset1:16
	ds_load_b128 v[38:41], v33 offset:1024
	ds_load_b128 v[42:45], v33 offset:16
	;; [unrolled: 1-line block ×3, first 2 shown]
	v_add_nc_u64_e32 v[22:23], 64, v[22:23]
	v_add_nc_u64_e32 v[24:25], s[6:7], v[24:25]
	s_add_co_i32 s8, s8, 8
	s_delay_alu instid0(SALU_CYCLE_1)
	s_cmp_lt_i32 s8, s11
	s_wait_dscnt 0x3
	v_fmac_f64_e32 v[20:21], v[34:35], v[26:27]
	v_fmac_f64_e32 v[18:19], v[36:37], v[26:27]
	s_wait_dscnt 0x2
	v_fmac_f64_e32 v[16:17], v[34:35], v[38:39]
	v_fmac_f64_e32 v[14:15], v[36:37], v[38:39]
	ds_load_2addr_b64 v[34:37], v32 offset0:32 offset1:48
	s_wait_dscnt 0x0
	v_fmac_f64_e32 v[20:21], v[34:35], v[28:29]
	v_fmac_f64_e32 v[18:19], v[36:37], v[28:29]
	v_fmac_f64_e32 v[16:17], v[34:35], v[40:41]
	v_fmac_f64_e32 v[14:15], v[36:37], v[40:41]
	ds_load_2addr_b64 v[26:29], v32 offset0:64 offset1:80
	s_wait_dscnt 0x0
	v_fmac_f64_e32 v[20:21], v[26:27], v[42:43]
	v_fmac_f64_e32 v[18:19], v[28:29], v[42:43]
	;; [unrolled: 6-line block ×3, first 2 shown]
	v_fmac_f64_e32 v[16:17], v[26:27], v[48:49]
	v_fmac_f64_e32 v[14:15], v[28:29], v[48:49]
	ds_load_b128 v[26:29], v33 offset:32
	ds_load_2addr_b64 v[34:37], v32 offset0:128 offset1:144
	ds_load_b128 v[38:41], v33 offset:1056
	ds_load_b128 v[42:45], v33 offset:48
	;; [unrolled: 1-line block ×3, first 2 shown]
	s_wait_dscnt 0x3
	v_fmac_f64_e32 v[20:21], v[34:35], v[26:27]
	v_fmac_f64_e32 v[18:19], v[36:37], v[26:27]
	s_wait_dscnt 0x2
	v_fmac_f64_e32 v[16:17], v[34:35], v[38:39]
	v_fmac_f64_e32 v[14:15], v[36:37], v[38:39]
	ds_load_2addr_b64 v[34:37], v32 offset0:160 offset1:176
	s_wait_dscnt 0x0
	v_fmac_f64_e32 v[20:21], v[34:35], v[28:29]
	v_fmac_f64_e32 v[18:19], v[36:37], v[28:29]
	;; [unrolled: 1-line block ×4, first 2 shown]
	ds_load_2addr_b64 v[26:29], v32 offset0:192 offset1:208
	s_wait_dscnt 0x0
	v_fmac_f64_e32 v[20:21], v[26:27], v[42:43]
	v_fmac_f64_e32 v[18:19], v[28:29], v[42:43]
	;; [unrolled: 1-line block ×4, first 2 shown]
	ds_load_2addr_b64 v[26:29], v32 offset0:224 offset1:240
	s_wait_dscnt 0x0
	s_barrier_signal -1
	s_barrier_wait -1
	v_fmac_f64_e32 v[20:21], v[26:27], v[44:45]
	v_fmac_f64_e32 v[18:19], v[28:29], v[44:45]
	;; [unrolled: 1-line block ×4, first 2 shown]
	s_cbranch_scc0 .LBB50_13
.LBB50_9:                               ;   Parent Loop BB50_6 Depth=1
                                        ; =>  This Inner Loop Header: Depth=2
	v_add_nc_u32_e32 v26, s8, v30
	s_delay_alu instid0(VALU_DEP_1) | instskip(SKIP_2) | instid1(SALU_CYCLE_1)
	v_cmp_gt_i32_e32 vcc_lo, s11, v26
	v_mov_b64_e32 v[26:27], 0
	s_and_b32 s12, s0, vcc_lo
	s_and_saveexec_b32 s9, s12
	s_cbranch_execz .LBB50_11
; %bb.10:                               ;   in Loop: Header=BB50_9 Depth=2
	global_load_b64 v[26:27], v[22:23], off
.LBB50_11:                              ;   in Loop: Header=BB50_9 Depth=2
	s_wait_xcnt 0x0
	s_or_b32 exec_lo, exec_lo, s9
	v_add_nc_u32_e32 v28, s8, v0
	s_wait_loadcnt 0x0
	ds_store_b64 v1, v[26:27]
	v_cmp_gt_i32_e32 vcc_lo, s11, v28
	v_mov_b64_e32 v[28:29], 0
	s_and_b32 s12, vcc_lo, s1
	s_delay_alu instid0(SALU_CYCLE_1)
	s_and_saveexec_b32 s9, s12
	s_cbranch_execz .LBB50_8
; %bb.12:                               ;   in Loop: Header=BB50_9 Depth=2
	global_load_b64 v[28:29], v[24:25], off
	s_branch .LBB50_8
.LBB50_13:                              ;   in Loop: Header=BB50_6 Depth=1
	s_mul_u64 s[8:9], s[26:27], s[24:25]
	s_delay_alu instid0(SALU_CYCLE_1) | instskip(NEXT) | instid1(SALU_CYCLE_1)
	s_lshl_b64 s[8:9], s[8:9], 3
	s_add_nc_u64 s[8:9], s[16:17], s[8:9]
	s_delay_alu instid0(SALU_CYCLE_1)
	v_lshl_add_u64 v[22:23], v[4:5], 3, s[8:9]
	s_and_saveexec_b32 s12, s10
	s_cbranch_execz .LBB50_17
; %bb.14:                               ;   in Loop: Header=BB50_6 Depth=1
	v_mul_f64_e32 v[20:21], s[22:23], v[20:21]
	s_delay_alu instid0(VALU_DEP_2)
	v_lshl_add_u64 v[24:25], v[2:3], 3, v[22:23]
	s_and_b32 vcc_lo, exec_lo, s18
	s_cbranch_vccz .LBB50_28
; %bb.15:                               ;   in Loop: Header=BB50_6 Depth=1
	global_load_b64 v[26:27], v[24:25], off
	s_wait_loadcnt 0x0
	v_fma_f64 v[26:27], s[20:21], v[26:27], v[20:21]
	global_store_b64 v[24:25], v[26:27], off
	s_cbranch_execnz .LBB50_17
.LBB50_16:                              ;   in Loop: Header=BB50_6 Depth=1
	global_store_b64 v[24:25], v[20:21], off
.LBB50_17:                              ;   in Loop: Header=BB50_6 Depth=1
	s_wait_xcnt 0x0
	s_or_b32 exec_lo, exec_lo, s12
	s_and_saveexec_b32 s12, s30
	s_cbranch_execz .LBB50_21
; %bb.18:                               ;   in Loop: Header=BB50_6 Depth=1
	s_delay_alu instid0(VALU_DEP_4)
	v_mul_f64_e32 v[18:19], s[22:23], v[18:19]
	v_lshl_add_u64 v[20:21], v[8:9], 3, v[22:23]
	s_and_not1_b32 vcc_lo, exec_lo, s18
	s_cbranch_vccnz .LBB50_29
; %bb.19:                               ;   in Loop: Header=BB50_6 Depth=1
	global_load_b64 v[22:23], v[20:21], off
	s_wait_loadcnt 0x0
	v_fma_f64 v[22:23], s[20:21], v[22:23], v[18:19]
	global_store_b64 v[20:21], v[22:23], off
	s_cbranch_execnz .LBB50_21
.LBB50_20:                              ;   in Loop: Header=BB50_6 Depth=1
	global_store_b64 v[20:21], v[18:19], off
.LBB50_21:                              ;   in Loop: Header=BB50_6 Depth=1
	s_wait_xcnt 0x0
	s_or_b32 exec_lo, exec_lo, s12
	v_lshl_add_u64 v[18:19], v[6:7], 3, s[8:9]
	s_and_saveexec_b32 s8, s31
	s_cbranch_execz .LBB50_25
; %bb.22:                               ;   in Loop: Header=BB50_6 Depth=1
	s_delay_alu instid0(VALU_DEP_4) | instskip(NEXT) | instid1(VALU_DEP_2)
	v_mul_f64_e32 v[16:17], s[22:23], v[16:17]
	v_lshl_add_u64 v[20:21], v[2:3], 3, v[18:19]
	s_and_not1_b32 vcc_lo, exec_lo, s18
	s_cbranch_vccnz .LBB50_30
; %bb.23:                               ;   in Loop: Header=BB50_6 Depth=1
	global_load_b64 v[22:23], v[20:21], off
	s_wait_loadcnt 0x0
	v_fma_f64 v[22:23], s[20:21], v[22:23], v[16:17]
	global_store_b64 v[20:21], v[22:23], off
	s_cbranch_execnz .LBB50_25
.LBB50_24:                              ;   in Loop: Header=BB50_6 Depth=1
	global_store_b64 v[20:21], v[16:17], off
.LBB50_25:                              ;   in Loop: Header=BB50_6 Depth=1
	s_wait_xcnt 0x0
	s_or_b32 exec_lo, exec_lo, s8
	s_and_saveexec_b32 s8, s33
	s_cbranch_execz .LBB50_5
; %bb.26:                               ;   in Loop: Header=BB50_6 Depth=1
	s_delay_alu instid0(VALU_DEP_3)
	v_mul_f64_e32 v[14:15], s[22:23], v[14:15]
	v_lshl_add_u64 v[16:17], v[8:9], 3, v[18:19]
	s_and_not1_b32 vcc_lo, exec_lo, s18
	s_cbranch_vccnz .LBB50_31
; %bb.27:                               ;   in Loop: Header=BB50_6 Depth=1
	global_load_b64 v[18:19], v[16:17], off
	s_wait_loadcnt 0x0
	v_fma_f64 v[18:19], s[20:21], v[18:19], v[14:15]
	global_store_b64 v[16:17], v[18:19], off
	s_cbranch_execnz .LBB50_5
	s_branch .LBB50_32
.LBB50_28:                              ;   in Loop: Header=BB50_6 Depth=1
	s_branch .LBB50_16
.LBB50_29:                              ;   in Loop: Header=BB50_6 Depth=1
	s_branch .LBB50_20
.LBB50_30:                              ;   in Loop: Header=BB50_6 Depth=1
	s_branch .LBB50_24
.LBB50_31:                              ;   in Loop: Header=BB50_6 Depth=1
.LBB50_32:                              ;   in Loop: Header=BB50_6 Depth=1
	global_store_b64 v[16:17], v[14:15], off
	s_branch .LBB50_5
.LBB50_33:
	s_endpgm
	.section	.rodata,"a",@progbits
	.p2align	6, 0x0
	.amdhsa_kernel _ZL29rocblas_internal_gemmt_kernelIiLi16ELi32ELi8ELc84ELc67ELc76ELb0ELb0EdPKdS1_PdEviT_T9_T10_S3_lS5_S3_lS4_T11_S3_li
		.amdhsa_group_segment_fixed_size 4096
		.amdhsa_private_segment_fixed_size 0
		.amdhsa_kernarg_size 100
		.amdhsa_user_sgpr_count 2
		.amdhsa_user_sgpr_dispatch_ptr 0
		.amdhsa_user_sgpr_queue_ptr 0
		.amdhsa_user_sgpr_kernarg_segment_ptr 1
		.amdhsa_user_sgpr_dispatch_id 0
		.amdhsa_user_sgpr_kernarg_preload_length 0
		.amdhsa_user_sgpr_kernarg_preload_offset 0
		.amdhsa_user_sgpr_private_segment_size 0
		.amdhsa_wavefront_size32 1
		.amdhsa_uses_dynamic_stack 0
		.amdhsa_enable_private_segment 0
		.amdhsa_system_sgpr_workgroup_id_x 1
		.amdhsa_system_sgpr_workgroup_id_y 1
		.amdhsa_system_sgpr_workgroup_id_z 1
		.amdhsa_system_sgpr_workgroup_info 0
		.amdhsa_system_vgpr_workitem_id 1
		.amdhsa_next_free_vgpr 50
		.amdhsa_next_free_sgpr 36
		.amdhsa_named_barrier_count 0
		.amdhsa_reserve_vcc 1
		.amdhsa_float_round_mode_32 0
		.amdhsa_float_round_mode_16_64 0
		.amdhsa_float_denorm_mode_32 3
		.amdhsa_float_denorm_mode_16_64 3
		.amdhsa_fp16_overflow 0
		.amdhsa_memory_ordered 1
		.amdhsa_forward_progress 1
		.amdhsa_inst_pref_size 14
		.amdhsa_round_robin_scheduling 0
		.amdhsa_exception_fp_ieee_invalid_op 0
		.amdhsa_exception_fp_denorm_src 0
		.amdhsa_exception_fp_ieee_div_zero 0
		.amdhsa_exception_fp_ieee_overflow 0
		.amdhsa_exception_fp_ieee_underflow 0
		.amdhsa_exception_fp_ieee_inexact 0
		.amdhsa_exception_int_div_zero 0
	.end_amdhsa_kernel
	.section	.text._ZL29rocblas_internal_gemmt_kernelIiLi16ELi32ELi8ELc84ELc67ELc76ELb0ELb0EdPKdS1_PdEviT_T9_T10_S3_lS5_S3_lS4_T11_S3_li,"axG",@progbits,_ZL29rocblas_internal_gemmt_kernelIiLi16ELi32ELi8ELc84ELc67ELc76ELb0ELb0EdPKdS1_PdEviT_T9_T10_S3_lS5_S3_lS4_T11_S3_li,comdat
.Lfunc_end50:
	.size	_ZL29rocblas_internal_gemmt_kernelIiLi16ELi32ELi8ELc84ELc67ELc76ELb0ELb0EdPKdS1_PdEviT_T9_T10_S3_lS5_S3_lS4_T11_S3_li, .Lfunc_end50-_ZL29rocblas_internal_gemmt_kernelIiLi16ELi32ELi8ELc84ELc67ELc76ELb0ELb0EdPKdS1_PdEviT_T9_T10_S3_lS5_S3_lS4_T11_S3_li
                                        ; -- End function
	.set _ZL29rocblas_internal_gemmt_kernelIiLi16ELi32ELi8ELc84ELc67ELc76ELb0ELb0EdPKdS1_PdEviT_T9_T10_S3_lS5_S3_lS4_T11_S3_li.num_vgpr, 50
	.set _ZL29rocblas_internal_gemmt_kernelIiLi16ELi32ELi8ELc84ELc67ELc76ELb0ELb0EdPKdS1_PdEviT_T9_T10_S3_lS5_S3_lS4_T11_S3_li.num_agpr, 0
	.set _ZL29rocblas_internal_gemmt_kernelIiLi16ELi32ELi8ELc84ELc67ELc76ELb0ELb0EdPKdS1_PdEviT_T9_T10_S3_lS5_S3_lS4_T11_S3_li.numbered_sgpr, 36
	.set _ZL29rocblas_internal_gemmt_kernelIiLi16ELi32ELi8ELc84ELc67ELc76ELb0ELb0EdPKdS1_PdEviT_T9_T10_S3_lS5_S3_lS4_T11_S3_li.num_named_barrier, 0
	.set _ZL29rocblas_internal_gemmt_kernelIiLi16ELi32ELi8ELc84ELc67ELc76ELb0ELb0EdPKdS1_PdEviT_T9_T10_S3_lS5_S3_lS4_T11_S3_li.private_seg_size, 0
	.set _ZL29rocblas_internal_gemmt_kernelIiLi16ELi32ELi8ELc84ELc67ELc76ELb0ELb0EdPKdS1_PdEviT_T9_T10_S3_lS5_S3_lS4_T11_S3_li.uses_vcc, 1
	.set _ZL29rocblas_internal_gemmt_kernelIiLi16ELi32ELi8ELc84ELc67ELc76ELb0ELb0EdPKdS1_PdEviT_T9_T10_S3_lS5_S3_lS4_T11_S3_li.uses_flat_scratch, 0
	.set _ZL29rocblas_internal_gemmt_kernelIiLi16ELi32ELi8ELc84ELc67ELc76ELb0ELb0EdPKdS1_PdEviT_T9_T10_S3_lS5_S3_lS4_T11_S3_li.has_dyn_sized_stack, 0
	.set _ZL29rocblas_internal_gemmt_kernelIiLi16ELi32ELi8ELc84ELc67ELc76ELb0ELb0EdPKdS1_PdEviT_T9_T10_S3_lS5_S3_lS4_T11_S3_li.has_recursion, 0
	.set _ZL29rocblas_internal_gemmt_kernelIiLi16ELi32ELi8ELc84ELc67ELc76ELb0ELb0EdPKdS1_PdEviT_T9_T10_S3_lS5_S3_lS4_T11_S3_li.has_indirect_call, 0
	.section	.AMDGPU.csdata,"",@progbits
; Kernel info:
; codeLenInByte = 1676
; TotalNumSgprs: 38
; NumVgprs: 50
; ScratchSize: 0
; MemoryBound: 0
; FloatMode: 240
; IeeeMode: 1
; LDSByteSize: 4096 bytes/workgroup (compile time only)
; SGPRBlocks: 0
; VGPRBlocks: 3
; NumSGPRsForWavesPerEU: 38
; NumVGPRsForWavesPerEU: 50
; NamedBarCnt: 0
; Occupancy: 16
; WaveLimiterHint : 0
; COMPUTE_PGM_RSRC2:SCRATCH_EN: 0
; COMPUTE_PGM_RSRC2:USER_SGPR: 2
; COMPUTE_PGM_RSRC2:TRAP_HANDLER: 0
; COMPUTE_PGM_RSRC2:TGID_X_EN: 1
; COMPUTE_PGM_RSRC2:TGID_Y_EN: 1
; COMPUTE_PGM_RSRC2:TGID_Z_EN: 1
; COMPUTE_PGM_RSRC2:TIDIG_COMP_CNT: 1
	.section	.text._ZL29rocblas_internal_gemmt_kernelIiLi16ELi32ELi8ELc67ELc78ELc76ELb0ELb0EdPKdS1_PdEviT_T9_T10_S3_lS5_S3_lS4_T11_S3_li,"axG",@progbits,_ZL29rocblas_internal_gemmt_kernelIiLi16ELi32ELi8ELc67ELc78ELc76ELb0ELb0EdPKdS1_PdEviT_T9_T10_S3_lS5_S3_lS4_T11_S3_li,comdat
	.globl	_ZL29rocblas_internal_gemmt_kernelIiLi16ELi32ELi8ELc67ELc78ELc76ELb0ELb0EdPKdS1_PdEviT_T9_T10_S3_lS5_S3_lS4_T11_S3_li ; -- Begin function _ZL29rocblas_internal_gemmt_kernelIiLi16ELi32ELi8ELc67ELc78ELc76ELb0ELb0EdPKdS1_PdEviT_T9_T10_S3_lS5_S3_lS4_T11_S3_li
	.p2align	8
	.type	_ZL29rocblas_internal_gemmt_kernelIiLi16ELi32ELi8ELc67ELc78ELc76ELb0ELb0EdPKdS1_PdEviT_T9_T10_S3_lS5_S3_lS4_T11_S3_li,@function
_ZL29rocblas_internal_gemmt_kernelIiLi16ELi32ELi8ELc67ELc78ELc76ELb0ELb0EdPKdS1_PdEviT_T9_T10_S3_lS5_S3_lS4_T11_S3_li: ; @_ZL29rocblas_internal_gemmt_kernelIiLi16ELi32ELi8ELc67ELc78ELc76ELb0ELb0EdPKdS1_PdEviT_T9_T10_S3_lS5_S3_lS4_T11_S3_li
; %bb.0:
	s_load_b128 s[8:11], s[0:1], 0x38
	s_wait_kmcnt 0x0
	s_load_b64 s[20:21], s[10:11], 0x0
	s_load_b128 s[4:7], s[0:1], 0x8
	s_wait_xcnt 0x0
	s_load_b64 s[10:11], s[0:1], 0x0
	s_wait_kmcnt 0x0
	s_load_b64 s[22:23], s[4:5], 0x0
	v_cmp_neq_f64_e64 s2, s[20:21], 1.0
	s_and_b32 vcc_lo, exec_lo, s2
	s_cbranch_vccnz .LBB51_2
; %bb.1:
	s_wait_kmcnt 0x0
	v_cmp_neq_f64_e64 s2, s[22:23], 0
	s_cmp_lg_u32 s11, 0
	s_cselect_b32 s3, -1, 0
	s_delay_alu instid0(SALU_CYCLE_1)
	s_and_b32 s2, s3, s2
.LBB51_2:
	s_delay_alu instid0(SALU_CYCLE_1)
	s_and_not1_b32 vcc_lo, exec_lo, s2
	s_cbranch_vccnz .LBB51_33
; %bb.3:
	s_load_b32 s19, s[0:1], 0x60
	s_bfe_u32 s2, ttmp6, 0x40014
	s_lshr_b32 s3, ttmp7, 16
	s_add_co_i32 s2, s2, 1
	s_wait_xcnt 0x0
	s_bfe_u32 s4, ttmp6, 0x40008
	s_mul_i32 s2, s3, s2
	s_getreg_b32 s28, hwreg(HW_REG_IB_STS2, 6, 4)
	s_add_co_i32 s4, s4, s2
	s_cmp_eq_u32 s28, 0
	s_mov_b32 s25, 0
	s_cselect_b32 s24, s3, s4
	s_wait_kmcnt 0x0
	s_cmp_ge_u32 s24, s19
	s_cbranch_scc1 .LBB51_33
; %bb.4:
	s_clause 0x3
	s_load_b32 s4, s[0:1], 0x18
	s_load_b32 s2, s[0:1], 0x30
	s_load_b96 s[16:18], s[0:1], 0x48
	s_load_b128 s[12:15], s[0:1], 0x20
	v_and_b32_e32 v1, 0x3ff, v0
	v_bfe_u32 v19, v0, 10, 10
	s_load_b64 s[26:27], s[0:1], 0x58
	s_wait_xcnt 0x0
	s_bfe_u32 s1, ttmp6, 0x4000c
	s_bfe_u32 s3, ttmp6, 0x40010
	s_and_b32 s29, ttmp7, 0xffff
	s_add_co_i32 s1, s1, 1
	s_add_co_i32 s3, s3, 1
	v_lshl_add_u32 v2, v19, 4, v1
	s_and_b32 s0, ttmp6, 15
	s_bfe_u32 s30, ttmp6, 0x40004
	s_mul_i32 s31, ttmp9, s1
	s_mul_i32 s33, s29, s3
	s_add_co_i32 s0, s0, s31
	s_add_co_i32 s30, s30, s33
	v_dual_lshrrev_b32 v3, 3, v2 :: v_dual_bitop2_b32 v4, 31, v2 bitop3:0x40
	s_wait_kmcnt 0x0
	s_ashr_i32 s5, s4, 31
	s_ashr_i32 s3, s2, 31
	;; [unrolled: 1-line block ×3, first 2 shown]
	s_cmp_eq_u32 s28, 0
	v_dual_lshrrev_b32 v28, 5, v2 :: v_dual_bitop2_b32 v29, 7, v0 bitop3:0x40
	s_cselect_b32 s0, ttmp9, s0
	s_cselect_b32 s28, s29, s30
	s_lshl_b32 s29, s0, 5
	s_lshl_b32 s28, s28, 5
	s_delay_alu instid0(SALU_CYCLE_1) | instskip(SKIP_2) | instid1(VALU_DEP_2)
	v_dual_add_nc_u32 v8, s28, v3 :: v_dual_bitop2_b32 v6, s29, v4 bitop3:0x54
	v_dual_add_nc_u32 v10, s28, v19 :: v_dual_lshlrev_b32 v18, 3, v29
	s_mov_b32 s0, s18
	v_dual_ashrrev_i32 v7, 31, v6 :: v_dual_ashrrev_i32 v9, 31, v8
	s_delay_alu instid0(VALU_DEP_2) | instskip(SKIP_2) | instid1(VALU_DEP_4)
	v_add_nc_u32_e32 v16, 16, v10
	v_cmp_neq_f64_e64 s30, s[22:23], 0
	v_cmp_neq_f64_e64 s18, s[20:21], 0
	v_mul_u64_e32 v[12:13], s[4:5], v[6:7]
	v_mul_u64_e32 v[14:15], s[2:3], v[8:9]
	v_dual_lshlrev_b32 v7, 3, v4 :: v_dual_ashrrev_i32 v11, 31, v10
	v_ashrrev_i32_e32 v17, 31, v16
	v_lshl_or_b32 v9, v3, 6, v18
	v_dual_add_nc_u32 v0, s29, v1 :: v_dual_lshlrev_b32 v32, 3, v1
	s_delay_alu instid0(VALU_DEP_4) | instskip(NEXT) | instid1(VALU_DEP_4)
	v_mul_u64_e32 v[2:3], s[0:1], v[10:11]
	v_mul_u64_e32 v[4:5], s[0:1], v[16:17]
	v_cmp_gt_i32_e64 s0, s10, v6
	v_add_nc_u32_e32 v31, 0x800, v9
	v_dual_mov_b32 v9, 0 :: v_dual_add_nc_u32 v6, 16, v0
	v_cmp_gt_i32_e64 s1, s10, v8
	v_cmp_le_i32_e32 vcc_lo, v10, v0
	v_cmp_gt_i32_e64 s2, s10, v0
	v_lshl_add_u32 v33, v19, 6, 0x800
	v_dual_mov_b32 v19, v9 :: v_dual_lshlrev_b32 v8, 3, v28
	s_cmp_gt_i32 s11, 0
	v_cmp_gt_i32_e64 s3, s10, v6
	s_cselect_b32 s5, -1, 0
	s_and_b32 s28, vcc_lo, s2
	v_cmp_le_i32_e32 vcc_lo, v10, v6
	v_cmp_le_i32_e64 s4, v16, v0
	v_lshl_or_b32 v30, v28, 8, v7
	v_dual_ashrrev_i32 v1, 31, v0 :: v_dual_ashrrev_i32 v7, 31, v6
	s_and_b32 s10, vcc_lo, s3
	v_cmp_le_i32_e32 vcc_lo, v16, v6
	s_and_b32 s29, s4, s2
	v_lshl_add_u64 v[8:9], v[12:13], 3, v[8:9]
	v_lshl_add_u64 v[10:11], v[14:15], 3, v[18:19]
	s_delay_alu instid0(VALU_DEP_2) | instskip(NEXT) | instid1(VALU_DEP_2)
	v_add_nc_u64_e32 v[8:9], s[6:7], v[8:9]
	v_add_nc_u64_e32 v[10:11], s[14:15], v[10:11]
	s_and_b32 s14, s30, s5
	s_and_b32 s15, vcc_lo, s3
	s_lshl_b64 s[2:3], s[12:13], 3
	s_lshl_b64 s[4:5], s[8:9], 3
	s_branch .LBB51_6
.LBB51_5:                               ;   in Loop: Header=BB51_6 Depth=1
	s_wait_xcnt 0x0
	s_or_b32 exec_lo, exec_lo, s6
	s_add_co_i32 s24, s24, 0x10000
	s_delay_alu instid0(SALU_CYCLE_1)
	s_cmp_lt_u32 s24, s19
	s_cbranch_scc0 .LBB51_33
.LBB51_6:                               ; =>This Loop Header: Depth=1
                                        ;     Child Loop BB51_9 Depth 2
	v_mov_b64_e32 v[18:19], 0
	v_mov_b64_e32 v[16:17], 0
	;; [unrolled: 1-line block ×4, first 2 shown]
	s_and_not1_b32 vcc_lo, exec_lo, s14
	s_cbranch_vccnz .LBB51_13
; %bb.7:                                ;   in Loop: Header=BB51_6 Depth=1
	v_mad_nc_u64_u32 v[20:21], s2, s24, v[8:9]
	v_mad_nc_u64_u32 v[22:23], s4, s24, v[10:11]
	v_mov_b64_e32 v[12:13], 0
	v_mov_b64_e32 v[14:15], 0
	;; [unrolled: 1-line block ×4, first 2 shown]
	s_mov_b32 s6, 0
	v_mad_u32 v21, s3, s24, v21
	v_mad_u32 v23, s5, s24, v23
	s_branch .LBB51_9
.LBB51_8:                               ;   in Loop: Header=BB51_9 Depth=2
	s_wait_xcnt 0x0
	s_or_b32 exec_lo, exec_lo, s7
	s_wait_loadcnt 0x0
	ds_store_b64 v31, v[26:27]
	s_wait_dscnt 0x0
	s_barrier_signal -1
	s_barrier_wait -1
	ds_load_b128 v[24:27], v33
	ds_load_2addr_b64 v[34:37], v32 offset1:16
	ds_load_b128 v[38:41], v33 offset:1024
	ds_load_b128 v[42:45], v33 offset:16
	;; [unrolled: 1-line block ×3, first 2 shown]
	v_add_nc_u64_e32 v[20:21], 64, v[20:21]
	v_add_nc_u64_e32 v[22:23], 64, v[22:23]
	s_add_co_i32 s6, s6, 8
	s_delay_alu instid0(SALU_CYCLE_1)
	s_cmp_lt_i32 s6, s11
	s_wait_dscnt 0x3
	v_fmac_f64_e32 v[18:19], v[34:35], v[24:25]
	v_fmac_f64_e32 v[16:17], v[36:37], v[24:25]
	s_wait_dscnt 0x2
	v_fmac_f64_e32 v[14:15], v[34:35], v[38:39]
	v_fmac_f64_e32 v[12:13], v[36:37], v[38:39]
	ds_load_2addr_b64 v[34:37], v32 offset0:32 offset1:48
	s_wait_dscnt 0x0
	v_fmac_f64_e32 v[18:19], v[34:35], v[26:27]
	v_fmac_f64_e32 v[16:17], v[36:37], v[26:27]
	v_fmac_f64_e32 v[14:15], v[34:35], v[40:41]
	v_fmac_f64_e32 v[12:13], v[36:37], v[40:41]
	ds_load_2addr_b64 v[24:27], v32 offset0:64 offset1:80
	s_wait_dscnt 0x0
	v_fmac_f64_e32 v[18:19], v[24:25], v[42:43]
	v_fmac_f64_e32 v[16:17], v[26:27], v[42:43]
	;; [unrolled: 6-line block ×3, first 2 shown]
	v_fmac_f64_e32 v[14:15], v[24:25], v[48:49]
	v_fmac_f64_e32 v[12:13], v[26:27], v[48:49]
	ds_load_b128 v[24:27], v33 offset:32
	ds_load_2addr_b64 v[34:37], v32 offset0:128 offset1:144
	ds_load_b128 v[38:41], v33 offset:1056
	ds_load_b128 v[42:45], v33 offset:48
	;; [unrolled: 1-line block ×3, first 2 shown]
	s_wait_dscnt 0x3
	v_fmac_f64_e32 v[18:19], v[34:35], v[24:25]
	v_fmac_f64_e32 v[16:17], v[36:37], v[24:25]
	s_wait_dscnt 0x2
	v_fmac_f64_e32 v[14:15], v[34:35], v[38:39]
	v_fmac_f64_e32 v[12:13], v[36:37], v[38:39]
	ds_load_2addr_b64 v[34:37], v32 offset0:160 offset1:176
	s_wait_dscnt 0x0
	v_fmac_f64_e32 v[18:19], v[34:35], v[26:27]
	v_fmac_f64_e32 v[16:17], v[36:37], v[26:27]
	;; [unrolled: 1-line block ×4, first 2 shown]
	ds_load_2addr_b64 v[24:27], v32 offset0:192 offset1:208
	s_wait_dscnt 0x0
	v_fmac_f64_e32 v[18:19], v[24:25], v[42:43]
	v_fmac_f64_e32 v[16:17], v[26:27], v[42:43]
	;; [unrolled: 1-line block ×4, first 2 shown]
	ds_load_2addr_b64 v[24:27], v32 offset0:224 offset1:240
	s_wait_dscnt 0x0
	s_barrier_signal -1
	s_barrier_wait -1
	v_fmac_f64_e32 v[18:19], v[24:25], v[44:45]
	v_fmac_f64_e32 v[16:17], v[26:27], v[44:45]
	;; [unrolled: 1-line block ×4, first 2 shown]
	s_cbranch_scc0 .LBB51_13
.LBB51_9:                               ;   Parent Loop BB51_6 Depth=1
                                        ; =>  This Inner Loop Header: Depth=2
	v_add_nc_u32_e32 v24, s6, v28
	s_delay_alu instid0(VALU_DEP_1) | instskip(SKIP_2) | instid1(SALU_CYCLE_1)
	v_cmp_gt_i32_e32 vcc_lo, s11, v24
	v_mov_b64_e32 v[24:25], 0
	s_and_b32 s8, s0, vcc_lo
	s_and_saveexec_b32 s7, s8
	s_cbranch_execz .LBB51_11
; %bb.10:                               ;   in Loop: Header=BB51_9 Depth=2
	global_load_b64 v[24:25], v[20:21], off
.LBB51_11:                              ;   in Loop: Header=BB51_9 Depth=2
	s_wait_xcnt 0x0
	s_or_b32 exec_lo, exec_lo, s7
	v_add_nc_u32_e32 v26, s6, v29
	s_wait_loadcnt 0x0
	ds_store_b64 v30, v[24:25]
	v_cmp_gt_i32_e32 vcc_lo, s11, v26
	v_mov_b64_e32 v[26:27], 0
	s_and_b32 s8, vcc_lo, s1
	s_delay_alu instid0(SALU_CYCLE_1)
	s_and_saveexec_b32 s7, s8
	s_cbranch_execz .LBB51_8
; %bb.12:                               ;   in Loop: Header=BB51_9 Depth=2
	global_load_b64 v[26:27], v[22:23], off
	s_branch .LBB51_8
.LBB51_13:                              ;   in Loop: Header=BB51_6 Depth=1
	s_mul_u64 s[6:7], s[26:27], s[24:25]
	s_delay_alu instid0(SALU_CYCLE_1) | instskip(NEXT) | instid1(SALU_CYCLE_1)
	s_lshl_b64 s[6:7], s[6:7], 3
	s_add_nc_u64 s[6:7], s[16:17], s[6:7]
	s_delay_alu instid0(SALU_CYCLE_1)
	v_lshl_add_u64 v[20:21], v[2:3], 3, s[6:7]
	s_and_saveexec_b32 s8, s28
	s_cbranch_execz .LBB51_17
; %bb.14:                               ;   in Loop: Header=BB51_6 Depth=1
	v_mul_f64_e32 v[18:19], s[22:23], v[18:19]
	s_delay_alu instid0(VALU_DEP_2)
	v_lshl_add_u64 v[22:23], v[0:1], 3, v[20:21]
	s_and_b32 vcc_lo, exec_lo, s18
	s_cbranch_vccz .LBB51_28
; %bb.15:                               ;   in Loop: Header=BB51_6 Depth=1
	global_load_b64 v[24:25], v[22:23], off
	s_wait_loadcnt 0x0
	v_fma_f64 v[24:25], s[20:21], v[24:25], v[18:19]
	global_store_b64 v[22:23], v[24:25], off
	s_cbranch_execnz .LBB51_17
.LBB51_16:                              ;   in Loop: Header=BB51_6 Depth=1
	global_store_b64 v[22:23], v[18:19], off
.LBB51_17:                              ;   in Loop: Header=BB51_6 Depth=1
	s_wait_xcnt 0x0
	s_or_b32 exec_lo, exec_lo, s8
	s_and_saveexec_b32 s8, s10
	s_cbranch_execz .LBB51_21
; %bb.18:                               ;   in Loop: Header=BB51_6 Depth=1
	s_delay_alu instid0(VALU_DEP_4)
	v_mul_f64_e32 v[16:17], s[22:23], v[16:17]
	v_lshl_add_u64 v[18:19], v[6:7], 3, v[20:21]
	s_and_not1_b32 vcc_lo, exec_lo, s18
	s_cbranch_vccnz .LBB51_29
; %bb.19:                               ;   in Loop: Header=BB51_6 Depth=1
	global_load_b64 v[20:21], v[18:19], off
	s_wait_loadcnt 0x0
	v_fma_f64 v[20:21], s[20:21], v[20:21], v[16:17]
	global_store_b64 v[18:19], v[20:21], off
	s_cbranch_execnz .LBB51_21
.LBB51_20:                              ;   in Loop: Header=BB51_6 Depth=1
	global_store_b64 v[18:19], v[16:17], off
.LBB51_21:                              ;   in Loop: Header=BB51_6 Depth=1
	s_wait_xcnt 0x0
	s_or_b32 exec_lo, exec_lo, s8
	v_lshl_add_u64 v[16:17], v[4:5], 3, s[6:7]
	s_and_saveexec_b32 s6, s29
	s_cbranch_execz .LBB51_25
; %bb.22:                               ;   in Loop: Header=BB51_6 Depth=1
	s_delay_alu instid0(VALU_DEP_4) | instskip(NEXT) | instid1(VALU_DEP_2)
	v_mul_f64_e32 v[14:15], s[22:23], v[14:15]
	v_lshl_add_u64 v[18:19], v[0:1], 3, v[16:17]
	s_and_not1_b32 vcc_lo, exec_lo, s18
	s_cbranch_vccnz .LBB51_30
; %bb.23:                               ;   in Loop: Header=BB51_6 Depth=1
	global_load_b64 v[20:21], v[18:19], off
	s_wait_loadcnt 0x0
	v_fma_f64 v[20:21], s[20:21], v[20:21], v[14:15]
	global_store_b64 v[18:19], v[20:21], off
	s_cbranch_execnz .LBB51_25
.LBB51_24:                              ;   in Loop: Header=BB51_6 Depth=1
	global_store_b64 v[18:19], v[14:15], off
.LBB51_25:                              ;   in Loop: Header=BB51_6 Depth=1
	s_wait_xcnt 0x0
	s_or_b32 exec_lo, exec_lo, s6
	s_and_saveexec_b32 s6, s15
	s_cbranch_execz .LBB51_5
; %bb.26:                               ;   in Loop: Header=BB51_6 Depth=1
	s_delay_alu instid0(VALU_DEP_3)
	v_mul_f64_e32 v[12:13], s[22:23], v[12:13]
	v_lshl_add_u64 v[14:15], v[6:7], 3, v[16:17]
	s_and_not1_b32 vcc_lo, exec_lo, s18
	s_cbranch_vccnz .LBB51_31
; %bb.27:                               ;   in Loop: Header=BB51_6 Depth=1
	global_load_b64 v[16:17], v[14:15], off
	s_wait_loadcnt 0x0
	v_fma_f64 v[16:17], s[20:21], v[16:17], v[12:13]
	global_store_b64 v[14:15], v[16:17], off
	s_cbranch_execnz .LBB51_5
	s_branch .LBB51_32
.LBB51_28:                              ;   in Loop: Header=BB51_6 Depth=1
	s_branch .LBB51_16
.LBB51_29:                              ;   in Loop: Header=BB51_6 Depth=1
	s_branch .LBB51_20
.LBB51_30:                              ;   in Loop: Header=BB51_6 Depth=1
	s_branch .LBB51_24
.LBB51_31:                              ;   in Loop: Header=BB51_6 Depth=1
.LBB51_32:                              ;   in Loop: Header=BB51_6 Depth=1
	global_store_b64 v[14:15], v[12:13], off
	s_branch .LBB51_5
.LBB51_33:
	s_endpgm
	.section	.rodata,"a",@progbits
	.p2align	6, 0x0
	.amdhsa_kernel _ZL29rocblas_internal_gemmt_kernelIiLi16ELi32ELi8ELc67ELc78ELc76ELb0ELb0EdPKdS1_PdEviT_T9_T10_S3_lS5_S3_lS4_T11_S3_li
		.amdhsa_group_segment_fixed_size 4096
		.amdhsa_private_segment_fixed_size 0
		.amdhsa_kernarg_size 100
		.amdhsa_user_sgpr_count 2
		.amdhsa_user_sgpr_dispatch_ptr 0
		.amdhsa_user_sgpr_queue_ptr 0
		.amdhsa_user_sgpr_kernarg_segment_ptr 1
		.amdhsa_user_sgpr_dispatch_id 0
		.amdhsa_user_sgpr_kernarg_preload_length 0
		.amdhsa_user_sgpr_kernarg_preload_offset 0
		.amdhsa_user_sgpr_private_segment_size 0
		.amdhsa_wavefront_size32 1
		.amdhsa_uses_dynamic_stack 0
		.amdhsa_enable_private_segment 0
		.amdhsa_system_sgpr_workgroup_id_x 1
		.amdhsa_system_sgpr_workgroup_id_y 1
		.amdhsa_system_sgpr_workgroup_id_z 1
		.amdhsa_system_sgpr_workgroup_info 0
		.amdhsa_system_vgpr_workitem_id 1
		.amdhsa_next_free_vgpr 50
		.amdhsa_next_free_sgpr 34
		.amdhsa_named_barrier_count 0
		.amdhsa_reserve_vcc 1
		.amdhsa_float_round_mode_32 0
		.amdhsa_float_round_mode_16_64 0
		.amdhsa_float_denorm_mode_32 3
		.amdhsa_float_denorm_mode_16_64 3
		.amdhsa_fp16_overflow 0
		.amdhsa_memory_ordered 1
		.amdhsa_forward_progress 1
		.amdhsa_inst_pref_size 13
		.amdhsa_round_robin_scheduling 0
		.amdhsa_exception_fp_ieee_invalid_op 0
		.amdhsa_exception_fp_denorm_src 0
		.amdhsa_exception_fp_ieee_div_zero 0
		.amdhsa_exception_fp_ieee_overflow 0
		.amdhsa_exception_fp_ieee_underflow 0
		.amdhsa_exception_fp_ieee_inexact 0
		.amdhsa_exception_int_div_zero 0
	.end_amdhsa_kernel
	.section	.text._ZL29rocblas_internal_gemmt_kernelIiLi16ELi32ELi8ELc67ELc78ELc76ELb0ELb0EdPKdS1_PdEviT_T9_T10_S3_lS5_S3_lS4_T11_S3_li,"axG",@progbits,_ZL29rocblas_internal_gemmt_kernelIiLi16ELi32ELi8ELc67ELc78ELc76ELb0ELb0EdPKdS1_PdEviT_T9_T10_S3_lS5_S3_lS4_T11_S3_li,comdat
.Lfunc_end51:
	.size	_ZL29rocblas_internal_gemmt_kernelIiLi16ELi32ELi8ELc67ELc78ELc76ELb0ELb0EdPKdS1_PdEviT_T9_T10_S3_lS5_S3_lS4_T11_S3_li, .Lfunc_end51-_ZL29rocblas_internal_gemmt_kernelIiLi16ELi32ELi8ELc67ELc78ELc76ELb0ELb0EdPKdS1_PdEviT_T9_T10_S3_lS5_S3_lS4_T11_S3_li
                                        ; -- End function
	.set _ZL29rocblas_internal_gemmt_kernelIiLi16ELi32ELi8ELc67ELc78ELc76ELb0ELb0EdPKdS1_PdEviT_T9_T10_S3_lS5_S3_lS4_T11_S3_li.num_vgpr, 50
	.set _ZL29rocblas_internal_gemmt_kernelIiLi16ELi32ELi8ELc67ELc78ELc76ELb0ELb0EdPKdS1_PdEviT_T9_T10_S3_lS5_S3_lS4_T11_S3_li.num_agpr, 0
	.set _ZL29rocblas_internal_gemmt_kernelIiLi16ELi32ELi8ELc67ELc78ELc76ELb0ELb0EdPKdS1_PdEviT_T9_T10_S3_lS5_S3_lS4_T11_S3_li.numbered_sgpr, 34
	.set _ZL29rocblas_internal_gemmt_kernelIiLi16ELi32ELi8ELc67ELc78ELc76ELb0ELb0EdPKdS1_PdEviT_T9_T10_S3_lS5_S3_lS4_T11_S3_li.num_named_barrier, 0
	.set _ZL29rocblas_internal_gemmt_kernelIiLi16ELi32ELi8ELc67ELc78ELc76ELb0ELb0EdPKdS1_PdEviT_T9_T10_S3_lS5_S3_lS4_T11_S3_li.private_seg_size, 0
	.set _ZL29rocblas_internal_gemmt_kernelIiLi16ELi32ELi8ELc67ELc78ELc76ELb0ELb0EdPKdS1_PdEviT_T9_T10_S3_lS5_S3_lS4_T11_S3_li.uses_vcc, 1
	.set _ZL29rocblas_internal_gemmt_kernelIiLi16ELi32ELi8ELc67ELc78ELc76ELb0ELb0EdPKdS1_PdEviT_T9_T10_S3_lS5_S3_lS4_T11_S3_li.uses_flat_scratch, 0
	.set _ZL29rocblas_internal_gemmt_kernelIiLi16ELi32ELi8ELc67ELc78ELc76ELb0ELb0EdPKdS1_PdEviT_T9_T10_S3_lS5_S3_lS4_T11_S3_li.has_dyn_sized_stack, 0
	.set _ZL29rocblas_internal_gemmt_kernelIiLi16ELi32ELi8ELc67ELc78ELc76ELb0ELb0EdPKdS1_PdEviT_T9_T10_S3_lS5_S3_lS4_T11_S3_li.has_recursion, 0
	.set _ZL29rocblas_internal_gemmt_kernelIiLi16ELi32ELi8ELc67ELc78ELc76ELb0ELb0EdPKdS1_PdEviT_T9_T10_S3_lS5_S3_lS4_T11_S3_li.has_indirect_call, 0
	.section	.AMDGPU.csdata,"",@progbits
; Kernel info:
; codeLenInByte = 1664
; TotalNumSgprs: 36
; NumVgprs: 50
; ScratchSize: 0
; MemoryBound: 0
; FloatMode: 240
; IeeeMode: 1
; LDSByteSize: 4096 bytes/workgroup (compile time only)
; SGPRBlocks: 0
; VGPRBlocks: 3
; NumSGPRsForWavesPerEU: 36
; NumVGPRsForWavesPerEU: 50
; NamedBarCnt: 0
; Occupancy: 16
; WaveLimiterHint : 0
; COMPUTE_PGM_RSRC2:SCRATCH_EN: 0
; COMPUTE_PGM_RSRC2:USER_SGPR: 2
; COMPUTE_PGM_RSRC2:TRAP_HANDLER: 0
; COMPUTE_PGM_RSRC2:TGID_X_EN: 1
; COMPUTE_PGM_RSRC2:TGID_Y_EN: 1
; COMPUTE_PGM_RSRC2:TGID_Z_EN: 1
; COMPUTE_PGM_RSRC2:TIDIG_COMP_CNT: 1
	.section	.text._ZL29rocblas_internal_gemmt_kernelIiLi16ELi32ELi8ELc67ELc84ELc76ELb0ELb0EdPKdS1_PdEviT_T9_T10_S3_lS5_S3_lS4_T11_S3_li,"axG",@progbits,_ZL29rocblas_internal_gemmt_kernelIiLi16ELi32ELi8ELc67ELc84ELc76ELb0ELb0EdPKdS1_PdEviT_T9_T10_S3_lS5_S3_lS4_T11_S3_li,comdat
	.globl	_ZL29rocblas_internal_gemmt_kernelIiLi16ELi32ELi8ELc67ELc84ELc76ELb0ELb0EdPKdS1_PdEviT_T9_T10_S3_lS5_S3_lS4_T11_S3_li ; -- Begin function _ZL29rocblas_internal_gemmt_kernelIiLi16ELi32ELi8ELc67ELc84ELc76ELb0ELb0EdPKdS1_PdEviT_T9_T10_S3_lS5_S3_lS4_T11_S3_li
	.p2align	8
	.type	_ZL29rocblas_internal_gemmt_kernelIiLi16ELi32ELi8ELc67ELc84ELc76ELb0ELb0EdPKdS1_PdEviT_T9_T10_S3_lS5_S3_lS4_T11_S3_li,@function
_ZL29rocblas_internal_gemmt_kernelIiLi16ELi32ELi8ELc67ELc84ELc76ELb0ELb0EdPKdS1_PdEviT_T9_T10_S3_lS5_S3_lS4_T11_S3_li: ; @_ZL29rocblas_internal_gemmt_kernelIiLi16ELi32ELi8ELc67ELc84ELc76ELb0ELb0EdPKdS1_PdEviT_T9_T10_S3_lS5_S3_lS4_T11_S3_li
; %bb.0:
	s_load_b128 s[8:11], s[0:1], 0x38
	s_wait_kmcnt 0x0
	s_load_b64 s[20:21], s[10:11], 0x0
	s_load_b128 s[4:7], s[0:1], 0x8
	s_wait_xcnt 0x0
	s_load_b64 s[10:11], s[0:1], 0x0
	s_wait_kmcnt 0x0
	s_load_b64 s[22:23], s[4:5], 0x0
	v_cmp_neq_f64_e64 s2, s[20:21], 1.0
	s_and_b32 vcc_lo, exec_lo, s2
	s_cbranch_vccnz .LBB52_2
; %bb.1:
	s_wait_kmcnt 0x0
	v_cmp_neq_f64_e64 s2, s[22:23], 0
	s_cmp_lg_u32 s11, 0
	s_cselect_b32 s3, -1, 0
	s_delay_alu instid0(SALU_CYCLE_1)
	s_and_b32 s2, s3, s2
.LBB52_2:
	s_delay_alu instid0(SALU_CYCLE_1)
	s_and_not1_b32 vcc_lo, exec_lo, s2
	s_cbranch_vccnz .LBB52_33
; %bb.3:
	s_load_b32 s19, s[0:1], 0x60
	s_bfe_u32 s2, ttmp6, 0x40014
	s_lshr_b32 s3, ttmp7, 16
	s_add_co_i32 s2, s2, 1
	s_wait_xcnt 0x0
	s_bfe_u32 s5, ttmp6, 0x40008
	s_mul_i32 s2, s3, s2
	s_getreg_b32 s4, hwreg(HW_REG_IB_STS2, 6, 4)
	s_add_co_i32 s5, s5, s2
	s_cmp_eq_u32 s4, 0
	s_mov_b32 s25, 0
	s_cselect_b32 s24, s3, s5
	s_wait_kmcnt 0x0
	s_cmp_ge_u32 s24, s19
	s_cbranch_scc1 .LBB52_33
; %bb.4:
	s_clause 0x3
	s_load_b32 s2, s[0:1], 0x18
	s_load_b32 s28, s[0:1], 0x30
	s_load_b96 s[16:18], s[0:1], 0x48
	s_load_b128 s[12:15], s[0:1], 0x20
	v_and_b32_e32 v9, 0x3ff, v0
	v_bfe_u32 v10, v0, 10, 10
	s_load_b64 s[26:27], s[0:1], 0x58
	s_wait_xcnt 0x0
	s_bfe_u32 s1, ttmp6, 0x4000c
	s_bfe_u32 s3, ttmp6, 0x40010
	s_and_b32 s30, ttmp7, 0xffff
	s_add_co_i32 s1, s1, 1
	s_add_co_i32 s3, s3, 1
	v_lshl_add_u32 v1, v10, 4, v9
	s_and_b32 s0, ttmp6, 15
	s_mul_i32 s1, ttmp9, s1
	s_mul_i32 s31, s30, s3
	s_bfe_u32 s33, ttmp6, 0x40004
	s_add_co_i32 s0, s0, s1
	s_add_co_i32 s33, s33, s31
	v_dual_lshrrev_b32 v5, 3, v1 :: v_dual_bitop2_b32 v4, 31, v1 bitop3:0x40
	s_wait_kmcnt 0x0
	s_ashr_i32 s3, s2, 31
	s_ashr_i32 s29, s28, 31
	;; [unrolled: 1-line block ×3, first 2 shown]
	s_cmp_eq_u32 s4, 0
	v_dual_lshrrev_b32 v30, 5, v1 :: v_dual_bitop2_b32 v0, 7, v0 bitop3:0x40
	s_cselect_b32 s0, ttmp9, s0
	s_cselect_b32 s1, s30, s33
	s_lshl_b32 s30, s0, 5
	s_delay_alu instid0(SALU_CYCLE_1) | instskip(SKIP_2) | instid1(VALU_DEP_1)
	v_dual_mov_b32 v11, 0 :: v_dual_bitop2_b32 v2, s30, v4 bitop3:0x54
	s_lshl_b32 s0, s1, 5
	s_mov_b32 s4, s18
	v_dual_mov_b32 v1, v11 :: v_dual_add_nc_u32 v12, s0, v5
	v_add_nc_u32_e32 v14, s0, v10
	v_ashrrev_i32_e32 v3, 31, v2
	v_cmp_neq_f64_e64 s34, s[22:23], 0
	v_cmp_gt_i32_e64 s0, s10, v2
	v_mul_u64_e32 v[18:19], s[28:29], v[0:1]
	v_dual_add_nc_u32 v20, 16, v14 :: v_dual_lshlrev_b32 v1, 3, v0
	v_mul_u64_e32 v[16:17], s[2:3], v[2:3]
	v_dual_lshlrev_b32 v3, 3, v4 :: v_dual_ashrrev_i32 v15, 31, v14
	s_delay_alu instid0(VALU_DEP_3) | instskip(NEXT) | instid1(VALU_DEP_4)
	v_dual_ashrrev_i32 v21, 31, v20 :: v_dual_add_nc_u32 v2, s30, v9
	v_lshl_or_b32 v8, v5, 6, v1
	v_cmp_neq_f64_e64 s18, s[20:21], 0
	s_delay_alu instid0(VALU_DEP_4) | instskip(NEXT) | instid1(VALU_DEP_4)
	v_mul_u64_e32 v[4:5], s[4:5], v[14:15]
	v_mul_u64_e32 v[6:7], s[4:5], v[20:21]
	v_ashrrev_i32_e32 v13, 31, v12
	v_cmp_gt_i32_e64 s1, s10, v12
	v_add_nc_u32_e32 v31, 0x800, v8
	v_dual_add_nc_u32 v8, 16, v2 :: v_dual_lshlrev_b32 v32, 3, v9
	s_delay_alu instid0(VALU_DEP_4)
	v_lshlrev_b64_e32 v[12:13], 3, v[12:13]
	v_lshl_add_u32 v33, v10, 6, 0x800
	v_lshlrev_b32_e32 v10, 3, v30
	v_cmp_le_i32_e32 vcc_lo, v14, v2
	v_cmp_gt_i32_e64 s2, s10, v2
	v_cmp_le_i32_e64 s3, v14, v8
	v_cmp_gt_i32_e64 s4, s10, v8
	s_cmp_gt_i32 s11, 0
	v_lshl_or_b32 v1, v30, 8, v3
	s_cselect_b32 s35, -1, 0
	s_and_b32 s10, vcc_lo, s2
	s_and_b32 s30, s3, s4
	v_cmp_le_i32_e32 vcc_lo, v20, v2
	v_cmp_le_i32_e64 s3, v20, v8
	v_dual_ashrrev_i32 v3, 31, v2 :: v_dual_ashrrev_i32 v9, 31, v8
	v_lshl_add_u64 v[12:13], v[18:19], 3, v[12:13]
	s_and_b32 s31, vcc_lo, s2
	v_lshl_add_u64 v[10:11], v[16:17], 3, v[10:11]
	s_and_b32 s33, s3, s4
	s_lshl_b64 s[2:3], s[12:13], 3
	v_add_nc_u64_e32 v[12:13], s[14:15], v[12:13]
	s_and_b32 s14, s34, s35
	v_add_nc_u64_e32 v[10:11], s[6:7], v[10:11]
	s_lshl_b64 s[4:5], s[8:9], 3
	s_lshl_b64 s[6:7], s[28:29], 6
	s_branch .LBB52_6
.LBB52_5:                               ;   in Loop: Header=BB52_6 Depth=1
	s_wait_xcnt 0x0
	s_or_b32 exec_lo, exec_lo, s8
	s_add_co_i32 s24, s24, 0x10000
	s_delay_alu instid0(SALU_CYCLE_1)
	s_cmp_lt_u32 s24, s19
	s_cbranch_scc0 .LBB52_33
.LBB52_6:                               ; =>This Loop Header: Depth=1
                                        ;     Child Loop BB52_9 Depth 2
	v_mov_b64_e32 v[20:21], 0
	v_mov_b64_e32 v[18:19], 0
	v_mov_b64_e32 v[16:17], 0
	v_mov_b64_e32 v[14:15], 0
	s_and_not1_b32 vcc_lo, exec_lo, s14
	s_cbranch_vccnz .LBB52_13
; %bb.7:                                ;   in Loop: Header=BB52_6 Depth=1
	v_mad_nc_u64_u32 v[22:23], s2, s24, v[10:11]
	v_mad_nc_u64_u32 v[24:25], s4, s24, v[12:13]
	v_mov_b64_e32 v[14:15], 0
	v_mov_b64_e32 v[16:17], 0
	;; [unrolled: 1-line block ×4, first 2 shown]
	s_mov_b32 s8, 0
	v_mad_u32 v23, s3, s24, v23
	v_mad_u32 v25, s5, s24, v25
	s_branch .LBB52_9
.LBB52_8:                               ;   in Loop: Header=BB52_9 Depth=2
	s_wait_xcnt 0x0
	s_or_b32 exec_lo, exec_lo, s9
	s_wait_loadcnt 0x0
	ds_store_b64 v31, v[28:29]
	s_wait_dscnt 0x0
	s_barrier_signal -1
	s_barrier_wait -1
	ds_load_b128 v[26:29], v33
	ds_load_2addr_b64 v[34:37], v32 offset1:16
	ds_load_b128 v[38:41], v33 offset:1024
	ds_load_b128 v[42:45], v33 offset:16
	;; [unrolled: 1-line block ×3, first 2 shown]
	v_add_nc_u64_e32 v[22:23], 64, v[22:23]
	v_add_nc_u64_e32 v[24:25], s[6:7], v[24:25]
	s_add_co_i32 s8, s8, 8
	s_delay_alu instid0(SALU_CYCLE_1)
	s_cmp_lt_i32 s8, s11
	s_wait_dscnt 0x3
	v_fmac_f64_e32 v[20:21], v[34:35], v[26:27]
	v_fmac_f64_e32 v[18:19], v[36:37], v[26:27]
	s_wait_dscnt 0x2
	v_fmac_f64_e32 v[16:17], v[34:35], v[38:39]
	v_fmac_f64_e32 v[14:15], v[36:37], v[38:39]
	ds_load_2addr_b64 v[34:37], v32 offset0:32 offset1:48
	s_wait_dscnt 0x0
	v_fmac_f64_e32 v[20:21], v[34:35], v[28:29]
	v_fmac_f64_e32 v[18:19], v[36:37], v[28:29]
	v_fmac_f64_e32 v[16:17], v[34:35], v[40:41]
	v_fmac_f64_e32 v[14:15], v[36:37], v[40:41]
	ds_load_2addr_b64 v[26:29], v32 offset0:64 offset1:80
	s_wait_dscnt 0x0
	v_fmac_f64_e32 v[20:21], v[26:27], v[42:43]
	v_fmac_f64_e32 v[18:19], v[28:29], v[42:43]
	;; [unrolled: 6-line block ×3, first 2 shown]
	v_fmac_f64_e32 v[16:17], v[26:27], v[48:49]
	v_fmac_f64_e32 v[14:15], v[28:29], v[48:49]
	ds_load_b128 v[26:29], v33 offset:32
	ds_load_2addr_b64 v[34:37], v32 offset0:128 offset1:144
	ds_load_b128 v[38:41], v33 offset:1056
	ds_load_b128 v[42:45], v33 offset:48
	;; [unrolled: 1-line block ×3, first 2 shown]
	s_wait_dscnt 0x3
	v_fmac_f64_e32 v[20:21], v[34:35], v[26:27]
	v_fmac_f64_e32 v[18:19], v[36:37], v[26:27]
	s_wait_dscnt 0x2
	v_fmac_f64_e32 v[16:17], v[34:35], v[38:39]
	v_fmac_f64_e32 v[14:15], v[36:37], v[38:39]
	ds_load_2addr_b64 v[34:37], v32 offset0:160 offset1:176
	s_wait_dscnt 0x0
	v_fmac_f64_e32 v[20:21], v[34:35], v[28:29]
	v_fmac_f64_e32 v[18:19], v[36:37], v[28:29]
	;; [unrolled: 1-line block ×4, first 2 shown]
	ds_load_2addr_b64 v[26:29], v32 offset0:192 offset1:208
	s_wait_dscnt 0x0
	v_fmac_f64_e32 v[20:21], v[26:27], v[42:43]
	v_fmac_f64_e32 v[18:19], v[28:29], v[42:43]
	;; [unrolled: 1-line block ×4, first 2 shown]
	ds_load_2addr_b64 v[26:29], v32 offset0:224 offset1:240
	s_wait_dscnt 0x0
	s_barrier_signal -1
	s_barrier_wait -1
	v_fmac_f64_e32 v[20:21], v[26:27], v[44:45]
	v_fmac_f64_e32 v[18:19], v[28:29], v[44:45]
	;; [unrolled: 1-line block ×4, first 2 shown]
	s_cbranch_scc0 .LBB52_13
.LBB52_9:                               ;   Parent Loop BB52_6 Depth=1
                                        ; =>  This Inner Loop Header: Depth=2
	v_add_nc_u32_e32 v26, s8, v30
	s_delay_alu instid0(VALU_DEP_1) | instskip(SKIP_2) | instid1(SALU_CYCLE_1)
	v_cmp_gt_i32_e32 vcc_lo, s11, v26
	v_mov_b64_e32 v[26:27], 0
	s_and_b32 s12, s0, vcc_lo
	s_and_saveexec_b32 s9, s12
	s_cbranch_execz .LBB52_11
; %bb.10:                               ;   in Loop: Header=BB52_9 Depth=2
	global_load_b64 v[26:27], v[22:23], off
.LBB52_11:                              ;   in Loop: Header=BB52_9 Depth=2
	s_wait_xcnt 0x0
	s_or_b32 exec_lo, exec_lo, s9
	v_add_nc_u32_e32 v28, s8, v0
	s_wait_loadcnt 0x0
	ds_store_b64 v1, v[26:27]
	v_cmp_gt_i32_e32 vcc_lo, s11, v28
	v_mov_b64_e32 v[28:29], 0
	s_and_b32 s12, vcc_lo, s1
	s_delay_alu instid0(SALU_CYCLE_1)
	s_and_saveexec_b32 s9, s12
	s_cbranch_execz .LBB52_8
; %bb.12:                               ;   in Loop: Header=BB52_9 Depth=2
	global_load_b64 v[28:29], v[24:25], off
	s_branch .LBB52_8
.LBB52_13:                              ;   in Loop: Header=BB52_6 Depth=1
	s_mul_u64 s[8:9], s[26:27], s[24:25]
	s_delay_alu instid0(SALU_CYCLE_1) | instskip(NEXT) | instid1(SALU_CYCLE_1)
	s_lshl_b64 s[8:9], s[8:9], 3
	s_add_nc_u64 s[8:9], s[16:17], s[8:9]
	s_delay_alu instid0(SALU_CYCLE_1)
	v_lshl_add_u64 v[22:23], v[4:5], 3, s[8:9]
	s_and_saveexec_b32 s12, s10
	s_cbranch_execz .LBB52_17
; %bb.14:                               ;   in Loop: Header=BB52_6 Depth=1
	v_mul_f64_e32 v[20:21], s[22:23], v[20:21]
	s_delay_alu instid0(VALU_DEP_2)
	v_lshl_add_u64 v[24:25], v[2:3], 3, v[22:23]
	s_and_b32 vcc_lo, exec_lo, s18
	s_cbranch_vccz .LBB52_28
; %bb.15:                               ;   in Loop: Header=BB52_6 Depth=1
	global_load_b64 v[26:27], v[24:25], off
	s_wait_loadcnt 0x0
	v_fma_f64 v[26:27], s[20:21], v[26:27], v[20:21]
	global_store_b64 v[24:25], v[26:27], off
	s_cbranch_execnz .LBB52_17
.LBB52_16:                              ;   in Loop: Header=BB52_6 Depth=1
	global_store_b64 v[24:25], v[20:21], off
.LBB52_17:                              ;   in Loop: Header=BB52_6 Depth=1
	s_wait_xcnt 0x0
	s_or_b32 exec_lo, exec_lo, s12
	s_and_saveexec_b32 s12, s30
	s_cbranch_execz .LBB52_21
; %bb.18:                               ;   in Loop: Header=BB52_6 Depth=1
	s_delay_alu instid0(VALU_DEP_4)
	v_mul_f64_e32 v[18:19], s[22:23], v[18:19]
	v_lshl_add_u64 v[20:21], v[8:9], 3, v[22:23]
	s_and_not1_b32 vcc_lo, exec_lo, s18
	s_cbranch_vccnz .LBB52_29
; %bb.19:                               ;   in Loop: Header=BB52_6 Depth=1
	global_load_b64 v[22:23], v[20:21], off
	s_wait_loadcnt 0x0
	v_fma_f64 v[22:23], s[20:21], v[22:23], v[18:19]
	global_store_b64 v[20:21], v[22:23], off
	s_cbranch_execnz .LBB52_21
.LBB52_20:                              ;   in Loop: Header=BB52_6 Depth=1
	global_store_b64 v[20:21], v[18:19], off
.LBB52_21:                              ;   in Loop: Header=BB52_6 Depth=1
	s_wait_xcnt 0x0
	s_or_b32 exec_lo, exec_lo, s12
	v_lshl_add_u64 v[18:19], v[6:7], 3, s[8:9]
	s_and_saveexec_b32 s8, s31
	s_cbranch_execz .LBB52_25
; %bb.22:                               ;   in Loop: Header=BB52_6 Depth=1
	s_delay_alu instid0(VALU_DEP_4) | instskip(NEXT) | instid1(VALU_DEP_2)
	v_mul_f64_e32 v[16:17], s[22:23], v[16:17]
	v_lshl_add_u64 v[20:21], v[2:3], 3, v[18:19]
	s_and_not1_b32 vcc_lo, exec_lo, s18
	s_cbranch_vccnz .LBB52_30
; %bb.23:                               ;   in Loop: Header=BB52_6 Depth=1
	global_load_b64 v[22:23], v[20:21], off
	s_wait_loadcnt 0x0
	v_fma_f64 v[22:23], s[20:21], v[22:23], v[16:17]
	global_store_b64 v[20:21], v[22:23], off
	s_cbranch_execnz .LBB52_25
.LBB52_24:                              ;   in Loop: Header=BB52_6 Depth=1
	global_store_b64 v[20:21], v[16:17], off
.LBB52_25:                              ;   in Loop: Header=BB52_6 Depth=1
	s_wait_xcnt 0x0
	s_or_b32 exec_lo, exec_lo, s8
	s_and_saveexec_b32 s8, s33
	s_cbranch_execz .LBB52_5
; %bb.26:                               ;   in Loop: Header=BB52_6 Depth=1
	s_delay_alu instid0(VALU_DEP_3)
	v_mul_f64_e32 v[14:15], s[22:23], v[14:15]
	v_lshl_add_u64 v[16:17], v[8:9], 3, v[18:19]
	s_and_not1_b32 vcc_lo, exec_lo, s18
	s_cbranch_vccnz .LBB52_31
; %bb.27:                               ;   in Loop: Header=BB52_6 Depth=1
	global_load_b64 v[18:19], v[16:17], off
	s_wait_loadcnt 0x0
	v_fma_f64 v[18:19], s[20:21], v[18:19], v[14:15]
	global_store_b64 v[16:17], v[18:19], off
	s_cbranch_execnz .LBB52_5
	s_branch .LBB52_32
.LBB52_28:                              ;   in Loop: Header=BB52_6 Depth=1
	s_branch .LBB52_16
.LBB52_29:                              ;   in Loop: Header=BB52_6 Depth=1
	s_branch .LBB52_20
.LBB52_30:                              ;   in Loop: Header=BB52_6 Depth=1
	s_branch .LBB52_24
.LBB52_31:                              ;   in Loop: Header=BB52_6 Depth=1
.LBB52_32:                              ;   in Loop: Header=BB52_6 Depth=1
	global_store_b64 v[16:17], v[14:15], off
	s_branch .LBB52_5
.LBB52_33:
	s_endpgm
	.section	.rodata,"a",@progbits
	.p2align	6, 0x0
	.amdhsa_kernel _ZL29rocblas_internal_gemmt_kernelIiLi16ELi32ELi8ELc67ELc84ELc76ELb0ELb0EdPKdS1_PdEviT_T9_T10_S3_lS5_S3_lS4_T11_S3_li
		.amdhsa_group_segment_fixed_size 4096
		.amdhsa_private_segment_fixed_size 0
		.amdhsa_kernarg_size 100
		.amdhsa_user_sgpr_count 2
		.amdhsa_user_sgpr_dispatch_ptr 0
		.amdhsa_user_sgpr_queue_ptr 0
		.amdhsa_user_sgpr_kernarg_segment_ptr 1
		.amdhsa_user_sgpr_dispatch_id 0
		.amdhsa_user_sgpr_kernarg_preload_length 0
		.amdhsa_user_sgpr_kernarg_preload_offset 0
		.amdhsa_user_sgpr_private_segment_size 0
		.amdhsa_wavefront_size32 1
		.amdhsa_uses_dynamic_stack 0
		.amdhsa_enable_private_segment 0
		.amdhsa_system_sgpr_workgroup_id_x 1
		.amdhsa_system_sgpr_workgroup_id_y 1
		.amdhsa_system_sgpr_workgroup_id_z 1
		.amdhsa_system_sgpr_workgroup_info 0
		.amdhsa_system_vgpr_workitem_id 1
		.amdhsa_next_free_vgpr 50
		.amdhsa_next_free_sgpr 36
		.amdhsa_named_barrier_count 0
		.amdhsa_reserve_vcc 1
		.amdhsa_float_round_mode_32 0
		.amdhsa_float_round_mode_16_64 0
		.amdhsa_float_denorm_mode_32 3
		.amdhsa_float_denorm_mode_16_64 3
		.amdhsa_fp16_overflow 0
		.amdhsa_memory_ordered 1
		.amdhsa_forward_progress 1
		.amdhsa_inst_pref_size 14
		.amdhsa_round_robin_scheduling 0
		.amdhsa_exception_fp_ieee_invalid_op 0
		.amdhsa_exception_fp_denorm_src 0
		.amdhsa_exception_fp_ieee_div_zero 0
		.amdhsa_exception_fp_ieee_overflow 0
		.amdhsa_exception_fp_ieee_underflow 0
		.amdhsa_exception_fp_ieee_inexact 0
		.amdhsa_exception_int_div_zero 0
	.end_amdhsa_kernel
	.section	.text._ZL29rocblas_internal_gemmt_kernelIiLi16ELi32ELi8ELc67ELc84ELc76ELb0ELb0EdPKdS1_PdEviT_T9_T10_S3_lS5_S3_lS4_T11_S3_li,"axG",@progbits,_ZL29rocblas_internal_gemmt_kernelIiLi16ELi32ELi8ELc67ELc84ELc76ELb0ELb0EdPKdS1_PdEviT_T9_T10_S3_lS5_S3_lS4_T11_S3_li,comdat
.Lfunc_end52:
	.size	_ZL29rocblas_internal_gemmt_kernelIiLi16ELi32ELi8ELc67ELc84ELc76ELb0ELb0EdPKdS1_PdEviT_T9_T10_S3_lS5_S3_lS4_T11_S3_li, .Lfunc_end52-_ZL29rocblas_internal_gemmt_kernelIiLi16ELi32ELi8ELc67ELc84ELc76ELb0ELb0EdPKdS1_PdEviT_T9_T10_S3_lS5_S3_lS4_T11_S3_li
                                        ; -- End function
	.set _ZL29rocblas_internal_gemmt_kernelIiLi16ELi32ELi8ELc67ELc84ELc76ELb0ELb0EdPKdS1_PdEviT_T9_T10_S3_lS5_S3_lS4_T11_S3_li.num_vgpr, 50
	.set _ZL29rocblas_internal_gemmt_kernelIiLi16ELi32ELi8ELc67ELc84ELc76ELb0ELb0EdPKdS1_PdEviT_T9_T10_S3_lS5_S3_lS4_T11_S3_li.num_agpr, 0
	.set _ZL29rocblas_internal_gemmt_kernelIiLi16ELi32ELi8ELc67ELc84ELc76ELb0ELb0EdPKdS1_PdEviT_T9_T10_S3_lS5_S3_lS4_T11_S3_li.numbered_sgpr, 36
	.set _ZL29rocblas_internal_gemmt_kernelIiLi16ELi32ELi8ELc67ELc84ELc76ELb0ELb0EdPKdS1_PdEviT_T9_T10_S3_lS5_S3_lS4_T11_S3_li.num_named_barrier, 0
	.set _ZL29rocblas_internal_gemmt_kernelIiLi16ELi32ELi8ELc67ELc84ELc76ELb0ELb0EdPKdS1_PdEviT_T9_T10_S3_lS5_S3_lS4_T11_S3_li.private_seg_size, 0
	.set _ZL29rocblas_internal_gemmt_kernelIiLi16ELi32ELi8ELc67ELc84ELc76ELb0ELb0EdPKdS1_PdEviT_T9_T10_S3_lS5_S3_lS4_T11_S3_li.uses_vcc, 1
	.set _ZL29rocblas_internal_gemmt_kernelIiLi16ELi32ELi8ELc67ELc84ELc76ELb0ELb0EdPKdS1_PdEviT_T9_T10_S3_lS5_S3_lS4_T11_S3_li.uses_flat_scratch, 0
	.set _ZL29rocblas_internal_gemmt_kernelIiLi16ELi32ELi8ELc67ELc84ELc76ELb0ELb0EdPKdS1_PdEviT_T9_T10_S3_lS5_S3_lS4_T11_S3_li.has_dyn_sized_stack, 0
	.set _ZL29rocblas_internal_gemmt_kernelIiLi16ELi32ELi8ELc67ELc84ELc76ELb0ELb0EdPKdS1_PdEviT_T9_T10_S3_lS5_S3_lS4_T11_S3_li.has_recursion, 0
	.set _ZL29rocblas_internal_gemmt_kernelIiLi16ELi32ELi8ELc67ELc84ELc76ELb0ELb0EdPKdS1_PdEviT_T9_T10_S3_lS5_S3_lS4_T11_S3_li.has_indirect_call, 0
	.section	.AMDGPU.csdata,"",@progbits
; Kernel info:
; codeLenInByte = 1676
; TotalNumSgprs: 38
; NumVgprs: 50
; ScratchSize: 0
; MemoryBound: 0
; FloatMode: 240
; IeeeMode: 1
; LDSByteSize: 4096 bytes/workgroup (compile time only)
; SGPRBlocks: 0
; VGPRBlocks: 3
; NumSGPRsForWavesPerEU: 38
; NumVGPRsForWavesPerEU: 50
; NamedBarCnt: 0
; Occupancy: 16
; WaveLimiterHint : 0
; COMPUTE_PGM_RSRC2:SCRATCH_EN: 0
; COMPUTE_PGM_RSRC2:USER_SGPR: 2
; COMPUTE_PGM_RSRC2:TRAP_HANDLER: 0
; COMPUTE_PGM_RSRC2:TGID_X_EN: 1
; COMPUTE_PGM_RSRC2:TGID_Y_EN: 1
; COMPUTE_PGM_RSRC2:TGID_Z_EN: 1
; COMPUTE_PGM_RSRC2:TIDIG_COMP_CNT: 1
	.section	.text._ZL29rocblas_internal_gemmt_kernelIiLi16ELi32ELi8ELc67ELc67ELc76ELb0ELb0EdPKdS1_PdEviT_T9_T10_S3_lS5_S3_lS4_T11_S3_li,"axG",@progbits,_ZL29rocblas_internal_gemmt_kernelIiLi16ELi32ELi8ELc67ELc67ELc76ELb0ELb0EdPKdS1_PdEviT_T9_T10_S3_lS5_S3_lS4_T11_S3_li,comdat
	.globl	_ZL29rocblas_internal_gemmt_kernelIiLi16ELi32ELi8ELc67ELc67ELc76ELb0ELb0EdPKdS1_PdEviT_T9_T10_S3_lS5_S3_lS4_T11_S3_li ; -- Begin function _ZL29rocblas_internal_gemmt_kernelIiLi16ELi32ELi8ELc67ELc67ELc76ELb0ELb0EdPKdS1_PdEviT_T9_T10_S3_lS5_S3_lS4_T11_S3_li
	.p2align	8
	.type	_ZL29rocblas_internal_gemmt_kernelIiLi16ELi32ELi8ELc67ELc67ELc76ELb0ELb0EdPKdS1_PdEviT_T9_T10_S3_lS5_S3_lS4_T11_S3_li,@function
_ZL29rocblas_internal_gemmt_kernelIiLi16ELi32ELi8ELc67ELc67ELc76ELb0ELb0EdPKdS1_PdEviT_T9_T10_S3_lS5_S3_lS4_T11_S3_li: ; @_ZL29rocblas_internal_gemmt_kernelIiLi16ELi32ELi8ELc67ELc67ELc76ELb0ELb0EdPKdS1_PdEviT_T9_T10_S3_lS5_S3_lS4_T11_S3_li
; %bb.0:
	s_load_b128 s[8:11], s[0:1], 0x38
	s_wait_kmcnt 0x0
	s_load_b64 s[20:21], s[10:11], 0x0
	s_load_b128 s[4:7], s[0:1], 0x8
	s_wait_xcnt 0x0
	s_load_b64 s[10:11], s[0:1], 0x0
	s_wait_kmcnt 0x0
	s_load_b64 s[22:23], s[4:5], 0x0
	v_cmp_neq_f64_e64 s2, s[20:21], 1.0
	s_and_b32 vcc_lo, exec_lo, s2
	s_cbranch_vccnz .LBB53_2
; %bb.1:
	s_wait_kmcnt 0x0
	v_cmp_neq_f64_e64 s2, s[22:23], 0
	s_cmp_lg_u32 s11, 0
	s_cselect_b32 s3, -1, 0
	s_delay_alu instid0(SALU_CYCLE_1)
	s_and_b32 s2, s3, s2
.LBB53_2:
	s_delay_alu instid0(SALU_CYCLE_1)
	s_and_not1_b32 vcc_lo, exec_lo, s2
	s_cbranch_vccnz .LBB53_33
; %bb.3:
	s_load_b32 s19, s[0:1], 0x60
	s_bfe_u32 s2, ttmp6, 0x40014
	s_lshr_b32 s3, ttmp7, 16
	s_add_co_i32 s2, s2, 1
	s_wait_xcnt 0x0
	s_bfe_u32 s5, ttmp6, 0x40008
	s_mul_i32 s2, s3, s2
	s_getreg_b32 s4, hwreg(HW_REG_IB_STS2, 6, 4)
	s_add_co_i32 s5, s5, s2
	s_cmp_eq_u32 s4, 0
	s_mov_b32 s25, 0
	s_cselect_b32 s24, s3, s5
	s_wait_kmcnt 0x0
	s_cmp_ge_u32 s24, s19
	s_cbranch_scc1 .LBB53_33
; %bb.4:
	s_clause 0x3
	s_load_b32 s2, s[0:1], 0x18
	s_load_b32 s28, s[0:1], 0x30
	s_load_b96 s[16:18], s[0:1], 0x48
	s_load_b128 s[12:15], s[0:1], 0x20
	v_and_b32_e32 v9, 0x3ff, v0
	v_bfe_u32 v10, v0, 10, 10
	s_load_b64 s[26:27], s[0:1], 0x58
	s_wait_xcnt 0x0
	s_bfe_u32 s1, ttmp6, 0x4000c
	s_bfe_u32 s3, ttmp6, 0x40010
	s_and_b32 s30, ttmp7, 0xffff
	s_add_co_i32 s1, s1, 1
	s_add_co_i32 s3, s3, 1
	v_lshl_add_u32 v1, v10, 4, v9
	s_and_b32 s0, ttmp6, 15
	s_mul_i32 s1, ttmp9, s1
	s_mul_i32 s31, s30, s3
	s_bfe_u32 s33, ttmp6, 0x40004
	s_add_co_i32 s0, s0, s1
	s_add_co_i32 s33, s33, s31
	v_dual_lshrrev_b32 v5, 3, v1 :: v_dual_bitop2_b32 v4, 31, v1 bitop3:0x40
	s_wait_kmcnt 0x0
	s_ashr_i32 s3, s2, 31
	s_ashr_i32 s29, s28, 31
	;; [unrolled: 1-line block ×3, first 2 shown]
	s_cmp_eq_u32 s4, 0
	v_dual_lshrrev_b32 v30, 5, v1 :: v_dual_bitop2_b32 v0, 7, v0 bitop3:0x40
	s_cselect_b32 s0, ttmp9, s0
	s_cselect_b32 s1, s30, s33
	s_lshl_b32 s30, s0, 5
	s_delay_alu instid0(SALU_CYCLE_1) | instskip(SKIP_2) | instid1(VALU_DEP_1)
	v_dual_mov_b32 v11, 0 :: v_dual_bitop2_b32 v2, s30, v4 bitop3:0x54
	s_lshl_b32 s0, s1, 5
	s_mov_b32 s4, s18
	v_dual_mov_b32 v1, v11 :: v_dual_add_nc_u32 v12, s0, v5
	v_add_nc_u32_e32 v14, s0, v10
	v_ashrrev_i32_e32 v3, 31, v2
	v_cmp_neq_f64_e64 s34, s[22:23], 0
	v_cmp_gt_i32_e64 s0, s10, v2
	v_mul_u64_e32 v[18:19], s[28:29], v[0:1]
	v_dual_add_nc_u32 v20, 16, v14 :: v_dual_lshlrev_b32 v1, 3, v0
	v_mul_u64_e32 v[16:17], s[2:3], v[2:3]
	v_dual_lshlrev_b32 v3, 3, v4 :: v_dual_ashrrev_i32 v15, 31, v14
	s_delay_alu instid0(VALU_DEP_3) | instskip(NEXT) | instid1(VALU_DEP_4)
	v_dual_ashrrev_i32 v21, 31, v20 :: v_dual_add_nc_u32 v2, s30, v9
	v_lshl_or_b32 v8, v5, 6, v1
	v_cmp_neq_f64_e64 s18, s[20:21], 0
	s_delay_alu instid0(VALU_DEP_4) | instskip(NEXT) | instid1(VALU_DEP_4)
	v_mul_u64_e32 v[4:5], s[4:5], v[14:15]
	v_mul_u64_e32 v[6:7], s[4:5], v[20:21]
	v_ashrrev_i32_e32 v13, 31, v12
	v_cmp_gt_i32_e64 s1, s10, v12
	v_add_nc_u32_e32 v31, 0x800, v8
	v_dual_add_nc_u32 v8, 16, v2 :: v_dual_lshlrev_b32 v32, 3, v9
	s_delay_alu instid0(VALU_DEP_4)
	v_lshlrev_b64_e32 v[12:13], 3, v[12:13]
	v_lshl_add_u32 v33, v10, 6, 0x800
	v_lshlrev_b32_e32 v10, 3, v30
	v_cmp_le_i32_e32 vcc_lo, v14, v2
	v_cmp_gt_i32_e64 s2, s10, v2
	v_cmp_le_i32_e64 s3, v14, v8
	v_cmp_gt_i32_e64 s4, s10, v8
	s_cmp_gt_i32 s11, 0
	v_lshl_or_b32 v1, v30, 8, v3
	s_cselect_b32 s35, -1, 0
	s_and_b32 s10, vcc_lo, s2
	s_and_b32 s30, s3, s4
	v_cmp_le_i32_e32 vcc_lo, v20, v2
	v_cmp_le_i32_e64 s3, v20, v8
	v_dual_ashrrev_i32 v3, 31, v2 :: v_dual_ashrrev_i32 v9, 31, v8
	v_lshl_add_u64 v[12:13], v[18:19], 3, v[12:13]
	s_and_b32 s31, vcc_lo, s2
	v_lshl_add_u64 v[10:11], v[16:17], 3, v[10:11]
	s_and_b32 s33, s3, s4
	s_lshl_b64 s[2:3], s[12:13], 3
	v_add_nc_u64_e32 v[12:13], s[14:15], v[12:13]
	s_and_b32 s14, s34, s35
	v_add_nc_u64_e32 v[10:11], s[6:7], v[10:11]
	s_lshl_b64 s[4:5], s[8:9], 3
	s_lshl_b64 s[6:7], s[28:29], 6
	s_branch .LBB53_6
.LBB53_5:                               ;   in Loop: Header=BB53_6 Depth=1
	s_wait_xcnt 0x0
	s_or_b32 exec_lo, exec_lo, s8
	s_add_co_i32 s24, s24, 0x10000
	s_delay_alu instid0(SALU_CYCLE_1)
	s_cmp_lt_u32 s24, s19
	s_cbranch_scc0 .LBB53_33
.LBB53_6:                               ; =>This Loop Header: Depth=1
                                        ;     Child Loop BB53_9 Depth 2
	v_mov_b64_e32 v[20:21], 0
	v_mov_b64_e32 v[18:19], 0
	;; [unrolled: 1-line block ×4, first 2 shown]
	s_and_not1_b32 vcc_lo, exec_lo, s14
	s_cbranch_vccnz .LBB53_13
; %bb.7:                                ;   in Loop: Header=BB53_6 Depth=1
	v_mad_nc_u64_u32 v[22:23], s2, s24, v[10:11]
	v_mad_nc_u64_u32 v[24:25], s4, s24, v[12:13]
	v_mov_b64_e32 v[14:15], 0
	v_mov_b64_e32 v[16:17], 0
	;; [unrolled: 1-line block ×4, first 2 shown]
	s_mov_b32 s8, 0
	v_mad_u32 v23, s3, s24, v23
	v_mad_u32 v25, s5, s24, v25
	s_branch .LBB53_9
.LBB53_8:                               ;   in Loop: Header=BB53_9 Depth=2
	s_wait_xcnt 0x0
	s_or_b32 exec_lo, exec_lo, s9
	s_wait_loadcnt 0x0
	ds_store_b64 v31, v[28:29]
	s_wait_dscnt 0x0
	s_barrier_signal -1
	s_barrier_wait -1
	ds_load_b128 v[26:29], v33
	ds_load_2addr_b64 v[34:37], v32 offset1:16
	ds_load_b128 v[38:41], v33 offset:1024
	ds_load_b128 v[42:45], v33 offset:16
	;; [unrolled: 1-line block ×3, first 2 shown]
	v_add_nc_u64_e32 v[22:23], 64, v[22:23]
	v_add_nc_u64_e32 v[24:25], s[6:7], v[24:25]
	s_add_co_i32 s8, s8, 8
	s_delay_alu instid0(SALU_CYCLE_1)
	s_cmp_lt_i32 s8, s11
	s_wait_dscnt 0x3
	v_fmac_f64_e32 v[20:21], v[34:35], v[26:27]
	v_fmac_f64_e32 v[18:19], v[36:37], v[26:27]
	s_wait_dscnt 0x2
	v_fmac_f64_e32 v[16:17], v[34:35], v[38:39]
	v_fmac_f64_e32 v[14:15], v[36:37], v[38:39]
	ds_load_2addr_b64 v[34:37], v32 offset0:32 offset1:48
	s_wait_dscnt 0x0
	v_fmac_f64_e32 v[20:21], v[34:35], v[28:29]
	v_fmac_f64_e32 v[18:19], v[36:37], v[28:29]
	v_fmac_f64_e32 v[16:17], v[34:35], v[40:41]
	v_fmac_f64_e32 v[14:15], v[36:37], v[40:41]
	ds_load_2addr_b64 v[26:29], v32 offset0:64 offset1:80
	s_wait_dscnt 0x0
	v_fmac_f64_e32 v[20:21], v[26:27], v[42:43]
	v_fmac_f64_e32 v[18:19], v[28:29], v[42:43]
	;; [unrolled: 6-line block ×3, first 2 shown]
	v_fmac_f64_e32 v[16:17], v[26:27], v[48:49]
	v_fmac_f64_e32 v[14:15], v[28:29], v[48:49]
	ds_load_b128 v[26:29], v33 offset:32
	ds_load_2addr_b64 v[34:37], v32 offset0:128 offset1:144
	ds_load_b128 v[38:41], v33 offset:1056
	ds_load_b128 v[42:45], v33 offset:48
	;; [unrolled: 1-line block ×3, first 2 shown]
	s_wait_dscnt 0x3
	v_fmac_f64_e32 v[20:21], v[34:35], v[26:27]
	v_fmac_f64_e32 v[18:19], v[36:37], v[26:27]
	s_wait_dscnt 0x2
	v_fmac_f64_e32 v[16:17], v[34:35], v[38:39]
	v_fmac_f64_e32 v[14:15], v[36:37], v[38:39]
	ds_load_2addr_b64 v[34:37], v32 offset0:160 offset1:176
	s_wait_dscnt 0x0
	v_fmac_f64_e32 v[20:21], v[34:35], v[28:29]
	v_fmac_f64_e32 v[18:19], v[36:37], v[28:29]
	;; [unrolled: 1-line block ×4, first 2 shown]
	ds_load_2addr_b64 v[26:29], v32 offset0:192 offset1:208
	s_wait_dscnt 0x0
	v_fmac_f64_e32 v[20:21], v[26:27], v[42:43]
	v_fmac_f64_e32 v[18:19], v[28:29], v[42:43]
	v_fmac_f64_e32 v[16:17], v[26:27], v[46:47]
	v_fmac_f64_e32 v[14:15], v[28:29], v[46:47]
	ds_load_2addr_b64 v[26:29], v32 offset0:224 offset1:240
	s_wait_dscnt 0x0
	s_barrier_signal -1
	s_barrier_wait -1
	v_fmac_f64_e32 v[20:21], v[26:27], v[44:45]
	v_fmac_f64_e32 v[18:19], v[28:29], v[44:45]
	;; [unrolled: 1-line block ×4, first 2 shown]
	s_cbranch_scc0 .LBB53_13
.LBB53_9:                               ;   Parent Loop BB53_6 Depth=1
                                        ; =>  This Inner Loop Header: Depth=2
	v_add_nc_u32_e32 v26, s8, v30
	s_delay_alu instid0(VALU_DEP_1) | instskip(SKIP_2) | instid1(SALU_CYCLE_1)
	v_cmp_gt_i32_e32 vcc_lo, s11, v26
	v_mov_b64_e32 v[26:27], 0
	s_and_b32 s12, s0, vcc_lo
	s_and_saveexec_b32 s9, s12
	s_cbranch_execz .LBB53_11
; %bb.10:                               ;   in Loop: Header=BB53_9 Depth=2
	global_load_b64 v[26:27], v[22:23], off
.LBB53_11:                              ;   in Loop: Header=BB53_9 Depth=2
	s_wait_xcnt 0x0
	s_or_b32 exec_lo, exec_lo, s9
	v_add_nc_u32_e32 v28, s8, v0
	s_wait_loadcnt 0x0
	ds_store_b64 v1, v[26:27]
	v_cmp_gt_i32_e32 vcc_lo, s11, v28
	v_mov_b64_e32 v[28:29], 0
	s_and_b32 s12, vcc_lo, s1
	s_delay_alu instid0(SALU_CYCLE_1)
	s_and_saveexec_b32 s9, s12
	s_cbranch_execz .LBB53_8
; %bb.12:                               ;   in Loop: Header=BB53_9 Depth=2
	global_load_b64 v[28:29], v[24:25], off
	s_branch .LBB53_8
.LBB53_13:                              ;   in Loop: Header=BB53_6 Depth=1
	s_mul_u64 s[8:9], s[26:27], s[24:25]
	s_delay_alu instid0(SALU_CYCLE_1) | instskip(NEXT) | instid1(SALU_CYCLE_1)
	s_lshl_b64 s[8:9], s[8:9], 3
	s_add_nc_u64 s[8:9], s[16:17], s[8:9]
	s_delay_alu instid0(SALU_CYCLE_1)
	v_lshl_add_u64 v[22:23], v[4:5], 3, s[8:9]
	s_and_saveexec_b32 s12, s10
	s_cbranch_execz .LBB53_17
; %bb.14:                               ;   in Loop: Header=BB53_6 Depth=1
	v_mul_f64_e32 v[20:21], s[22:23], v[20:21]
	s_delay_alu instid0(VALU_DEP_2)
	v_lshl_add_u64 v[24:25], v[2:3], 3, v[22:23]
	s_and_b32 vcc_lo, exec_lo, s18
	s_cbranch_vccz .LBB53_28
; %bb.15:                               ;   in Loop: Header=BB53_6 Depth=1
	global_load_b64 v[26:27], v[24:25], off
	s_wait_loadcnt 0x0
	v_fma_f64 v[26:27], s[20:21], v[26:27], v[20:21]
	global_store_b64 v[24:25], v[26:27], off
	s_cbranch_execnz .LBB53_17
.LBB53_16:                              ;   in Loop: Header=BB53_6 Depth=1
	global_store_b64 v[24:25], v[20:21], off
.LBB53_17:                              ;   in Loop: Header=BB53_6 Depth=1
	s_wait_xcnt 0x0
	s_or_b32 exec_lo, exec_lo, s12
	s_and_saveexec_b32 s12, s30
	s_cbranch_execz .LBB53_21
; %bb.18:                               ;   in Loop: Header=BB53_6 Depth=1
	s_delay_alu instid0(VALU_DEP_4)
	v_mul_f64_e32 v[18:19], s[22:23], v[18:19]
	v_lshl_add_u64 v[20:21], v[8:9], 3, v[22:23]
	s_and_not1_b32 vcc_lo, exec_lo, s18
	s_cbranch_vccnz .LBB53_29
; %bb.19:                               ;   in Loop: Header=BB53_6 Depth=1
	global_load_b64 v[22:23], v[20:21], off
	s_wait_loadcnt 0x0
	v_fma_f64 v[22:23], s[20:21], v[22:23], v[18:19]
	global_store_b64 v[20:21], v[22:23], off
	s_cbranch_execnz .LBB53_21
.LBB53_20:                              ;   in Loop: Header=BB53_6 Depth=1
	global_store_b64 v[20:21], v[18:19], off
.LBB53_21:                              ;   in Loop: Header=BB53_6 Depth=1
	s_wait_xcnt 0x0
	s_or_b32 exec_lo, exec_lo, s12
	v_lshl_add_u64 v[18:19], v[6:7], 3, s[8:9]
	s_and_saveexec_b32 s8, s31
	s_cbranch_execz .LBB53_25
; %bb.22:                               ;   in Loop: Header=BB53_6 Depth=1
	s_delay_alu instid0(VALU_DEP_4) | instskip(NEXT) | instid1(VALU_DEP_2)
	v_mul_f64_e32 v[16:17], s[22:23], v[16:17]
	v_lshl_add_u64 v[20:21], v[2:3], 3, v[18:19]
	s_and_not1_b32 vcc_lo, exec_lo, s18
	s_cbranch_vccnz .LBB53_30
; %bb.23:                               ;   in Loop: Header=BB53_6 Depth=1
	global_load_b64 v[22:23], v[20:21], off
	s_wait_loadcnt 0x0
	v_fma_f64 v[22:23], s[20:21], v[22:23], v[16:17]
	global_store_b64 v[20:21], v[22:23], off
	s_cbranch_execnz .LBB53_25
.LBB53_24:                              ;   in Loop: Header=BB53_6 Depth=1
	global_store_b64 v[20:21], v[16:17], off
.LBB53_25:                              ;   in Loop: Header=BB53_6 Depth=1
	s_wait_xcnt 0x0
	s_or_b32 exec_lo, exec_lo, s8
	s_and_saveexec_b32 s8, s33
	s_cbranch_execz .LBB53_5
; %bb.26:                               ;   in Loop: Header=BB53_6 Depth=1
	s_delay_alu instid0(VALU_DEP_3)
	v_mul_f64_e32 v[14:15], s[22:23], v[14:15]
	v_lshl_add_u64 v[16:17], v[8:9], 3, v[18:19]
	s_and_not1_b32 vcc_lo, exec_lo, s18
	s_cbranch_vccnz .LBB53_31
; %bb.27:                               ;   in Loop: Header=BB53_6 Depth=1
	global_load_b64 v[18:19], v[16:17], off
	s_wait_loadcnt 0x0
	v_fma_f64 v[18:19], s[20:21], v[18:19], v[14:15]
	global_store_b64 v[16:17], v[18:19], off
	s_cbranch_execnz .LBB53_5
	s_branch .LBB53_32
.LBB53_28:                              ;   in Loop: Header=BB53_6 Depth=1
	s_branch .LBB53_16
.LBB53_29:                              ;   in Loop: Header=BB53_6 Depth=1
	s_branch .LBB53_20
.LBB53_30:                              ;   in Loop: Header=BB53_6 Depth=1
	s_branch .LBB53_24
.LBB53_31:                              ;   in Loop: Header=BB53_6 Depth=1
.LBB53_32:                              ;   in Loop: Header=BB53_6 Depth=1
	global_store_b64 v[16:17], v[14:15], off
	s_branch .LBB53_5
.LBB53_33:
	s_endpgm
	.section	.rodata,"a",@progbits
	.p2align	6, 0x0
	.amdhsa_kernel _ZL29rocblas_internal_gemmt_kernelIiLi16ELi32ELi8ELc67ELc67ELc76ELb0ELb0EdPKdS1_PdEviT_T9_T10_S3_lS5_S3_lS4_T11_S3_li
		.amdhsa_group_segment_fixed_size 4096
		.amdhsa_private_segment_fixed_size 0
		.amdhsa_kernarg_size 100
		.amdhsa_user_sgpr_count 2
		.amdhsa_user_sgpr_dispatch_ptr 0
		.amdhsa_user_sgpr_queue_ptr 0
		.amdhsa_user_sgpr_kernarg_segment_ptr 1
		.amdhsa_user_sgpr_dispatch_id 0
		.amdhsa_user_sgpr_kernarg_preload_length 0
		.amdhsa_user_sgpr_kernarg_preload_offset 0
		.amdhsa_user_sgpr_private_segment_size 0
		.amdhsa_wavefront_size32 1
		.amdhsa_uses_dynamic_stack 0
		.amdhsa_enable_private_segment 0
		.amdhsa_system_sgpr_workgroup_id_x 1
		.amdhsa_system_sgpr_workgroup_id_y 1
		.amdhsa_system_sgpr_workgroup_id_z 1
		.amdhsa_system_sgpr_workgroup_info 0
		.amdhsa_system_vgpr_workitem_id 1
		.amdhsa_next_free_vgpr 50
		.amdhsa_next_free_sgpr 36
		.amdhsa_named_barrier_count 0
		.amdhsa_reserve_vcc 1
		.amdhsa_float_round_mode_32 0
		.amdhsa_float_round_mode_16_64 0
		.amdhsa_float_denorm_mode_32 3
		.amdhsa_float_denorm_mode_16_64 3
		.amdhsa_fp16_overflow 0
		.amdhsa_memory_ordered 1
		.amdhsa_forward_progress 1
		.amdhsa_inst_pref_size 14
		.amdhsa_round_robin_scheduling 0
		.amdhsa_exception_fp_ieee_invalid_op 0
		.amdhsa_exception_fp_denorm_src 0
		.amdhsa_exception_fp_ieee_div_zero 0
		.amdhsa_exception_fp_ieee_overflow 0
		.amdhsa_exception_fp_ieee_underflow 0
		.amdhsa_exception_fp_ieee_inexact 0
		.amdhsa_exception_int_div_zero 0
	.end_amdhsa_kernel
	.section	.text._ZL29rocblas_internal_gemmt_kernelIiLi16ELi32ELi8ELc67ELc67ELc76ELb0ELb0EdPKdS1_PdEviT_T9_T10_S3_lS5_S3_lS4_T11_S3_li,"axG",@progbits,_ZL29rocblas_internal_gemmt_kernelIiLi16ELi32ELi8ELc67ELc67ELc76ELb0ELb0EdPKdS1_PdEviT_T9_T10_S3_lS5_S3_lS4_T11_S3_li,comdat
.Lfunc_end53:
	.size	_ZL29rocblas_internal_gemmt_kernelIiLi16ELi32ELi8ELc67ELc67ELc76ELb0ELb0EdPKdS1_PdEviT_T9_T10_S3_lS5_S3_lS4_T11_S3_li, .Lfunc_end53-_ZL29rocblas_internal_gemmt_kernelIiLi16ELi32ELi8ELc67ELc67ELc76ELb0ELb0EdPKdS1_PdEviT_T9_T10_S3_lS5_S3_lS4_T11_S3_li
                                        ; -- End function
	.set _ZL29rocblas_internal_gemmt_kernelIiLi16ELi32ELi8ELc67ELc67ELc76ELb0ELb0EdPKdS1_PdEviT_T9_T10_S3_lS5_S3_lS4_T11_S3_li.num_vgpr, 50
	.set _ZL29rocblas_internal_gemmt_kernelIiLi16ELi32ELi8ELc67ELc67ELc76ELb0ELb0EdPKdS1_PdEviT_T9_T10_S3_lS5_S3_lS4_T11_S3_li.num_agpr, 0
	.set _ZL29rocblas_internal_gemmt_kernelIiLi16ELi32ELi8ELc67ELc67ELc76ELb0ELb0EdPKdS1_PdEviT_T9_T10_S3_lS5_S3_lS4_T11_S3_li.numbered_sgpr, 36
	.set _ZL29rocblas_internal_gemmt_kernelIiLi16ELi32ELi8ELc67ELc67ELc76ELb0ELb0EdPKdS1_PdEviT_T9_T10_S3_lS5_S3_lS4_T11_S3_li.num_named_barrier, 0
	.set _ZL29rocblas_internal_gemmt_kernelIiLi16ELi32ELi8ELc67ELc67ELc76ELb0ELb0EdPKdS1_PdEviT_T9_T10_S3_lS5_S3_lS4_T11_S3_li.private_seg_size, 0
	.set _ZL29rocblas_internal_gemmt_kernelIiLi16ELi32ELi8ELc67ELc67ELc76ELb0ELb0EdPKdS1_PdEviT_T9_T10_S3_lS5_S3_lS4_T11_S3_li.uses_vcc, 1
	.set _ZL29rocblas_internal_gemmt_kernelIiLi16ELi32ELi8ELc67ELc67ELc76ELb0ELb0EdPKdS1_PdEviT_T9_T10_S3_lS5_S3_lS4_T11_S3_li.uses_flat_scratch, 0
	.set _ZL29rocblas_internal_gemmt_kernelIiLi16ELi32ELi8ELc67ELc67ELc76ELb0ELb0EdPKdS1_PdEviT_T9_T10_S3_lS5_S3_lS4_T11_S3_li.has_dyn_sized_stack, 0
	.set _ZL29rocblas_internal_gemmt_kernelIiLi16ELi32ELi8ELc67ELc67ELc76ELb0ELb0EdPKdS1_PdEviT_T9_T10_S3_lS5_S3_lS4_T11_S3_li.has_recursion, 0
	.set _ZL29rocblas_internal_gemmt_kernelIiLi16ELi32ELi8ELc67ELc67ELc76ELb0ELb0EdPKdS1_PdEviT_T9_T10_S3_lS5_S3_lS4_T11_S3_li.has_indirect_call, 0
	.section	.AMDGPU.csdata,"",@progbits
; Kernel info:
; codeLenInByte = 1676
; TotalNumSgprs: 38
; NumVgprs: 50
; ScratchSize: 0
; MemoryBound: 0
; FloatMode: 240
; IeeeMode: 1
; LDSByteSize: 4096 bytes/workgroup (compile time only)
; SGPRBlocks: 0
; VGPRBlocks: 3
; NumSGPRsForWavesPerEU: 38
; NumVGPRsForWavesPerEU: 50
; NamedBarCnt: 0
; Occupancy: 16
; WaveLimiterHint : 0
; COMPUTE_PGM_RSRC2:SCRATCH_EN: 0
; COMPUTE_PGM_RSRC2:USER_SGPR: 2
; COMPUTE_PGM_RSRC2:TRAP_HANDLER: 0
; COMPUTE_PGM_RSRC2:TGID_X_EN: 1
; COMPUTE_PGM_RSRC2:TGID_Y_EN: 1
; COMPUTE_PGM_RSRC2:TGID_Z_EN: 1
; COMPUTE_PGM_RSRC2:TIDIG_COMP_CNT: 1
	.section	.text._ZL29rocblas_internal_gemmt_kernelIiLi16ELi32ELi8ELc78ELc78ELc85ELb0ELb0EddPKdPdEviT_T9_T10_S3_lS5_S3_lS4_T11_S3_li,"axG",@progbits,_ZL29rocblas_internal_gemmt_kernelIiLi16ELi32ELi8ELc78ELc78ELc85ELb0ELb0EddPKdPdEviT_T9_T10_S3_lS5_S3_lS4_T11_S3_li,comdat
	.globl	_ZL29rocblas_internal_gemmt_kernelIiLi16ELi32ELi8ELc78ELc78ELc85ELb0ELb0EddPKdPdEviT_T9_T10_S3_lS5_S3_lS4_T11_S3_li ; -- Begin function _ZL29rocblas_internal_gemmt_kernelIiLi16ELi32ELi8ELc78ELc78ELc85ELb0ELb0EddPKdPdEviT_T9_T10_S3_lS5_S3_lS4_T11_S3_li
	.p2align	8
	.type	_ZL29rocblas_internal_gemmt_kernelIiLi16ELi32ELi8ELc78ELc78ELc85ELb0ELb0EddPKdPdEviT_T9_T10_S3_lS5_S3_lS4_T11_S3_li,@function
_ZL29rocblas_internal_gemmt_kernelIiLi16ELi32ELi8ELc78ELc78ELc85ELb0ELb0EddPKdPdEviT_T9_T10_S3_lS5_S3_lS4_T11_S3_li: ; @_ZL29rocblas_internal_gemmt_kernelIiLi16ELi32ELi8ELc78ELc78ELc85ELb0ELb0EddPKdPdEviT_T9_T10_S3_lS5_S3_lS4_T11_S3_li
; %bb.0:
	s_clause 0x2
	s_load_b128 s[4:7], s[0:1], 0x38
	s_load_b64 s[20:21], s[0:1], 0x0
	s_load_b128 s[8:11], s[0:1], 0x8
	s_wait_kmcnt 0x0
	v_cmp_neq_f64_e64 s2, s[6:7], 1.0
	s_and_b32 vcc_lo, exec_lo, s2
	s_cbranch_vccnz .LBB54_2
; %bb.1:
	v_cmp_neq_f64_e64 s2, s[8:9], 0
	s_cmp_lg_u32 s21, 0
	s_cselect_b32 s3, -1, 0
	s_delay_alu instid0(SALU_CYCLE_1)
	s_and_b32 s2, s3, s2
.LBB54_2:
	s_delay_alu instid0(SALU_CYCLE_1)
	s_and_not1_b32 vcc_lo, exec_lo, s2
	s_cbranch_vccnz .LBB54_33
; %bb.3:
	s_load_b32 s19, s[0:1], 0x60
	s_bfe_u32 s2, ttmp6, 0x40014
	s_lshr_b32 s3, ttmp7, 16
	s_add_co_i32 s2, s2, 1
	s_bfe_u32 s12, ttmp6, 0x40008
	s_mul_i32 s2, s3, s2
	s_getreg_b32 s28, hwreg(HW_REG_IB_STS2, 6, 4)
	s_add_co_i32 s12, s12, s2
	s_cmp_eq_u32 s28, 0
	s_mov_b32 s23, 0
	s_cselect_b32 s22, s3, s12
	s_wait_kmcnt 0x0
	s_cmp_ge_u32 s22, s19
	s_cbranch_scc1 .LBB54_33
; %bb.4:
	s_clause 0x3
	s_load_b32 s26, s[0:1], 0x18
	s_load_b32 s2, s[0:1], 0x30
	s_load_b96 s[16:18], s[0:1], 0x48
	s_load_b128 s[12:15], s[0:1], 0x20
	v_and_b32_e32 v1, 0x3ff, v0
	v_bfe_u32 v21, v0, 10, 10
	s_load_b64 s[24:25], s[0:1], 0x58
	s_wait_xcnt 0x0
	s_bfe_u32 s1, ttmp6, 0x4000c
	s_bfe_u32 s3, ttmp6, 0x40010
	s_and_b32 s30, ttmp7, 0xffff
	s_add_co_i32 s1, s1, 1
	s_add_co_i32 s3, s3, 1
	v_lshl_add_u32 v3, v21, 4, v1
	s_and_b32 s0, ttmp6, 15
	s_mul_i32 s1, ttmp9, s1
	s_mul_i32 s31, s30, s3
	s_bfe_u32 s33, ttmp6, 0x40004
	s_add_co_i32 s0, s0, s1
	s_add_co_i32 s33, s33, s31
	v_dual_lshrrev_b32 v2, 5, v3 :: v_dual_lshrrev_b32 v4, 3, v3
	s_wait_kmcnt 0x0
	s_ashr_i32 s27, s26, 31
	s_ashr_i32 s3, s2, 31
	;; [unrolled: 1-line block ×3, first 2 shown]
	s_cmp_eq_u32 s28, 0
	v_and_b32_e32 v30, 7, v0
	s_cselect_b32 s1, s30, s33
	s_cselect_b32 s0, ttmp9, s0
	s_lshl_b32 s1, s1, 5
	s_delay_alu instid0(SALU_CYCLE_1) | instskip(SKIP_2) | instid1(VALU_DEP_2)
	v_dual_add_nc_u32 v8, s1, v4 :: v_dual_bitop2_b32 v5, 31, v3 bitop3:0x40
	s_lshl_b32 s30, s0, 5
	v_dual_mov_b32 v3, 0 :: v_dual_add_nc_u32 v12, s1, v21
	v_dual_lshlrev_b32 v20, 3, v30 :: v_dual_bitop2_b32 v10, s30, v5 bitop3:0x54
	s_delay_alu instid0(VALU_DEP_3) | instskip(NEXT) | instid1(VALU_DEP_3)
	v_ashrrev_i32_e32 v9, 31, v8
	v_mul_u64_e32 v[14:15], s[26:27], v[2:3]
	s_delay_alu instid0(VALU_DEP_4)
	v_add_nc_u32_e32 v18, 16, v12
	s_mov_b32 s28, s18
	v_cmp_neq_f64_e64 s31, s[8:9], 0
	v_mul_u64_e32 v[16:17], s[2:3], v[8:9]
	v_dual_lshlrev_b32 v9, 3, v5 :: v_dual_ashrrev_i32 v13, 31, v12
	v_ashrrev_i32_e32 v19, 31, v18
	v_lshl_or_b32 v11, v4, 6, v20
	v_cmp_neq_f64_e64 s18, s[6:7], 0
	v_add_nc_u32_e32 v0, s30, v1
	v_mul_u64_e32 v[4:5], s[28:29], v[12:13]
	v_mul_u64_e32 v[6:7], s[28:29], v[18:19]
	v_add_nc_u32_e32 v32, 0x800, v11
	v_ashrrev_i32_e32 v11, 31, v10
	v_cmp_gt_i32_e64 s0, s20, v10
	v_cmp_gt_i32_e64 s1, s20, v8
	v_dual_add_nc_u32 v8, 16, v0 :: v_dual_lshlrev_b32 v33, 3, v1
	s_delay_alu instid0(VALU_DEP_4)
	v_lshlrev_b64_e32 v[10:11], 3, v[10:11]
	v_lshl_add_u32 v34, v21, 6, 0x800
	v_mov_b32_e32 v21, v3
	v_cmp_gt_i32_e32 vcc_lo, s20, v12
	v_cmp_le_i32_e64 s2, v0, v12
	v_cmp_le_i32_e64 s3, v8, v12
	s_cmp_gt_i32 s21, 0
	v_lshl_or_b32 v31, v2, 8, v9
	s_cselect_b32 s33, -1, 0
	s_and_b32 s28, vcc_lo, s2
	s_and_b32 s29, vcc_lo, s3
	v_cmp_gt_i32_e32 vcc_lo, s20, v18
	v_cmp_le_i32_e64 s2, v0, v18
	v_lshl_add_u64 v[10:11], v[14:15], 3, v[10:11]
	v_cmp_le_i32_e64 s3, v8, v18
	v_ashrrev_i32_e32 v1, 31, v0
	v_ashrrev_i32_e32 v9, 31, v8
	v_lshl_add_u64 v[12:13], v[16:17], 3, v[20:21]
	v_add_nc_u64_e32 v[10:11], s[10:11], v[10:11]
	s_and_b32 s20, vcc_lo, s2
	s_and_b32 s30, vcc_lo, s3
	s_lshl_b64 s[2:3], s[12:13], 3
	v_add_nc_u64_e32 v[12:13], s[14:15], v[12:13]
	s_and_b32 s14, s31, s33
	s_lshl_b64 s[10:11], s[26:27], 6
	s_lshl_b64 s[4:5], s[4:5], 3
	s_branch .LBB54_6
.LBB54_5:                               ;   in Loop: Header=BB54_6 Depth=1
	s_wait_xcnt 0x0
	s_or_b32 exec_lo, exec_lo, s12
	s_add_co_i32 s22, s22, 0x10000
	s_delay_alu instid0(SALU_CYCLE_1)
	s_cmp_lt_u32 s22, s19
	s_cbranch_scc0 .LBB54_33
.LBB54_6:                               ; =>This Loop Header: Depth=1
                                        ;     Child Loop BB54_9 Depth 2
	v_mov_b64_e32 v[20:21], 0
	v_mov_b64_e32 v[18:19], 0
	v_mov_b64_e32 v[16:17], 0
	v_mov_b64_e32 v[14:15], 0
	s_and_not1_b32 vcc_lo, exec_lo, s14
	s_cbranch_vccnz .LBB54_13
; %bb.7:                                ;   in Loop: Header=BB54_6 Depth=1
	v_mad_nc_u64_u32 v[22:23], s2, s22, v[10:11]
	v_mad_nc_u64_u32 v[24:25], s4, s22, v[12:13]
	v_mov_b64_e32 v[14:15], 0
	v_mov_b64_e32 v[16:17], 0
	v_mov_b64_e32 v[18:19], 0
	v_mov_b64_e32 v[20:21], 0
	s_mov_b32 s12, 0
	v_mad_u32 v23, s3, s22, v23
	v_mad_u32 v25, s5, s22, v25
	s_branch .LBB54_9
.LBB54_8:                               ;   in Loop: Header=BB54_9 Depth=2
	s_wait_xcnt 0x0
	s_or_b32 exec_lo, exec_lo, s13
	s_wait_loadcnt 0x0
	ds_store_b64 v32, v[28:29]
	s_wait_dscnt 0x0
	s_barrier_signal -1
	s_barrier_wait -1
	ds_load_b128 v[26:29], v34
	ds_load_2addr_b64 v[36:39], v33 offset1:16
	ds_load_b128 v[40:43], v34 offset:1024
	ds_load_b128 v[44:47], v34 offset:16
	;; [unrolled: 1-line block ×3, first 2 shown]
	v_add_nc_u64_e32 v[22:23], s[10:11], v[22:23]
	v_add_nc_u64_e32 v[24:25], 64, v[24:25]
	s_add_co_i32 s12, s12, 8
	s_delay_alu instid0(SALU_CYCLE_1)
	s_cmp_lt_i32 s12, s21
	s_wait_dscnt 0x3
	v_fmac_f64_e32 v[20:21], v[36:37], v[26:27]
	v_fmac_f64_e32 v[18:19], v[38:39], v[26:27]
	s_wait_dscnt 0x2
	v_fmac_f64_e32 v[16:17], v[36:37], v[40:41]
	v_fmac_f64_e32 v[14:15], v[38:39], v[40:41]
	ds_load_2addr_b64 v[36:39], v33 offset0:32 offset1:48
	s_wait_dscnt 0x0
	v_fmac_f64_e32 v[20:21], v[36:37], v[28:29]
	v_fmac_f64_e32 v[18:19], v[38:39], v[28:29]
	v_fmac_f64_e32 v[16:17], v[36:37], v[42:43]
	v_fmac_f64_e32 v[14:15], v[38:39], v[42:43]
	ds_load_2addr_b64 v[26:29], v33 offset0:64 offset1:80
	s_wait_dscnt 0x0
	v_fmac_f64_e32 v[20:21], v[26:27], v[44:45]
	v_fmac_f64_e32 v[18:19], v[28:29], v[44:45]
	;; [unrolled: 6-line block ×3, first 2 shown]
	v_fmac_f64_e32 v[16:17], v[26:27], v[50:51]
	v_fmac_f64_e32 v[14:15], v[28:29], v[50:51]
	ds_load_b128 v[26:29], v34 offset:32
	ds_load_2addr_b64 v[36:39], v33 offset0:128 offset1:144
	ds_load_b128 v[40:43], v34 offset:1056
	ds_load_b128 v[44:47], v34 offset:48
	;; [unrolled: 1-line block ×3, first 2 shown]
	s_wait_dscnt 0x3
	v_fmac_f64_e32 v[20:21], v[36:37], v[26:27]
	v_fmac_f64_e32 v[18:19], v[38:39], v[26:27]
	s_wait_dscnt 0x2
	v_fmac_f64_e32 v[16:17], v[36:37], v[40:41]
	v_fmac_f64_e32 v[14:15], v[38:39], v[40:41]
	ds_load_2addr_b64 v[36:39], v33 offset0:160 offset1:176
	s_wait_dscnt 0x0
	v_fmac_f64_e32 v[20:21], v[36:37], v[28:29]
	v_fmac_f64_e32 v[18:19], v[38:39], v[28:29]
	;; [unrolled: 1-line block ×4, first 2 shown]
	ds_load_2addr_b64 v[26:29], v33 offset0:192 offset1:208
	s_wait_dscnt 0x0
	v_fmac_f64_e32 v[20:21], v[26:27], v[44:45]
	v_fmac_f64_e32 v[18:19], v[28:29], v[44:45]
	;; [unrolled: 1-line block ×4, first 2 shown]
	ds_load_2addr_b64 v[26:29], v33 offset0:224 offset1:240
	s_wait_dscnt 0x0
	s_barrier_signal -1
	s_barrier_wait -1
	v_fmac_f64_e32 v[20:21], v[26:27], v[46:47]
	v_fmac_f64_e32 v[18:19], v[28:29], v[46:47]
	;; [unrolled: 1-line block ×4, first 2 shown]
	s_cbranch_scc0 .LBB54_13
.LBB54_9:                               ;   Parent Loop BB54_6 Depth=1
                                        ; =>  This Inner Loop Header: Depth=2
	v_add_nc_u32_e32 v3, s12, v2
	v_mov_b64_e32 v[26:27], 0
	s_delay_alu instid0(VALU_DEP_2) | instskip(SKIP_1) | instid1(SALU_CYCLE_1)
	v_cmp_gt_i32_e32 vcc_lo, s21, v3
	s_and_b32 s15, s0, vcc_lo
	s_and_saveexec_b32 s13, s15
	s_cbranch_execz .LBB54_11
; %bb.10:                               ;   in Loop: Header=BB54_9 Depth=2
	global_load_b64 v[26:27], v[22:23], off
.LBB54_11:                              ;   in Loop: Header=BB54_9 Depth=2
	s_wait_xcnt 0x0
	s_or_b32 exec_lo, exec_lo, s13
	v_add_nc_u32_e32 v3, s12, v30
	v_mov_b64_e32 v[28:29], 0
	s_wait_loadcnt 0x0
	ds_store_b64 v31, v[26:27]
	v_cmp_gt_i32_e32 vcc_lo, s21, v3
	s_and_b32 s15, vcc_lo, s1
	s_delay_alu instid0(SALU_CYCLE_1)
	s_and_saveexec_b32 s13, s15
	s_cbranch_execz .LBB54_8
; %bb.12:                               ;   in Loop: Header=BB54_9 Depth=2
	global_load_b64 v[28:29], v[24:25], off
	s_branch .LBB54_8
.LBB54_13:                              ;   in Loop: Header=BB54_6 Depth=1
	s_mul_u64 s[12:13], s[24:25], s[22:23]
	s_delay_alu instid0(SALU_CYCLE_1) | instskip(NEXT) | instid1(SALU_CYCLE_1)
	s_lshl_b64 s[12:13], s[12:13], 3
	s_add_nc_u64 s[12:13], s[16:17], s[12:13]
	s_delay_alu instid0(SALU_CYCLE_1)
	v_lshl_add_u64 v[22:23], v[4:5], 3, s[12:13]
	s_and_saveexec_b32 s15, s28
	s_cbranch_execz .LBB54_17
; %bb.14:                               ;   in Loop: Header=BB54_6 Depth=1
	v_mul_f64_e32 v[20:21], s[8:9], v[20:21]
	s_delay_alu instid0(VALU_DEP_2)
	v_lshl_add_u64 v[24:25], v[0:1], 3, v[22:23]
	s_and_b32 vcc_lo, exec_lo, s18
	s_cbranch_vccz .LBB54_28
; %bb.15:                               ;   in Loop: Header=BB54_6 Depth=1
	global_load_b64 v[26:27], v[24:25], off
	s_wait_loadcnt 0x0
	v_fma_f64 v[26:27], s[6:7], v[26:27], v[20:21]
	global_store_b64 v[24:25], v[26:27], off
	s_cbranch_execnz .LBB54_17
.LBB54_16:                              ;   in Loop: Header=BB54_6 Depth=1
	global_store_b64 v[24:25], v[20:21], off
.LBB54_17:                              ;   in Loop: Header=BB54_6 Depth=1
	s_wait_xcnt 0x0
	s_or_b32 exec_lo, exec_lo, s15
	s_and_saveexec_b32 s15, s29
	s_cbranch_execz .LBB54_21
; %bb.18:                               ;   in Loop: Header=BB54_6 Depth=1
	s_delay_alu instid0(VALU_DEP_4)
	v_mul_f64_e32 v[18:19], s[8:9], v[18:19]
	v_lshl_add_u64 v[20:21], v[8:9], 3, v[22:23]
	s_and_not1_b32 vcc_lo, exec_lo, s18
	s_cbranch_vccnz .LBB54_29
; %bb.19:                               ;   in Loop: Header=BB54_6 Depth=1
	global_load_b64 v[22:23], v[20:21], off
	s_wait_loadcnt 0x0
	v_fma_f64 v[22:23], s[6:7], v[22:23], v[18:19]
	global_store_b64 v[20:21], v[22:23], off
	s_cbranch_execnz .LBB54_21
.LBB54_20:                              ;   in Loop: Header=BB54_6 Depth=1
	global_store_b64 v[20:21], v[18:19], off
.LBB54_21:                              ;   in Loop: Header=BB54_6 Depth=1
	s_wait_xcnt 0x0
	s_or_b32 exec_lo, exec_lo, s15
	v_lshl_add_u64 v[18:19], v[6:7], 3, s[12:13]
	s_and_saveexec_b32 s12, s20
	s_cbranch_execz .LBB54_25
; %bb.22:                               ;   in Loop: Header=BB54_6 Depth=1
	s_delay_alu instid0(VALU_DEP_4) | instskip(NEXT) | instid1(VALU_DEP_2)
	v_mul_f64_e32 v[16:17], s[8:9], v[16:17]
	v_lshl_add_u64 v[20:21], v[0:1], 3, v[18:19]
	s_and_not1_b32 vcc_lo, exec_lo, s18
	s_cbranch_vccnz .LBB54_30
; %bb.23:                               ;   in Loop: Header=BB54_6 Depth=1
	global_load_b64 v[22:23], v[20:21], off
	s_wait_loadcnt 0x0
	v_fma_f64 v[22:23], s[6:7], v[22:23], v[16:17]
	global_store_b64 v[20:21], v[22:23], off
	s_cbranch_execnz .LBB54_25
.LBB54_24:                              ;   in Loop: Header=BB54_6 Depth=1
	global_store_b64 v[20:21], v[16:17], off
.LBB54_25:                              ;   in Loop: Header=BB54_6 Depth=1
	s_wait_xcnt 0x0
	s_or_b32 exec_lo, exec_lo, s12
	s_and_saveexec_b32 s12, s30
	s_cbranch_execz .LBB54_5
; %bb.26:                               ;   in Loop: Header=BB54_6 Depth=1
	s_delay_alu instid0(VALU_DEP_3)
	v_mul_f64_e32 v[14:15], s[8:9], v[14:15]
	v_lshl_add_u64 v[16:17], v[8:9], 3, v[18:19]
	s_and_not1_b32 vcc_lo, exec_lo, s18
	s_cbranch_vccnz .LBB54_31
; %bb.27:                               ;   in Loop: Header=BB54_6 Depth=1
	global_load_b64 v[18:19], v[16:17], off
	s_wait_loadcnt 0x0
	v_fma_f64 v[18:19], s[6:7], v[18:19], v[14:15]
	global_store_b64 v[16:17], v[18:19], off
	s_cbranch_execnz .LBB54_5
	s_branch .LBB54_32
.LBB54_28:                              ;   in Loop: Header=BB54_6 Depth=1
	s_branch .LBB54_16
.LBB54_29:                              ;   in Loop: Header=BB54_6 Depth=1
	s_branch .LBB54_20
.LBB54_30:                              ;   in Loop: Header=BB54_6 Depth=1
	s_branch .LBB54_24
.LBB54_31:                              ;   in Loop: Header=BB54_6 Depth=1
.LBB54_32:                              ;   in Loop: Header=BB54_6 Depth=1
	global_store_b64 v[16:17], v[14:15], off
	s_branch .LBB54_5
.LBB54_33:
	s_endpgm
	.section	.rodata,"a",@progbits
	.p2align	6, 0x0
	.amdhsa_kernel _ZL29rocblas_internal_gemmt_kernelIiLi16ELi32ELi8ELc78ELc78ELc85ELb0ELb0EddPKdPdEviT_T9_T10_S3_lS5_S3_lS4_T11_S3_li
		.amdhsa_group_segment_fixed_size 4096
		.amdhsa_private_segment_fixed_size 0
		.amdhsa_kernarg_size 100
		.amdhsa_user_sgpr_count 2
		.amdhsa_user_sgpr_dispatch_ptr 0
		.amdhsa_user_sgpr_queue_ptr 0
		.amdhsa_user_sgpr_kernarg_segment_ptr 1
		.amdhsa_user_sgpr_dispatch_id 0
		.amdhsa_user_sgpr_kernarg_preload_length 0
		.amdhsa_user_sgpr_kernarg_preload_offset 0
		.amdhsa_user_sgpr_private_segment_size 0
		.amdhsa_wavefront_size32 1
		.amdhsa_uses_dynamic_stack 0
		.amdhsa_enable_private_segment 0
		.amdhsa_system_sgpr_workgroup_id_x 1
		.amdhsa_system_sgpr_workgroup_id_y 1
		.amdhsa_system_sgpr_workgroup_id_z 1
		.amdhsa_system_sgpr_workgroup_info 0
		.amdhsa_system_vgpr_workitem_id 1
		.amdhsa_next_free_vgpr 52
		.amdhsa_next_free_sgpr 34
		.amdhsa_named_barrier_count 0
		.amdhsa_reserve_vcc 1
		.amdhsa_float_round_mode_32 0
		.amdhsa_float_round_mode_16_64 0
		.amdhsa_float_denorm_mode_32 3
		.amdhsa_float_denorm_mode_16_64 3
		.amdhsa_fp16_overflow 0
		.amdhsa_memory_ordered 1
		.amdhsa_forward_progress 1
		.amdhsa_inst_pref_size 13
		.amdhsa_round_robin_scheduling 0
		.amdhsa_exception_fp_ieee_invalid_op 0
		.amdhsa_exception_fp_denorm_src 0
		.amdhsa_exception_fp_ieee_div_zero 0
		.amdhsa_exception_fp_ieee_overflow 0
		.amdhsa_exception_fp_ieee_underflow 0
		.amdhsa_exception_fp_ieee_inexact 0
		.amdhsa_exception_int_div_zero 0
	.end_amdhsa_kernel
	.section	.text._ZL29rocblas_internal_gemmt_kernelIiLi16ELi32ELi8ELc78ELc78ELc85ELb0ELb0EddPKdPdEviT_T9_T10_S3_lS5_S3_lS4_T11_S3_li,"axG",@progbits,_ZL29rocblas_internal_gemmt_kernelIiLi16ELi32ELi8ELc78ELc78ELc85ELb0ELb0EddPKdPdEviT_T9_T10_S3_lS5_S3_lS4_T11_S3_li,comdat
.Lfunc_end54:
	.size	_ZL29rocblas_internal_gemmt_kernelIiLi16ELi32ELi8ELc78ELc78ELc85ELb0ELb0EddPKdPdEviT_T9_T10_S3_lS5_S3_lS4_T11_S3_li, .Lfunc_end54-_ZL29rocblas_internal_gemmt_kernelIiLi16ELi32ELi8ELc78ELc78ELc85ELb0ELb0EddPKdPdEviT_T9_T10_S3_lS5_S3_lS4_T11_S3_li
                                        ; -- End function
	.set _ZL29rocblas_internal_gemmt_kernelIiLi16ELi32ELi8ELc78ELc78ELc85ELb0ELb0EddPKdPdEviT_T9_T10_S3_lS5_S3_lS4_T11_S3_li.num_vgpr, 52
	.set _ZL29rocblas_internal_gemmt_kernelIiLi16ELi32ELi8ELc78ELc78ELc85ELb0ELb0EddPKdPdEviT_T9_T10_S3_lS5_S3_lS4_T11_S3_li.num_agpr, 0
	.set _ZL29rocblas_internal_gemmt_kernelIiLi16ELi32ELi8ELc78ELc78ELc85ELb0ELb0EddPKdPdEviT_T9_T10_S3_lS5_S3_lS4_T11_S3_li.numbered_sgpr, 34
	.set _ZL29rocblas_internal_gemmt_kernelIiLi16ELi32ELi8ELc78ELc78ELc85ELb0ELb0EddPKdPdEviT_T9_T10_S3_lS5_S3_lS4_T11_S3_li.num_named_barrier, 0
	.set _ZL29rocblas_internal_gemmt_kernelIiLi16ELi32ELi8ELc78ELc78ELc85ELb0ELb0EddPKdPdEviT_T9_T10_S3_lS5_S3_lS4_T11_S3_li.private_seg_size, 0
	.set _ZL29rocblas_internal_gemmt_kernelIiLi16ELi32ELi8ELc78ELc78ELc85ELb0ELb0EddPKdPdEviT_T9_T10_S3_lS5_S3_lS4_T11_S3_li.uses_vcc, 1
	.set _ZL29rocblas_internal_gemmt_kernelIiLi16ELi32ELi8ELc78ELc78ELc85ELb0ELb0EddPKdPdEviT_T9_T10_S3_lS5_S3_lS4_T11_S3_li.uses_flat_scratch, 0
	.set _ZL29rocblas_internal_gemmt_kernelIiLi16ELi32ELi8ELc78ELc78ELc85ELb0ELb0EddPKdPdEviT_T9_T10_S3_lS5_S3_lS4_T11_S3_li.has_dyn_sized_stack, 0
	.set _ZL29rocblas_internal_gemmt_kernelIiLi16ELi32ELi8ELc78ELc78ELc85ELb0ELb0EddPKdPdEviT_T9_T10_S3_lS5_S3_lS4_T11_S3_li.has_recursion, 0
	.set _ZL29rocblas_internal_gemmt_kernelIiLi16ELi32ELi8ELc78ELc78ELc85ELb0ELb0EddPKdPdEviT_T9_T10_S3_lS5_S3_lS4_T11_S3_li.has_indirect_call, 0
	.section	.AMDGPU.csdata,"",@progbits
; Kernel info:
; codeLenInByte = 1632
; TotalNumSgprs: 36
; NumVgprs: 52
; ScratchSize: 0
; MemoryBound: 0
; FloatMode: 240
; IeeeMode: 1
; LDSByteSize: 4096 bytes/workgroup (compile time only)
; SGPRBlocks: 0
; VGPRBlocks: 3
; NumSGPRsForWavesPerEU: 36
; NumVGPRsForWavesPerEU: 52
; NamedBarCnt: 0
; Occupancy: 16
; WaveLimiterHint : 0
; COMPUTE_PGM_RSRC2:SCRATCH_EN: 0
; COMPUTE_PGM_RSRC2:USER_SGPR: 2
; COMPUTE_PGM_RSRC2:TRAP_HANDLER: 0
; COMPUTE_PGM_RSRC2:TGID_X_EN: 1
; COMPUTE_PGM_RSRC2:TGID_Y_EN: 1
; COMPUTE_PGM_RSRC2:TGID_Z_EN: 1
; COMPUTE_PGM_RSRC2:TIDIG_COMP_CNT: 1
	.section	.text._ZL29rocblas_internal_gemmt_kernelIiLi16ELi32ELi8ELc78ELc84ELc85ELb0ELb0EddPKdPdEviT_T9_T10_S3_lS5_S3_lS4_T11_S3_li,"axG",@progbits,_ZL29rocblas_internal_gemmt_kernelIiLi16ELi32ELi8ELc78ELc84ELc85ELb0ELb0EddPKdPdEviT_T9_T10_S3_lS5_S3_lS4_T11_S3_li,comdat
	.globl	_ZL29rocblas_internal_gemmt_kernelIiLi16ELi32ELi8ELc78ELc84ELc85ELb0ELb0EddPKdPdEviT_T9_T10_S3_lS5_S3_lS4_T11_S3_li ; -- Begin function _ZL29rocblas_internal_gemmt_kernelIiLi16ELi32ELi8ELc78ELc84ELc85ELb0ELb0EddPKdPdEviT_T9_T10_S3_lS5_S3_lS4_T11_S3_li
	.p2align	8
	.type	_ZL29rocblas_internal_gemmt_kernelIiLi16ELi32ELi8ELc78ELc84ELc85ELb0ELb0EddPKdPdEviT_T9_T10_S3_lS5_S3_lS4_T11_S3_li,@function
_ZL29rocblas_internal_gemmt_kernelIiLi16ELi32ELi8ELc78ELc84ELc85ELb0ELb0EddPKdPdEviT_T9_T10_S3_lS5_S3_lS4_T11_S3_li: ; @_ZL29rocblas_internal_gemmt_kernelIiLi16ELi32ELi8ELc78ELc84ELc85ELb0ELb0EddPKdPdEviT_T9_T10_S3_lS5_S3_lS4_T11_S3_li
; %bb.0:
	s_clause 0x2
	s_load_b128 s[4:7], s[0:1], 0x38
	s_load_b64 s[20:21], s[0:1], 0x0
	s_load_b128 s[8:11], s[0:1], 0x8
	s_wait_kmcnt 0x0
	v_cmp_neq_f64_e64 s2, s[6:7], 1.0
	s_and_b32 vcc_lo, exec_lo, s2
	s_cbranch_vccnz .LBB55_2
; %bb.1:
	v_cmp_neq_f64_e64 s2, s[8:9], 0
	s_cmp_lg_u32 s21, 0
	s_cselect_b32 s3, -1, 0
	s_delay_alu instid0(SALU_CYCLE_1)
	s_and_b32 s2, s3, s2
.LBB55_2:
	s_delay_alu instid0(SALU_CYCLE_1)
	s_and_not1_b32 vcc_lo, exec_lo, s2
	s_cbranch_vccnz .LBB55_33
; %bb.3:
	s_load_b32 s19, s[0:1], 0x60
	s_bfe_u32 s2, ttmp6, 0x40014
	s_lshr_b32 s3, ttmp7, 16
	s_add_co_i32 s2, s2, 1
	s_bfe_u32 s13, ttmp6, 0x40008
	s_mul_i32 s12, s3, s2
	s_getreg_b32 s2, hwreg(HW_REG_IB_STS2, 6, 4)
	s_add_co_i32 s13, s13, s12
	s_cmp_eq_u32 s2, 0
	s_mov_b32 s23, 0
	s_cselect_b32 s22, s3, s13
	s_wait_kmcnt 0x0
	s_cmp_ge_u32 s22, s19
	s_cbranch_scc1 .LBB55_33
; %bb.4:
	s_clause 0x4
	s_load_b32 s26, s[0:1], 0x18
	s_load_b32 s28, s[0:1], 0x30
	s_load_b96 s[16:18], s[0:1], 0x48
	s_load_b128 s[12:15], s[0:1], 0x20
	s_load_b64 s[24:25], s[0:1], 0x58
	s_wait_xcnt 0x0
	s_bfe_u32 s1, ttmp6, 0x4000c
	s_bfe_u32 s27, ttmp6, 0x40010
	v_and_b32_e32 v5, 0x3ff, v0
	v_bfe_u32 v11, v0, 10, 10
	s_and_b32 s3, ttmp7, 0xffff
	s_add_co_i32 s1, s1, 1
	s_add_co_i32 s33, s27, 1
	s_and_b32 s0, ttmp6, 15
	s_mul_i32 s1, ttmp9, s1
	v_lshl_add_u32 v1, v11, 4, v5
	s_add_co_i32 s0, s0, s1
	v_and_b32_e32 v0, 7, v0
	v_cmp_neq_f64_e64 s34, s[8:9], 0
	v_lshl_add_u32 v33, v11, 6, 0x800
	v_dual_lshrrev_b32 v4, 3, v1 :: v_dual_bitop2_b32 v6, 31, v1 bitop3:0x40
	s_wait_kmcnt 0x0
	s_ashr_i32 s27, s26, 31
	s_ashr_i32 s31, s18, 31
	s_mov_b32 s30, s18
	s_mul_i32 s18, s3, s33
	s_bfe_u32 s33, ttmp6, 0x40004
	s_ashr_i32 s29, s28, 31
	s_add_co_i32 s33, s33, s18
	s_cmp_eq_u32 s2, 0
	v_lshrrev_b32_e32 v2, 5, v1
	s_cselect_b32 s0, ttmp9, s0
	s_cselect_b32 s1, s3, s33
	s_lshl_b32 s2, s0, 5
	s_delay_alu instid0(SALU_CYCLE_1) | instskip(SKIP_2) | instid1(VALU_DEP_2)
	v_dual_mov_b32 v3, 0 :: v_dual_bitop2_b32 v12, s2, v6 bitop3:0x54
	s_lshl_b32 s0, s1, 5
	v_cmp_neq_f64_e64 s18, s[6:7], 0
	v_dual_mov_b32 v1, v3 :: v_dual_add_nc_u32 v14, s0, v4
	v_add_nc_u32_e32 v16, s0, v11
	v_mul_u64_e32 v[18:19], s[26:27], v[2:3]
	v_lshlrev_b32_e32 v3, 3, v6
	s_delay_alu instid0(VALU_DEP_4) | instskip(SKIP_4) | instid1(VALU_DEP_3)
	v_ashrrev_i32_e32 v15, 31, v14
	v_mul_u64_e32 v[20:21], s[28:29], v[0:1]
	v_dual_add_nc_u32 v22, 16, v16 :: v_dual_ashrrev_i32 v17, 31, v16
	v_lshlrev_b32_e32 v6, 3, v0
	v_lshl_or_b32 v1, v2, 8, v3
	v_dual_lshlrev_b32 v32, 3, v5 :: v_dual_ashrrev_i32 v23, 31, v22
	v_cmp_gt_i32_e64 s0, s20, v12
	s_delay_alu instid0(VALU_DEP_4)
	v_lshl_or_b32 v3, v4, 6, v6
	v_mul_u64_e32 v[6:7], s[30:31], v[16:17]
	v_add_nc_u32_e32 v4, s2, v5
	v_mul_u64_e32 v[8:9], s[30:31], v[22:23]
	v_cmp_gt_i32_e64 s1, s20, v14
	v_lshlrev_b64_e32 v[14:15], 3, v[14:15]
	v_cmp_gt_i32_e32 vcc_lo, s20, v16
	v_add_nc_u32_e32 v10, 16, v4
	v_ashrrev_i32_e32 v13, 31, v12
	v_cmp_le_i32_e64 s2, v4, v16
	s_cmp_gt_i32 s21, 0
	v_add_nc_u32_e32 v3, 0x800, v3
	v_ashrrev_i32_e32 v11, 31, v10
	v_lshlrev_b64_e32 v[12:13], 3, v[12:13]
	v_cmp_le_i32_e64 s3, v10, v16
	s_cselect_b32 s35, -1, 0
	s_and_b32 s30, vcc_lo, s2
	v_cmp_le_i32_e64 s2, v4, v22
	v_ashrrev_i32_e32 v5, 31, v4
	s_and_b32 s31, vcc_lo, s3
	v_cmp_gt_i32_e32 vcc_lo, s20, v22
	v_lshl_add_u64 v[12:13], v[18:19], 3, v[12:13]
	v_cmp_le_i32_e64 s3, v10, v22
	s_and_b32 s34, s34, s35
	v_lshl_add_u64 v[14:15], v[20:21], 3, v[14:15]
	s_and_b32 s20, vcc_lo, s2
	v_add_nc_u64_e32 v[12:13], s[10:11], v[12:13]
	s_and_b32 s33, vcc_lo, s3
	s_lshl_b64 s[2:3], s[12:13], 3
	v_add_nc_u64_e32 v[14:15], s[14:15], v[14:15]
	s_lshl_b64 s[10:11], s[26:27], 6
	s_lshl_b64 s[4:5], s[4:5], 3
	;; [unrolled: 1-line block ×3, first 2 shown]
	s_branch .LBB55_6
.LBB55_5:                               ;   in Loop: Header=BB55_6 Depth=1
	s_wait_xcnt 0x0
	s_or_b32 exec_lo, exec_lo, s14
	s_add_co_i32 s22, s22, 0x10000
	s_delay_alu instid0(SALU_CYCLE_1)
	s_cmp_lt_u32 s22, s19
	s_cbranch_scc0 .LBB55_33
.LBB55_6:                               ; =>This Loop Header: Depth=1
                                        ;     Child Loop BB55_9 Depth 2
	v_mov_b64_e32 v[22:23], 0
	v_mov_b64_e32 v[20:21], 0
	;; [unrolled: 1-line block ×4, first 2 shown]
	s_and_not1_b32 vcc_lo, exec_lo, s34
	s_cbranch_vccnz .LBB55_13
; %bb.7:                                ;   in Loop: Header=BB55_6 Depth=1
	v_mad_nc_u64_u32 v[24:25], s2, s22, v[12:13]
	v_mad_nc_u64_u32 v[26:27], s4, s22, v[14:15]
	v_mov_b64_e32 v[16:17], 0
	v_mov_b64_e32 v[18:19], 0
	;; [unrolled: 1-line block ×4, first 2 shown]
	s_mov_b32 s14, 0
	v_mad_u32 v25, s3, s22, v25
	v_mad_u32 v27, s5, s22, v27
	s_branch .LBB55_9
.LBB55_8:                               ;   in Loop: Header=BB55_9 Depth=2
	s_wait_xcnt 0x0
	s_or_b32 exec_lo, exec_lo, s15
	s_wait_loadcnt 0x0
	ds_store_b64 v3, v[30:31]
	s_wait_dscnt 0x0
	s_barrier_signal -1
	s_barrier_wait -1
	ds_load_b128 v[28:31], v33
	ds_load_2addr_b64 v[34:37], v32 offset1:16
	ds_load_b128 v[38:41], v33 offset:1024
	ds_load_b128 v[42:45], v33 offset:16
	;; [unrolled: 1-line block ×3, first 2 shown]
	v_add_nc_u64_e32 v[24:25], s[10:11], v[24:25]
	v_add_nc_u64_e32 v[26:27], s[12:13], v[26:27]
	s_add_co_i32 s14, s14, 8
	s_delay_alu instid0(SALU_CYCLE_1)
	s_cmp_lt_i32 s14, s21
	s_wait_dscnt 0x3
	v_fmac_f64_e32 v[22:23], v[34:35], v[28:29]
	v_fmac_f64_e32 v[20:21], v[36:37], v[28:29]
	s_wait_dscnt 0x2
	v_fmac_f64_e32 v[18:19], v[34:35], v[38:39]
	v_fmac_f64_e32 v[16:17], v[36:37], v[38:39]
	ds_load_2addr_b64 v[34:37], v32 offset0:32 offset1:48
	s_wait_dscnt 0x0
	v_fmac_f64_e32 v[22:23], v[34:35], v[30:31]
	v_fmac_f64_e32 v[20:21], v[36:37], v[30:31]
	v_fmac_f64_e32 v[18:19], v[34:35], v[40:41]
	v_fmac_f64_e32 v[16:17], v[36:37], v[40:41]
	ds_load_2addr_b64 v[28:31], v32 offset0:64 offset1:80
	s_wait_dscnt 0x0
	v_fmac_f64_e32 v[22:23], v[28:29], v[42:43]
	v_fmac_f64_e32 v[20:21], v[30:31], v[42:43]
	v_fmac_f64_e32 v[18:19], v[28:29], v[46:47]
	v_fmac_f64_e32 v[16:17], v[30:31], v[46:47]
	ds_load_2addr_b64 v[28:31], v32 offset0:96 offset1:112
	s_wait_dscnt 0x0
	v_fmac_f64_e32 v[22:23], v[28:29], v[44:45]
	v_fmac_f64_e32 v[20:21], v[30:31], v[44:45]
	v_fmac_f64_e32 v[18:19], v[28:29], v[48:49]
	v_fmac_f64_e32 v[16:17], v[30:31], v[48:49]
	ds_load_b128 v[28:31], v33 offset:32
	ds_load_2addr_b64 v[34:37], v32 offset0:128 offset1:144
	ds_load_b128 v[38:41], v33 offset:1056
	ds_load_b128 v[42:45], v33 offset:48
	;; [unrolled: 1-line block ×3, first 2 shown]
	s_wait_dscnt 0x3
	v_fmac_f64_e32 v[22:23], v[34:35], v[28:29]
	v_fmac_f64_e32 v[20:21], v[36:37], v[28:29]
	s_wait_dscnt 0x2
	v_fmac_f64_e32 v[18:19], v[34:35], v[38:39]
	v_fmac_f64_e32 v[16:17], v[36:37], v[38:39]
	ds_load_2addr_b64 v[34:37], v32 offset0:160 offset1:176
	s_wait_dscnt 0x0
	v_fmac_f64_e32 v[22:23], v[34:35], v[30:31]
	v_fmac_f64_e32 v[20:21], v[36:37], v[30:31]
	;; [unrolled: 1-line block ×4, first 2 shown]
	ds_load_2addr_b64 v[28:31], v32 offset0:192 offset1:208
	s_wait_dscnt 0x0
	v_fmac_f64_e32 v[22:23], v[28:29], v[42:43]
	v_fmac_f64_e32 v[20:21], v[30:31], v[42:43]
	;; [unrolled: 1-line block ×4, first 2 shown]
	ds_load_2addr_b64 v[28:31], v32 offset0:224 offset1:240
	s_wait_dscnt 0x0
	s_barrier_signal -1
	s_barrier_wait -1
	v_fmac_f64_e32 v[22:23], v[28:29], v[44:45]
	v_fmac_f64_e32 v[20:21], v[30:31], v[44:45]
	;; [unrolled: 1-line block ×4, first 2 shown]
	s_cbranch_scc0 .LBB55_13
.LBB55_9:                               ;   Parent Loop BB55_6 Depth=1
                                        ; =>  This Inner Loop Header: Depth=2
	v_add_nc_u32_e32 v28, s14, v2
	s_delay_alu instid0(VALU_DEP_1) | instskip(SKIP_2) | instid1(SALU_CYCLE_1)
	v_cmp_gt_i32_e32 vcc_lo, s21, v28
	v_mov_b64_e32 v[28:29], 0
	s_and_b32 s26, s0, vcc_lo
	s_and_saveexec_b32 s15, s26
	s_cbranch_execz .LBB55_11
; %bb.10:                               ;   in Loop: Header=BB55_9 Depth=2
	global_load_b64 v[28:29], v[24:25], off
.LBB55_11:                              ;   in Loop: Header=BB55_9 Depth=2
	s_wait_xcnt 0x0
	s_or_b32 exec_lo, exec_lo, s15
	v_add_nc_u32_e32 v30, s14, v0
	s_wait_loadcnt 0x0
	ds_store_b64 v1, v[28:29]
	v_cmp_gt_i32_e32 vcc_lo, s21, v30
	v_mov_b64_e32 v[30:31], 0
	s_and_b32 s26, vcc_lo, s1
	s_delay_alu instid0(SALU_CYCLE_1)
	s_and_saveexec_b32 s15, s26
	s_cbranch_execz .LBB55_8
; %bb.12:                               ;   in Loop: Header=BB55_9 Depth=2
	global_load_b64 v[30:31], v[26:27], off
	s_branch .LBB55_8
.LBB55_13:                              ;   in Loop: Header=BB55_6 Depth=1
	s_mul_u64 s[14:15], s[24:25], s[22:23]
	s_delay_alu instid0(SALU_CYCLE_1) | instskip(NEXT) | instid1(SALU_CYCLE_1)
	s_lshl_b64 s[14:15], s[14:15], 3
	s_add_nc_u64 s[14:15], s[16:17], s[14:15]
	s_delay_alu instid0(SALU_CYCLE_1)
	v_lshl_add_u64 v[24:25], v[6:7], 3, s[14:15]
	s_and_saveexec_b32 s26, s30
	s_cbranch_execz .LBB55_17
; %bb.14:                               ;   in Loop: Header=BB55_6 Depth=1
	v_mul_f64_e32 v[22:23], s[8:9], v[22:23]
	s_delay_alu instid0(VALU_DEP_2)
	v_lshl_add_u64 v[26:27], v[4:5], 3, v[24:25]
	s_and_b32 vcc_lo, exec_lo, s18
	s_cbranch_vccz .LBB55_28
; %bb.15:                               ;   in Loop: Header=BB55_6 Depth=1
	global_load_b64 v[28:29], v[26:27], off
	s_wait_loadcnt 0x0
	v_fma_f64 v[28:29], s[6:7], v[28:29], v[22:23]
	global_store_b64 v[26:27], v[28:29], off
	s_cbranch_execnz .LBB55_17
.LBB55_16:                              ;   in Loop: Header=BB55_6 Depth=1
	global_store_b64 v[26:27], v[22:23], off
.LBB55_17:                              ;   in Loop: Header=BB55_6 Depth=1
	s_wait_xcnt 0x0
	s_or_b32 exec_lo, exec_lo, s26
	s_and_saveexec_b32 s26, s31
	s_cbranch_execz .LBB55_21
; %bb.18:                               ;   in Loop: Header=BB55_6 Depth=1
	s_delay_alu instid0(VALU_DEP_4)
	v_mul_f64_e32 v[20:21], s[8:9], v[20:21]
	v_lshl_add_u64 v[22:23], v[10:11], 3, v[24:25]
	s_and_not1_b32 vcc_lo, exec_lo, s18
	s_cbranch_vccnz .LBB55_29
; %bb.19:                               ;   in Loop: Header=BB55_6 Depth=1
	global_load_b64 v[24:25], v[22:23], off
	s_wait_loadcnt 0x0
	v_fma_f64 v[24:25], s[6:7], v[24:25], v[20:21]
	global_store_b64 v[22:23], v[24:25], off
	s_cbranch_execnz .LBB55_21
.LBB55_20:                              ;   in Loop: Header=BB55_6 Depth=1
	global_store_b64 v[22:23], v[20:21], off
.LBB55_21:                              ;   in Loop: Header=BB55_6 Depth=1
	s_wait_xcnt 0x0
	s_or_b32 exec_lo, exec_lo, s26
	v_lshl_add_u64 v[20:21], v[8:9], 3, s[14:15]
	s_and_saveexec_b32 s14, s20
	s_cbranch_execz .LBB55_25
; %bb.22:                               ;   in Loop: Header=BB55_6 Depth=1
	s_delay_alu instid0(VALU_DEP_4) | instskip(NEXT) | instid1(VALU_DEP_2)
	v_mul_f64_e32 v[18:19], s[8:9], v[18:19]
	v_lshl_add_u64 v[22:23], v[4:5], 3, v[20:21]
	s_and_not1_b32 vcc_lo, exec_lo, s18
	s_cbranch_vccnz .LBB55_30
; %bb.23:                               ;   in Loop: Header=BB55_6 Depth=1
	global_load_b64 v[24:25], v[22:23], off
	s_wait_loadcnt 0x0
	v_fma_f64 v[24:25], s[6:7], v[24:25], v[18:19]
	global_store_b64 v[22:23], v[24:25], off
	s_cbranch_execnz .LBB55_25
.LBB55_24:                              ;   in Loop: Header=BB55_6 Depth=1
	global_store_b64 v[22:23], v[18:19], off
.LBB55_25:                              ;   in Loop: Header=BB55_6 Depth=1
	s_wait_xcnt 0x0
	s_or_b32 exec_lo, exec_lo, s14
	s_and_saveexec_b32 s14, s33
	s_cbranch_execz .LBB55_5
; %bb.26:                               ;   in Loop: Header=BB55_6 Depth=1
	s_delay_alu instid0(VALU_DEP_3)
	v_mul_f64_e32 v[16:17], s[8:9], v[16:17]
	v_lshl_add_u64 v[18:19], v[10:11], 3, v[20:21]
	s_and_not1_b32 vcc_lo, exec_lo, s18
	s_cbranch_vccnz .LBB55_31
; %bb.27:                               ;   in Loop: Header=BB55_6 Depth=1
	global_load_b64 v[20:21], v[18:19], off
	s_wait_loadcnt 0x0
	v_fma_f64 v[20:21], s[6:7], v[20:21], v[16:17]
	global_store_b64 v[18:19], v[20:21], off
	s_cbranch_execnz .LBB55_5
	s_branch .LBB55_32
.LBB55_28:                              ;   in Loop: Header=BB55_6 Depth=1
	s_branch .LBB55_16
.LBB55_29:                              ;   in Loop: Header=BB55_6 Depth=1
	s_branch .LBB55_20
.LBB55_30:                              ;   in Loop: Header=BB55_6 Depth=1
	s_branch .LBB55_24
.LBB55_31:                              ;   in Loop: Header=BB55_6 Depth=1
.LBB55_32:                              ;   in Loop: Header=BB55_6 Depth=1
	global_store_b64 v[18:19], v[16:17], off
	s_branch .LBB55_5
.LBB55_33:
	s_endpgm
	.section	.rodata,"a",@progbits
	.p2align	6, 0x0
	.amdhsa_kernel _ZL29rocblas_internal_gemmt_kernelIiLi16ELi32ELi8ELc78ELc84ELc85ELb0ELb0EddPKdPdEviT_T9_T10_S3_lS5_S3_lS4_T11_S3_li
		.amdhsa_group_segment_fixed_size 4096
		.amdhsa_private_segment_fixed_size 0
		.amdhsa_kernarg_size 100
		.amdhsa_user_sgpr_count 2
		.amdhsa_user_sgpr_dispatch_ptr 0
		.amdhsa_user_sgpr_queue_ptr 0
		.amdhsa_user_sgpr_kernarg_segment_ptr 1
		.amdhsa_user_sgpr_dispatch_id 0
		.amdhsa_user_sgpr_kernarg_preload_length 0
		.amdhsa_user_sgpr_kernarg_preload_offset 0
		.amdhsa_user_sgpr_private_segment_size 0
		.amdhsa_wavefront_size32 1
		.amdhsa_uses_dynamic_stack 0
		.amdhsa_enable_private_segment 0
		.amdhsa_system_sgpr_workgroup_id_x 1
		.amdhsa_system_sgpr_workgroup_id_y 1
		.amdhsa_system_sgpr_workgroup_id_z 1
		.amdhsa_system_sgpr_workgroup_info 0
		.amdhsa_system_vgpr_workitem_id 1
		.amdhsa_next_free_vgpr 50
		.amdhsa_next_free_sgpr 36
		.amdhsa_named_barrier_count 0
		.amdhsa_reserve_vcc 1
		.amdhsa_float_round_mode_32 0
		.amdhsa_float_round_mode_16_64 0
		.amdhsa_float_denorm_mode_32 3
		.amdhsa_float_denorm_mode_16_64 3
		.amdhsa_fp16_overflow 0
		.amdhsa_memory_ordered 1
		.amdhsa_forward_progress 1
		.amdhsa_inst_pref_size 13
		.amdhsa_round_robin_scheduling 0
		.amdhsa_exception_fp_ieee_invalid_op 0
		.amdhsa_exception_fp_denorm_src 0
		.amdhsa_exception_fp_ieee_div_zero 0
		.amdhsa_exception_fp_ieee_overflow 0
		.amdhsa_exception_fp_ieee_underflow 0
		.amdhsa_exception_fp_ieee_inexact 0
		.amdhsa_exception_int_div_zero 0
	.end_amdhsa_kernel
	.section	.text._ZL29rocblas_internal_gemmt_kernelIiLi16ELi32ELi8ELc78ELc84ELc85ELb0ELb0EddPKdPdEviT_T9_T10_S3_lS5_S3_lS4_T11_S3_li,"axG",@progbits,_ZL29rocblas_internal_gemmt_kernelIiLi16ELi32ELi8ELc78ELc84ELc85ELb0ELb0EddPKdPdEviT_T9_T10_S3_lS5_S3_lS4_T11_S3_li,comdat
.Lfunc_end55:
	.size	_ZL29rocblas_internal_gemmt_kernelIiLi16ELi32ELi8ELc78ELc84ELc85ELb0ELb0EddPKdPdEviT_T9_T10_S3_lS5_S3_lS4_T11_S3_li, .Lfunc_end55-_ZL29rocblas_internal_gemmt_kernelIiLi16ELi32ELi8ELc78ELc84ELc85ELb0ELb0EddPKdPdEviT_T9_T10_S3_lS5_S3_lS4_T11_S3_li
                                        ; -- End function
	.set _ZL29rocblas_internal_gemmt_kernelIiLi16ELi32ELi8ELc78ELc84ELc85ELb0ELb0EddPKdPdEviT_T9_T10_S3_lS5_S3_lS4_T11_S3_li.num_vgpr, 50
	.set _ZL29rocblas_internal_gemmt_kernelIiLi16ELi32ELi8ELc78ELc84ELc85ELb0ELb0EddPKdPdEviT_T9_T10_S3_lS5_S3_lS4_T11_S3_li.num_agpr, 0
	.set _ZL29rocblas_internal_gemmt_kernelIiLi16ELi32ELi8ELc78ELc84ELc85ELb0ELb0EddPKdPdEviT_T9_T10_S3_lS5_S3_lS4_T11_S3_li.numbered_sgpr, 36
	.set _ZL29rocblas_internal_gemmt_kernelIiLi16ELi32ELi8ELc78ELc84ELc85ELb0ELb0EddPKdPdEviT_T9_T10_S3_lS5_S3_lS4_T11_S3_li.num_named_barrier, 0
	.set _ZL29rocblas_internal_gemmt_kernelIiLi16ELi32ELi8ELc78ELc84ELc85ELb0ELb0EddPKdPdEviT_T9_T10_S3_lS5_S3_lS4_T11_S3_li.private_seg_size, 0
	.set _ZL29rocblas_internal_gemmt_kernelIiLi16ELi32ELi8ELc78ELc84ELc85ELb0ELb0EddPKdPdEviT_T9_T10_S3_lS5_S3_lS4_T11_S3_li.uses_vcc, 1
	.set _ZL29rocblas_internal_gemmt_kernelIiLi16ELi32ELi8ELc78ELc84ELc85ELb0ELb0EddPKdPdEviT_T9_T10_S3_lS5_S3_lS4_T11_S3_li.uses_flat_scratch, 0
	.set _ZL29rocblas_internal_gemmt_kernelIiLi16ELi32ELi8ELc78ELc84ELc85ELb0ELb0EddPKdPdEviT_T9_T10_S3_lS5_S3_lS4_T11_S3_li.has_dyn_sized_stack, 0
	.set _ZL29rocblas_internal_gemmt_kernelIiLi16ELi32ELi8ELc78ELc84ELc85ELb0ELb0EddPKdPdEviT_T9_T10_S3_lS5_S3_lS4_T11_S3_li.has_recursion, 0
	.set _ZL29rocblas_internal_gemmt_kernelIiLi16ELi32ELi8ELc78ELc84ELc85ELb0ELb0EddPKdPdEviT_T9_T10_S3_lS5_S3_lS4_T11_S3_li.has_indirect_call, 0
	.section	.AMDGPU.csdata,"",@progbits
; Kernel info:
; codeLenInByte = 1632
; TotalNumSgprs: 38
; NumVgprs: 50
; ScratchSize: 0
; MemoryBound: 0
; FloatMode: 240
; IeeeMode: 1
; LDSByteSize: 4096 bytes/workgroup (compile time only)
; SGPRBlocks: 0
; VGPRBlocks: 3
; NumSGPRsForWavesPerEU: 38
; NumVGPRsForWavesPerEU: 50
; NamedBarCnt: 0
; Occupancy: 16
; WaveLimiterHint : 0
; COMPUTE_PGM_RSRC2:SCRATCH_EN: 0
; COMPUTE_PGM_RSRC2:USER_SGPR: 2
; COMPUTE_PGM_RSRC2:TRAP_HANDLER: 0
; COMPUTE_PGM_RSRC2:TGID_X_EN: 1
; COMPUTE_PGM_RSRC2:TGID_Y_EN: 1
; COMPUTE_PGM_RSRC2:TGID_Z_EN: 1
; COMPUTE_PGM_RSRC2:TIDIG_COMP_CNT: 1
	.section	.text._ZL29rocblas_internal_gemmt_kernelIiLi16ELi32ELi8ELc78ELc67ELc85ELb0ELb0EddPKdPdEviT_T9_T10_S3_lS5_S3_lS4_T11_S3_li,"axG",@progbits,_ZL29rocblas_internal_gemmt_kernelIiLi16ELi32ELi8ELc78ELc67ELc85ELb0ELb0EddPKdPdEviT_T9_T10_S3_lS5_S3_lS4_T11_S3_li,comdat
	.globl	_ZL29rocblas_internal_gemmt_kernelIiLi16ELi32ELi8ELc78ELc67ELc85ELb0ELb0EddPKdPdEviT_T9_T10_S3_lS5_S3_lS4_T11_S3_li ; -- Begin function _ZL29rocblas_internal_gemmt_kernelIiLi16ELi32ELi8ELc78ELc67ELc85ELb0ELb0EddPKdPdEviT_T9_T10_S3_lS5_S3_lS4_T11_S3_li
	.p2align	8
	.type	_ZL29rocblas_internal_gemmt_kernelIiLi16ELi32ELi8ELc78ELc67ELc85ELb0ELb0EddPKdPdEviT_T9_T10_S3_lS5_S3_lS4_T11_S3_li,@function
_ZL29rocblas_internal_gemmt_kernelIiLi16ELi32ELi8ELc78ELc67ELc85ELb0ELb0EddPKdPdEviT_T9_T10_S3_lS5_S3_lS4_T11_S3_li: ; @_ZL29rocblas_internal_gemmt_kernelIiLi16ELi32ELi8ELc78ELc67ELc85ELb0ELb0EddPKdPdEviT_T9_T10_S3_lS5_S3_lS4_T11_S3_li
; %bb.0:
	s_clause 0x2
	s_load_b128 s[4:7], s[0:1], 0x38
	s_load_b64 s[20:21], s[0:1], 0x0
	s_load_b128 s[8:11], s[0:1], 0x8
	s_wait_kmcnt 0x0
	v_cmp_neq_f64_e64 s2, s[6:7], 1.0
	s_and_b32 vcc_lo, exec_lo, s2
	s_cbranch_vccnz .LBB56_2
; %bb.1:
	v_cmp_neq_f64_e64 s2, s[8:9], 0
	s_cmp_lg_u32 s21, 0
	s_cselect_b32 s3, -1, 0
	s_delay_alu instid0(SALU_CYCLE_1)
	s_and_b32 s2, s3, s2
.LBB56_2:
	s_delay_alu instid0(SALU_CYCLE_1)
	s_and_not1_b32 vcc_lo, exec_lo, s2
	s_cbranch_vccnz .LBB56_33
; %bb.3:
	s_load_b32 s19, s[0:1], 0x60
	s_bfe_u32 s2, ttmp6, 0x40014
	s_lshr_b32 s3, ttmp7, 16
	s_add_co_i32 s2, s2, 1
	s_bfe_u32 s13, ttmp6, 0x40008
	s_mul_i32 s12, s3, s2
	s_getreg_b32 s2, hwreg(HW_REG_IB_STS2, 6, 4)
	s_add_co_i32 s13, s13, s12
	s_cmp_eq_u32 s2, 0
	s_mov_b32 s23, 0
	s_cselect_b32 s22, s3, s13
	s_wait_kmcnt 0x0
	s_cmp_ge_u32 s22, s19
	s_cbranch_scc1 .LBB56_33
; %bb.4:
	s_clause 0x4
	s_load_b32 s26, s[0:1], 0x18
	s_load_b32 s28, s[0:1], 0x30
	s_load_b96 s[16:18], s[0:1], 0x48
	s_load_b128 s[12:15], s[0:1], 0x20
	s_load_b64 s[24:25], s[0:1], 0x58
	s_wait_xcnt 0x0
	s_bfe_u32 s1, ttmp6, 0x4000c
	s_bfe_u32 s27, ttmp6, 0x40010
	v_and_b32_e32 v5, 0x3ff, v0
	v_bfe_u32 v11, v0, 10, 10
	s_and_b32 s3, ttmp7, 0xffff
	s_add_co_i32 s1, s1, 1
	s_add_co_i32 s33, s27, 1
	s_and_b32 s0, ttmp6, 15
	s_mul_i32 s1, ttmp9, s1
	v_lshl_add_u32 v1, v11, 4, v5
	s_add_co_i32 s0, s0, s1
	v_and_b32_e32 v0, 7, v0
	v_cmp_neq_f64_e64 s34, s[8:9], 0
	v_lshl_add_u32 v33, v11, 6, 0x800
	v_dual_lshrrev_b32 v4, 3, v1 :: v_dual_bitop2_b32 v6, 31, v1 bitop3:0x40
	s_wait_kmcnt 0x0
	s_ashr_i32 s27, s26, 31
	s_ashr_i32 s31, s18, 31
	s_mov_b32 s30, s18
	s_mul_i32 s18, s3, s33
	s_bfe_u32 s33, ttmp6, 0x40004
	s_ashr_i32 s29, s28, 31
	s_add_co_i32 s33, s33, s18
	s_cmp_eq_u32 s2, 0
	v_lshrrev_b32_e32 v2, 5, v1
	s_cselect_b32 s0, ttmp9, s0
	s_cselect_b32 s1, s3, s33
	s_lshl_b32 s2, s0, 5
	s_delay_alu instid0(SALU_CYCLE_1) | instskip(SKIP_2) | instid1(VALU_DEP_2)
	v_dual_mov_b32 v3, 0 :: v_dual_bitop2_b32 v12, s2, v6 bitop3:0x54
	s_lshl_b32 s0, s1, 5
	v_cmp_neq_f64_e64 s18, s[6:7], 0
	v_dual_mov_b32 v1, v3 :: v_dual_add_nc_u32 v14, s0, v4
	v_add_nc_u32_e32 v16, s0, v11
	v_mul_u64_e32 v[18:19], s[26:27], v[2:3]
	v_lshlrev_b32_e32 v3, 3, v6
	s_delay_alu instid0(VALU_DEP_4) | instskip(SKIP_4) | instid1(VALU_DEP_3)
	v_ashrrev_i32_e32 v15, 31, v14
	v_mul_u64_e32 v[20:21], s[28:29], v[0:1]
	v_dual_add_nc_u32 v22, 16, v16 :: v_dual_ashrrev_i32 v17, 31, v16
	v_lshlrev_b32_e32 v6, 3, v0
	v_lshl_or_b32 v1, v2, 8, v3
	v_dual_lshlrev_b32 v32, 3, v5 :: v_dual_ashrrev_i32 v23, 31, v22
	v_cmp_gt_i32_e64 s0, s20, v12
	s_delay_alu instid0(VALU_DEP_4)
	v_lshl_or_b32 v3, v4, 6, v6
	v_mul_u64_e32 v[6:7], s[30:31], v[16:17]
	v_add_nc_u32_e32 v4, s2, v5
	v_mul_u64_e32 v[8:9], s[30:31], v[22:23]
	v_cmp_gt_i32_e64 s1, s20, v14
	v_lshlrev_b64_e32 v[14:15], 3, v[14:15]
	v_cmp_gt_i32_e32 vcc_lo, s20, v16
	v_add_nc_u32_e32 v10, 16, v4
	v_ashrrev_i32_e32 v13, 31, v12
	v_cmp_le_i32_e64 s2, v4, v16
	s_cmp_gt_i32 s21, 0
	v_add_nc_u32_e32 v3, 0x800, v3
	v_ashrrev_i32_e32 v11, 31, v10
	v_lshlrev_b64_e32 v[12:13], 3, v[12:13]
	v_cmp_le_i32_e64 s3, v10, v16
	s_cselect_b32 s35, -1, 0
	s_and_b32 s30, vcc_lo, s2
	v_cmp_le_i32_e64 s2, v4, v22
	v_ashrrev_i32_e32 v5, 31, v4
	s_and_b32 s31, vcc_lo, s3
	v_cmp_gt_i32_e32 vcc_lo, s20, v22
	v_lshl_add_u64 v[12:13], v[18:19], 3, v[12:13]
	v_cmp_le_i32_e64 s3, v10, v22
	s_and_b32 s34, s34, s35
	v_lshl_add_u64 v[14:15], v[20:21], 3, v[14:15]
	s_and_b32 s20, vcc_lo, s2
	v_add_nc_u64_e32 v[12:13], s[10:11], v[12:13]
	s_and_b32 s33, vcc_lo, s3
	s_lshl_b64 s[2:3], s[12:13], 3
	v_add_nc_u64_e32 v[14:15], s[14:15], v[14:15]
	s_lshl_b64 s[10:11], s[26:27], 6
	s_lshl_b64 s[4:5], s[4:5], 3
	;; [unrolled: 1-line block ×3, first 2 shown]
	s_branch .LBB56_6
.LBB56_5:                               ;   in Loop: Header=BB56_6 Depth=1
	s_wait_xcnt 0x0
	s_or_b32 exec_lo, exec_lo, s14
	s_add_co_i32 s22, s22, 0x10000
	s_delay_alu instid0(SALU_CYCLE_1)
	s_cmp_lt_u32 s22, s19
	s_cbranch_scc0 .LBB56_33
.LBB56_6:                               ; =>This Loop Header: Depth=1
                                        ;     Child Loop BB56_9 Depth 2
	v_mov_b64_e32 v[22:23], 0
	v_mov_b64_e32 v[20:21], 0
	;; [unrolled: 1-line block ×4, first 2 shown]
	s_and_not1_b32 vcc_lo, exec_lo, s34
	s_cbranch_vccnz .LBB56_13
; %bb.7:                                ;   in Loop: Header=BB56_6 Depth=1
	v_mad_nc_u64_u32 v[24:25], s2, s22, v[12:13]
	v_mad_nc_u64_u32 v[26:27], s4, s22, v[14:15]
	v_mov_b64_e32 v[16:17], 0
	v_mov_b64_e32 v[18:19], 0
	;; [unrolled: 1-line block ×4, first 2 shown]
	s_mov_b32 s14, 0
	v_mad_u32 v25, s3, s22, v25
	v_mad_u32 v27, s5, s22, v27
	s_branch .LBB56_9
.LBB56_8:                               ;   in Loop: Header=BB56_9 Depth=2
	s_wait_xcnt 0x0
	s_or_b32 exec_lo, exec_lo, s15
	s_wait_loadcnt 0x0
	ds_store_b64 v3, v[30:31]
	s_wait_dscnt 0x0
	s_barrier_signal -1
	s_barrier_wait -1
	ds_load_b128 v[28:31], v33
	ds_load_2addr_b64 v[34:37], v32 offset1:16
	ds_load_b128 v[38:41], v33 offset:1024
	ds_load_b128 v[42:45], v33 offset:16
	;; [unrolled: 1-line block ×3, first 2 shown]
	v_add_nc_u64_e32 v[24:25], s[10:11], v[24:25]
	v_add_nc_u64_e32 v[26:27], s[12:13], v[26:27]
	s_add_co_i32 s14, s14, 8
	s_delay_alu instid0(SALU_CYCLE_1)
	s_cmp_lt_i32 s14, s21
	s_wait_dscnt 0x3
	v_fmac_f64_e32 v[22:23], v[34:35], v[28:29]
	v_fmac_f64_e32 v[20:21], v[36:37], v[28:29]
	s_wait_dscnt 0x2
	v_fmac_f64_e32 v[18:19], v[34:35], v[38:39]
	v_fmac_f64_e32 v[16:17], v[36:37], v[38:39]
	ds_load_2addr_b64 v[34:37], v32 offset0:32 offset1:48
	s_wait_dscnt 0x0
	v_fmac_f64_e32 v[22:23], v[34:35], v[30:31]
	v_fmac_f64_e32 v[20:21], v[36:37], v[30:31]
	v_fmac_f64_e32 v[18:19], v[34:35], v[40:41]
	v_fmac_f64_e32 v[16:17], v[36:37], v[40:41]
	ds_load_2addr_b64 v[28:31], v32 offset0:64 offset1:80
	s_wait_dscnt 0x0
	v_fmac_f64_e32 v[22:23], v[28:29], v[42:43]
	v_fmac_f64_e32 v[20:21], v[30:31], v[42:43]
	;; [unrolled: 6-line block ×3, first 2 shown]
	v_fmac_f64_e32 v[18:19], v[28:29], v[48:49]
	v_fmac_f64_e32 v[16:17], v[30:31], v[48:49]
	ds_load_b128 v[28:31], v33 offset:32
	ds_load_2addr_b64 v[34:37], v32 offset0:128 offset1:144
	ds_load_b128 v[38:41], v33 offset:1056
	ds_load_b128 v[42:45], v33 offset:48
	;; [unrolled: 1-line block ×3, first 2 shown]
	s_wait_dscnt 0x3
	v_fmac_f64_e32 v[22:23], v[34:35], v[28:29]
	v_fmac_f64_e32 v[20:21], v[36:37], v[28:29]
	s_wait_dscnt 0x2
	v_fmac_f64_e32 v[18:19], v[34:35], v[38:39]
	v_fmac_f64_e32 v[16:17], v[36:37], v[38:39]
	ds_load_2addr_b64 v[34:37], v32 offset0:160 offset1:176
	s_wait_dscnt 0x0
	v_fmac_f64_e32 v[22:23], v[34:35], v[30:31]
	v_fmac_f64_e32 v[20:21], v[36:37], v[30:31]
	;; [unrolled: 1-line block ×4, first 2 shown]
	ds_load_2addr_b64 v[28:31], v32 offset0:192 offset1:208
	s_wait_dscnt 0x0
	v_fmac_f64_e32 v[22:23], v[28:29], v[42:43]
	v_fmac_f64_e32 v[20:21], v[30:31], v[42:43]
	;; [unrolled: 1-line block ×4, first 2 shown]
	ds_load_2addr_b64 v[28:31], v32 offset0:224 offset1:240
	s_wait_dscnt 0x0
	s_barrier_signal -1
	s_barrier_wait -1
	v_fmac_f64_e32 v[22:23], v[28:29], v[44:45]
	v_fmac_f64_e32 v[20:21], v[30:31], v[44:45]
	v_fmac_f64_e32 v[18:19], v[28:29], v[48:49]
	v_fmac_f64_e32 v[16:17], v[30:31], v[48:49]
	s_cbranch_scc0 .LBB56_13
.LBB56_9:                               ;   Parent Loop BB56_6 Depth=1
                                        ; =>  This Inner Loop Header: Depth=2
	v_add_nc_u32_e32 v28, s14, v2
	s_delay_alu instid0(VALU_DEP_1) | instskip(SKIP_2) | instid1(SALU_CYCLE_1)
	v_cmp_gt_i32_e32 vcc_lo, s21, v28
	v_mov_b64_e32 v[28:29], 0
	s_and_b32 s26, s0, vcc_lo
	s_and_saveexec_b32 s15, s26
	s_cbranch_execz .LBB56_11
; %bb.10:                               ;   in Loop: Header=BB56_9 Depth=2
	global_load_b64 v[28:29], v[24:25], off
.LBB56_11:                              ;   in Loop: Header=BB56_9 Depth=2
	s_wait_xcnt 0x0
	s_or_b32 exec_lo, exec_lo, s15
	v_add_nc_u32_e32 v30, s14, v0
	s_wait_loadcnt 0x0
	ds_store_b64 v1, v[28:29]
	v_cmp_gt_i32_e32 vcc_lo, s21, v30
	v_mov_b64_e32 v[30:31], 0
	s_and_b32 s26, vcc_lo, s1
	s_delay_alu instid0(SALU_CYCLE_1)
	s_and_saveexec_b32 s15, s26
	s_cbranch_execz .LBB56_8
; %bb.12:                               ;   in Loop: Header=BB56_9 Depth=2
	global_load_b64 v[30:31], v[26:27], off
	s_branch .LBB56_8
.LBB56_13:                              ;   in Loop: Header=BB56_6 Depth=1
	s_mul_u64 s[14:15], s[24:25], s[22:23]
	s_delay_alu instid0(SALU_CYCLE_1) | instskip(NEXT) | instid1(SALU_CYCLE_1)
	s_lshl_b64 s[14:15], s[14:15], 3
	s_add_nc_u64 s[14:15], s[16:17], s[14:15]
	s_delay_alu instid0(SALU_CYCLE_1)
	v_lshl_add_u64 v[24:25], v[6:7], 3, s[14:15]
	s_and_saveexec_b32 s26, s30
	s_cbranch_execz .LBB56_17
; %bb.14:                               ;   in Loop: Header=BB56_6 Depth=1
	v_mul_f64_e32 v[22:23], s[8:9], v[22:23]
	s_delay_alu instid0(VALU_DEP_2)
	v_lshl_add_u64 v[26:27], v[4:5], 3, v[24:25]
	s_and_b32 vcc_lo, exec_lo, s18
	s_cbranch_vccz .LBB56_28
; %bb.15:                               ;   in Loop: Header=BB56_6 Depth=1
	global_load_b64 v[28:29], v[26:27], off
	s_wait_loadcnt 0x0
	v_fma_f64 v[28:29], s[6:7], v[28:29], v[22:23]
	global_store_b64 v[26:27], v[28:29], off
	s_cbranch_execnz .LBB56_17
.LBB56_16:                              ;   in Loop: Header=BB56_6 Depth=1
	global_store_b64 v[26:27], v[22:23], off
.LBB56_17:                              ;   in Loop: Header=BB56_6 Depth=1
	s_wait_xcnt 0x0
	s_or_b32 exec_lo, exec_lo, s26
	s_and_saveexec_b32 s26, s31
	s_cbranch_execz .LBB56_21
; %bb.18:                               ;   in Loop: Header=BB56_6 Depth=1
	s_delay_alu instid0(VALU_DEP_4)
	v_mul_f64_e32 v[20:21], s[8:9], v[20:21]
	v_lshl_add_u64 v[22:23], v[10:11], 3, v[24:25]
	s_and_not1_b32 vcc_lo, exec_lo, s18
	s_cbranch_vccnz .LBB56_29
; %bb.19:                               ;   in Loop: Header=BB56_6 Depth=1
	global_load_b64 v[24:25], v[22:23], off
	s_wait_loadcnt 0x0
	v_fma_f64 v[24:25], s[6:7], v[24:25], v[20:21]
	global_store_b64 v[22:23], v[24:25], off
	s_cbranch_execnz .LBB56_21
.LBB56_20:                              ;   in Loop: Header=BB56_6 Depth=1
	global_store_b64 v[22:23], v[20:21], off
.LBB56_21:                              ;   in Loop: Header=BB56_6 Depth=1
	s_wait_xcnt 0x0
	s_or_b32 exec_lo, exec_lo, s26
	v_lshl_add_u64 v[20:21], v[8:9], 3, s[14:15]
	s_and_saveexec_b32 s14, s20
	s_cbranch_execz .LBB56_25
; %bb.22:                               ;   in Loop: Header=BB56_6 Depth=1
	s_delay_alu instid0(VALU_DEP_4) | instskip(NEXT) | instid1(VALU_DEP_2)
	v_mul_f64_e32 v[18:19], s[8:9], v[18:19]
	v_lshl_add_u64 v[22:23], v[4:5], 3, v[20:21]
	s_and_not1_b32 vcc_lo, exec_lo, s18
	s_cbranch_vccnz .LBB56_30
; %bb.23:                               ;   in Loop: Header=BB56_6 Depth=1
	global_load_b64 v[24:25], v[22:23], off
	s_wait_loadcnt 0x0
	v_fma_f64 v[24:25], s[6:7], v[24:25], v[18:19]
	global_store_b64 v[22:23], v[24:25], off
	s_cbranch_execnz .LBB56_25
.LBB56_24:                              ;   in Loop: Header=BB56_6 Depth=1
	global_store_b64 v[22:23], v[18:19], off
.LBB56_25:                              ;   in Loop: Header=BB56_6 Depth=1
	s_wait_xcnt 0x0
	s_or_b32 exec_lo, exec_lo, s14
	s_and_saveexec_b32 s14, s33
	s_cbranch_execz .LBB56_5
; %bb.26:                               ;   in Loop: Header=BB56_6 Depth=1
	s_delay_alu instid0(VALU_DEP_3)
	v_mul_f64_e32 v[16:17], s[8:9], v[16:17]
	v_lshl_add_u64 v[18:19], v[10:11], 3, v[20:21]
	s_and_not1_b32 vcc_lo, exec_lo, s18
	s_cbranch_vccnz .LBB56_31
; %bb.27:                               ;   in Loop: Header=BB56_6 Depth=1
	global_load_b64 v[20:21], v[18:19], off
	s_wait_loadcnt 0x0
	v_fma_f64 v[20:21], s[6:7], v[20:21], v[16:17]
	global_store_b64 v[18:19], v[20:21], off
	s_cbranch_execnz .LBB56_5
	s_branch .LBB56_32
.LBB56_28:                              ;   in Loop: Header=BB56_6 Depth=1
	s_branch .LBB56_16
.LBB56_29:                              ;   in Loop: Header=BB56_6 Depth=1
	s_branch .LBB56_20
.LBB56_30:                              ;   in Loop: Header=BB56_6 Depth=1
	s_branch .LBB56_24
.LBB56_31:                              ;   in Loop: Header=BB56_6 Depth=1
.LBB56_32:                              ;   in Loop: Header=BB56_6 Depth=1
	global_store_b64 v[18:19], v[16:17], off
	s_branch .LBB56_5
.LBB56_33:
	s_endpgm
	.section	.rodata,"a",@progbits
	.p2align	6, 0x0
	.amdhsa_kernel _ZL29rocblas_internal_gemmt_kernelIiLi16ELi32ELi8ELc78ELc67ELc85ELb0ELb0EddPKdPdEviT_T9_T10_S3_lS5_S3_lS4_T11_S3_li
		.amdhsa_group_segment_fixed_size 4096
		.amdhsa_private_segment_fixed_size 0
		.amdhsa_kernarg_size 100
		.amdhsa_user_sgpr_count 2
		.amdhsa_user_sgpr_dispatch_ptr 0
		.amdhsa_user_sgpr_queue_ptr 0
		.amdhsa_user_sgpr_kernarg_segment_ptr 1
		.amdhsa_user_sgpr_dispatch_id 0
		.amdhsa_user_sgpr_kernarg_preload_length 0
		.amdhsa_user_sgpr_kernarg_preload_offset 0
		.amdhsa_user_sgpr_private_segment_size 0
		.amdhsa_wavefront_size32 1
		.amdhsa_uses_dynamic_stack 0
		.amdhsa_enable_private_segment 0
		.amdhsa_system_sgpr_workgroup_id_x 1
		.amdhsa_system_sgpr_workgroup_id_y 1
		.amdhsa_system_sgpr_workgroup_id_z 1
		.amdhsa_system_sgpr_workgroup_info 0
		.amdhsa_system_vgpr_workitem_id 1
		.amdhsa_next_free_vgpr 50
		.amdhsa_next_free_sgpr 36
		.amdhsa_named_barrier_count 0
		.amdhsa_reserve_vcc 1
		.amdhsa_float_round_mode_32 0
		.amdhsa_float_round_mode_16_64 0
		.amdhsa_float_denorm_mode_32 3
		.amdhsa_float_denorm_mode_16_64 3
		.amdhsa_fp16_overflow 0
		.amdhsa_memory_ordered 1
		.amdhsa_forward_progress 1
		.amdhsa_inst_pref_size 13
		.amdhsa_round_robin_scheduling 0
		.amdhsa_exception_fp_ieee_invalid_op 0
		.amdhsa_exception_fp_denorm_src 0
		.amdhsa_exception_fp_ieee_div_zero 0
		.amdhsa_exception_fp_ieee_overflow 0
		.amdhsa_exception_fp_ieee_underflow 0
		.amdhsa_exception_fp_ieee_inexact 0
		.amdhsa_exception_int_div_zero 0
	.end_amdhsa_kernel
	.section	.text._ZL29rocblas_internal_gemmt_kernelIiLi16ELi32ELi8ELc78ELc67ELc85ELb0ELb0EddPKdPdEviT_T9_T10_S3_lS5_S3_lS4_T11_S3_li,"axG",@progbits,_ZL29rocblas_internal_gemmt_kernelIiLi16ELi32ELi8ELc78ELc67ELc85ELb0ELb0EddPKdPdEviT_T9_T10_S3_lS5_S3_lS4_T11_S3_li,comdat
.Lfunc_end56:
	.size	_ZL29rocblas_internal_gemmt_kernelIiLi16ELi32ELi8ELc78ELc67ELc85ELb0ELb0EddPKdPdEviT_T9_T10_S3_lS5_S3_lS4_T11_S3_li, .Lfunc_end56-_ZL29rocblas_internal_gemmt_kernelIiLi16ELi32ELi8ELc78ELc67ELc85ELb0ELb0EddPKdPdEviT_T9_T10_S3_lS5_S3_lS4_T11_S3_li
                                        ; -- End function
	.set _ZL29rocblas_internal_gemmt_kernelIiLi16ELi32ELi8ELc78ELc67ELc85ELb0ELb0EddPKdPdEviT_T9_T10_S3_lS5_S3_lS4_T11_S3_li.num_vgpr, 50
	.set _ZL29rocblas_internal_gemmt_kernelIiLi16ELi32ELi8ELc78ELc67ELc85ELb0ELb0EddPKdPdEviT_T9_T10_S3_lS5_S3_lS4_T11_S3_li.num_agpr, 0
	.set _ZL29rocblas_internal_gemmt_kernelIiLi16ELi32ELi8ELc78ELc67ELc85ELb0ELb0EddPKdPdEviT_T9_T10_S3_lS5_S3_lS4_T11_S3_li.numbered_sgpr, 36
	.set _ZL29rocblas_internal_gemmt_kernelIiLi16ELi32ELi8ELc78ELc67ELc85ELb0ELb0EddPKdPdEviT_T9_T10_S3_lS5_S3_lS4_T11_S3_li.num_named_barrier, 0
	.set _ZL29rocblas_internal_gemmt_kernelIiLi16ELi32ELi8ELc78ELc67ELc85ELb0ELb0EddPKdPdEviT_T9_T10_S3_lS5_S3_lS4_T11_S3_li.private_seg_size, 0
	.set _ZL29rocblas_internal_gemmt_kernelIiLi16ELi32ELi8ELc78ELc67ELc85ELb0ELb0EddPKdPdEviT_T9_T10_S3_lS5_S3_lS4_T11_S3_li.uses_vcc, 1
	.set _ZL29rocblas_internal_gemmt_kernelIiLi16ELi32ELi8ELc78ELc67ELc85ELb0ELb0EddPKdPdEviT_T9_T10_S3_lS5_S3_lS4_T11_S3_li.uses_flat_scratch, 0
	.set _ZL29rocblas_internal_gemmt_kernelIiLi16ELi32ELi8ELc78ELc67ELc85ELb0ELb0EddPKdPdEviT_T9_T10_S3_lS5_S3_lS4_T11_S3_li.has_dyn_sized_stack, 0
	.set _ZL29rocblas_internal_gemmt_kernelIiLi16ELi32ELi8ELc78ELc67ELc85ELb0ELb0EddPKdPdEviT_T9_T10_S3_lS5_S3_lS4_T11_S3_li.has_recursion, 0
	.set _ZL29rocblas_internal_gemmt_kernelIiLi16ELi32ELi8ELc78ELc67ELc85ELb0ELb0EddPKdPdEviT_T9_T10_S3_lS5_S3_lS4_T11_S3_li.has_indirect_call, 0
	.section	.AMDGPU.csdata,"",@progbits
; Kernel info:
; codeLenInByte = 1632
; TotalNumSgprs: 38
; NumVgprs: 50
; ScratchSize: 0
; MemoryBound: 0
; FloatMode: 240
; IeeeMode: 1
; LDSByteSize: 4096 bytes/workgroup (compile time only)
; SGPRBlocks: 0
; VGPRBlocks: 3
; NumSGPRsForWavesPerEU: 38
; NumVGPRsForWavesPerEU: 50
; NamedBarCnt: 0
; Occupancy: 16
; WaveLimiterHint : 0
; COMPUTE_PGM_RSRC2:SCRATCH_EN: 0
; COMPUTE_PGM_RSRC2:USER_SGPR: 2
; COMPUTE_PGM_RSRC2:TRAP_HANDLER: 0
; COMPUTE_PGM_RSRC2:TGID_X_EN: 1
; COMPUTE_PGM_RSRC2:TGID_Y_EN: 1
; COMPUTE_PGM_RSRC2:TGID_Z_EN: 1
; COMPUTE_PGM_RSRC2:TIDIG_COMP_CNT: 1
	.section	.text._ZL29rocblas_internal_gemmt_kernelIiLi16ELi32ELi8ELc84ELc78ELc85ELb0ELb0EddPKdPdEviT_T9_T10_S3_lS5_S3_lS4_T11_S3_li,"axG",@progbits,_ZL29rocblas_internal_gemmt_kernelIiLi16ELi32ELi8ELc84ELc78ELc85ELb0ELb0EddPKdPdEviT_T9_T10_S3_lS5_S3_lS4_T11_S3_li,comdat
	.globl	_ZL29rocblas_internal_gemmt_kernelIiLi16ELi32ELi8ELc84ELc78ELc85ELb0ELb0EddPKdPdEviT_T9_T10_S3_lS5_S3_lS4_T11_S3_li ; -- Begin function _ZL29rocblas_internal_gemmt_kernelIiLi16ELi32ELi8ELc84ELc78ELc85ELb0ELb0EddPKdPdEviT_T9_T10_S3_lS5_S3_lS4_T11_S3_li
	.p2align	8
	.type	_ZL29rocblas_internal_gemmt_kernelIiLi16ELi32ELi8ELc84ELc78ELc85ELb0ELb0EddPKdPdEviT_T9_T10_S3_lS5_S3_lS4_T11_S3_li,@function
_ZL29rocblas_internal_gemmt_kernelIiLi16ELi32ELi8ELc84ELc78ELc85ELb0ELb0EddPKdPdEviT_T9_T10_S3_lS5_S3_lS4_T11_S3_li: ; @_ZL29rocblas_internal_gemmt_kernelIiLi16ELi32ELi8ELc84ELc78ELc85ELb0ELb0EddPKdPdEviT_T9_T10_S3_lS5_S3_lS4_T11_S3_li
; %bb.0:
	s_clause 0x2
	s_load_b128 s[8:11], s[0:1], 0x38
	s_load_b64 s[4:5], s[0:1], 0x0
	s_load_b128 s[12:15], s[0:1], 0x8
	s_wait_kmcnt 0x0
	v_cmp_neq_f64_e64 s2, s[10:11], 1.0
	s_and_b32 vcc_lo, exec_lo, s2
	s_cbranch_vccnz .LBB57_2
; %bb.1:
	v_cmp_neq_f64_e64 s2, s[12:13], 0
	s_cmp_lg_u32 s5, 0
	s_cselect_b32 s3, -1, 0
	s_delay_alu instid0(SALU_CYCLE_1)
	s_and_b32 s2, s3, s2
.LBB57_2:
	s_delay_alu instid0(SALU_CYCLE_1)
	s_and_not1_b32 vcc_lo, exec_lo, s2
	s_cbranch_vccnz .LBB57_33
; %bb.3:
	s_load_b32 s23, s[0:1], 0x60
	s_bfe_u32 s2, ttmp6, 0x40014
	s_lshr_b32 s3, ttmp7, 16
	s_add_co_i32 s2, s2, 1
	s_bfe_u32 s6, ttmp6, 0x40008
	s_mul_i32 s2, s3, s2
	s_getreg_b32 s28, hwreg(HW_REG_IB_STS2, 6, 4)
	s_add_co_i32 s6, s6, s2
	s_cmp_eq_u32 s28, 0
	s_mov_b32 s7, 0
	s_cselect_b32 s6, s3, s6
	s_wait_kmcnt 0x0
	s_cmp_ge_u32 s6, s23
	s_cbranch_scc1 .LBB57_33
; %bb.4:
	s_clause 0x3
	s_load_b32 s26, s[0:1], 0x18
	s_load_b32 s2, s[0:1], 0x30
	s_load_b96 s[20:22], s[0:1], 0x48
	s_load_b128 s[16:19], s[0:1], 0x20
	v_and_b32_e32 v5, 0x3ff, v0
	v_bfe_u32 v17, v0, 10, 10
	s_load_b64 s[24:25], s[0:1], 0x58
	s_wait_xcnt 0x0
	s_bfe_u32 s1, ttmp6, 0x4000c
	s_bfe_u32 s3, ttmp6, 0x40010
	s_and_b32 s30, ttmp7, 0xffff
	s_add_co_i32 s1, s1, 1
	s_add_co_i32 s3, s3, 1
	v_lshl_add_u32 v1, v17, 4, v5
	s_and_b32 s0, ttmp6, 15
	s_bfe_u32 s31, ttmp6, 0x40004
	s_mul_i32 s1, ttmp9, s1
	s_mul_i32 s33, s30, s3
	s_add_co_i32 s0, s0, s1
	s_add_co_i32 s31, s31, s33
	v_dual_lshrrev_b32 v4, 3, v1 :: v_dual_bitop2_b32 v18, 31, v1 bitop3:0x40
	s_wait_kmcnt 0x0
	s_ashr_i32 s27, s26, 31
	s_ashr_i32 s3, s2, 31
	;; [unrolled: 1-line block ×3, first 2 shown]
	s_cmp_eq_u32 s28, 0
	v_dual_lshrrev_b32 v28, 5, v1 :: v_dual_bitop2_b32 v29, 7, v0 bitop3:0x40
	s_cselect_b32 s0, ttmp9, s0
	s_cselect_b32 s1, s30, s31
	s_lshl_b32 s30, s0, 5
	s_lshl_b32 s0, s1, 5
	s_delay_alu instid0(SALU_CYCLE_1) | instskip(SKIP_2) | instid1(VALU_DEP_2)
	v_dual_add_nc_u32 v6, s0, v4 :: v_dual_bitop2_b32 v2, s30, v18 bitop3:0x54
	s_mov_b32 s28, s22
	v_add_nc_u32_e32 v8, s0, v17
	v_dual_lshlrev_b32 v16, 3, v29 :: v_dual_ashrrev_i32 v3, 31, v2
	s_delay_alu instid0(VALU_DEP_3) | instskip(SKIP_1) | instid1(VALU_DEP_4)
	v_ashrrev_i32_e32 v7, 31, v6
	v_cmp_neq_f64_e64 s31, s[12:13], 0
	v_dual_add_nc_u32 v14, 16, v8 :: v_dual_ashrrev_i32 v9, 31, v8
	s_delay_alu instid0(VALU_DEP_4) | instskip(NEXT) | instid1(VALU_DEP_4)
	v_mul_u64_e32 v[10:11], s[26:27], v[2:3]
	v_mul_u64_e32 v[12:13], s[2:3], v[6:7]
	v_cmp_gt_i32_e64 s0, s4, v2
	s_delay_alu instid0(VALU_DEP_4)
	v_ashrrev_i32_e32 v15, 31, v14
	v_dual_lshlrev_b32 v7, 3, v18 :: v_dual_lshlrev_b32 v32, 3, v5
	v_lshl_or_b32 v18, v4, 6, v16
	v_cmp_neq_f64_e64 s22, s[10:11], 0
	v_mul_u64_e32 v[0:1], s[28:29], v[8:9]
	v_add_nc_u32_e32 v4, s30, v5
	v_mul_u64_e32 v[2:3], s[28:29], v[14:15]
	v_cmp_gt_i32_e64 s1, s4, v6
	v_cmp_gt_i32_e32 vcc_lo, s4, v8
	s_delay_alu instid0(VALU_DEP_4)
	v_dual_mov_b32 v9, 0 :: v_dual_add_nc_u32 v6, 16, v4
	v_cmp_le_i32_e64 s2, v4, v8
	s_cmp_gt_i32 s5, 0
	v_lshl_add_u32 v33, v17, 6, 0x800
	s_cselect_b32 s33, -1, 0
	v_dual_ashrrev_i32 v5, 31, v4 :: v_dual_mov_b32 v17, v9
	s_and_b32 s26, vcc_lo, s2
	v_cmp_le_i32_e64 s2, v6, v8
	v_lshlrev_b32_e32 v8, 3, v28
	v_lshl_or_b32 v30, v28, 8, v7
	v_ashrrev_i32_e32 v7, 31, v6
	v_cmp_gt_i32_e64 s3, s4, v14
	v_cmp_le_i32_e64 s4, v4, v14
	s_and_b32 s27, vcc_lo, s2
	v_cmp_le_i32_e32 vcc_lo, v6, v14
	v_add_nc_u32_e32 v31, 0x800, v18
	s_lshl_b64 s[8:9], s[8:9], 3
	v_lshl_add_u64 v[8:9], v[10:11], 3, v[8:9]
	v_lshl_add_u64 v[10:11], v[12:13], 3, v[16:17]
	s_and_b32 s4, s3, s4
	s_delay_alu instid0(VALU_DEP_2) | instskip(NEXT) | instid1(VALU_DEP_2)
	v_add_nc_u64_e32 v[8:9], s[14:15], v[8:9]
	v_add_nc_u64_e32 v[10:11], s[18:19], v[10:11]
	s_and_b32 s18, s31, s33
	s_and_b32 s19, s3, vcc_lo
	s_lshl_b64 s[2:3], s[16:17], 3
	s_branch .LBB57_6
.LBB57_5:                               ;   in Loop: Header=BB57_6 Depth=1
	s_wait_xcnt 0x0
	s_or_b32 exec_lo, exec_lo, s14
	s_add_co_i32 s6, s6, 0x10000
	s_delay_alu instid0(SALU_CYCLE_1)
	s_cmp_lt_u32 s6, s23
	s_cbranch_scc0 .LBB57_33
.LBB57_6:                               ; =>This Loop Header: Depth=1
                                        ;     Child Loop BB57_9 Depth 2
	v_mov_b64_e32 v[18:19], 0
	v_mov_b64_e32 v[16:17], 0
	;; [unrolled: 1-line block ×4, first 2 shown]
	s_and_not1_b32 vcc_lo, exec_lo, s18
	s_cbranch_vccnz .LBB57_13
; %bb.7:                                ;   in Loop: Header=BB57_6 Depth=1
	v_mad_nc_u64_u32 v[20:21], s2, s6, v[8:9]
	v_mad_nc_u64_u32 v[22:23], s8, s6, v[10:11]
	v_mov_b64_e32 v[12:13], 0
	v_mov_b64_e32 v[14:15], 0
	;; [unrolled: 1-line block ×4, first 2 shown]
	s_mov_b32 s14, 0
	v_mad_u32 v21, s3, s6, v21
	v_mad_u32 v23, s9, s6, v23
	s_branch .LBB57_9
.LBB57_8:                               ;   in Loop: Header=BB57_9 Depth=2
	s_wait_xcnt 0x0
	s_or_b32 exec_lo, exec_lo, s15
	s_wait_loadcnt 0x0
	ds_store_b64 v31, v[26:27]
	s_wait_dscnt 0x0
	s_barrier_signal -1
	s_barrier_wait -1
	ds_load_b128 v[24:27], v33
	ds_load_2addr_b64 v[34:37], v32 offset1:16
	ds_load_b128 v[38:41], v33 offset:1024
	ds_load_b128 v[42:45], v33 offset:16
	;; [unrolled: 1-line block ×3, first 2 shown]
	v_add_nc_u64_e32 v[20:21], 64, v[20:21]
	v_add_nc_u64_e32 v[22:23], 64, v[22:23]
	s_add_co_i32 s14, s14, 8
	s_delay_alu instid0(SALU_CYCLE_1)
	s_cmp_lt_i32 s14, s5
	s_wait_dscnt 0x3
	v_fmac_f64_e32 v[18:19], v[34:35], v[24:25]
	v_fmac_f64_e32 v[16:17], v[36:37], v[24:25]
	s_wait_dscnt 0x2
	v_fmac_f64_e32 v[14:15], v[34:35], v[38:39]
	v_fmac_f64_e32 v[12:13], v[36:37], v[38:39]
	ds_load_2addr_b64 v[34:37], v32 offset0:32 offset1:48
	s_wait_dscnt 0x0
	v_fmac_f64_e32 v[18:19], v[34:35], v[26:27]
	v_fmac_f64_e32 v[16:17], v[36:37], v[26:27]
	v_fmac_f64_e32 v[14:15], v[34:35], v[40:41]
	v_fmac_f64_e32 v[12:13], v[36:37], v[40:41]
	ds_load_2addr_b64 v[24:27], v32 offset0:64 offset1:80
	s_wait_dscnt 0x0
	v_fmac_f64_e32 v[18:19], v[24:25], v[42:43]
	v_fmac_f64_e32 v[16:17], v[26:27], v[42:43]
	;; [unrolled: 6-line block ×3, first 2 shown]
	v_fmac_f64_e32 v[14:15], v[24:25], v[48:49]
	v_fmac_f64_e32 v[12:13], v[26:27], v[48:49]
	ds_load_b128 v[24:27], v33 offset:32
	ds_load_2addr_b64 v[34:37], v32 offset0:128 offset1:144
	ds_load_b128 v[38:41], v33 offset:1056
	ds_load_b128 v[42:45], v33 offset:48
	;; [unrolled: 1-line block ×3, first 2 shown]
	s_wait_dscnt 0x3
	v_fmac_f64_e32 v[18:19], v[34:35], v[24:25]
	v_fmac_f64_e32 v[16:17], v[36:37], v[24:25]
	s_wait_dscnt 0x2
	v_fmac_f64_e32 v[14:15], v[34:35], v[38:39]
	v_fmac_f64_e32 v[12:13], v[36:37], v[38:39]
	ds_load_2addr_b64 v[34:37], v32 offset0:160 offset1:176
	s_wait_dscnt 0x0
	v_fmac_f64_e32 v[18:19], v[34:35], v[26:27]
	v_fmac_f64_e32 v[16:17], v[36:37], v[26:27]
	;; [unrolled: 1-line block ×4, first 2 shown]
	ds_load_2addr_b64 v[24:27], v32 offset0:192 offset1:208
	s_wait_dscnt 0x0
	v_fmac_f64_e32 v[18:19], v[24:25], v[42:43]
	v_fmac_f64_e32 v[16:17], v[26:27], v[42:43]
	;; [unrolled: 1-line block ×4, first 2 shown]
	ds_load_2addr_b64 v[24:27], v32 offset0:224 offset1:240
	s_wait_dscnt 0x0
	s_barrier_signal -1
	s_barrier_wait -1
	v_fmac_f64_e32 v[18:19], v[24:25], v[44:45]
	v_fmac_f64_e32 v[16:17], v[26:27], v[44:45]
	;; [unrolled: 1-line block ×4, first 2 shown]
	s_cbranch_scc0 .LBB57_13
.LBB57_9:                               ;   Parent Loop BB57_6 Depth=1
                                        ; =>  This Inner Loop Header: Depth=2
	v_add_nc_u32_e32 v24, s14, v28
	s_delay_alu instid0(VALU_DEP_1) | instskip(SKIP_2) | instid1(SALU_CYCLE_1)
	v_cmp_gt_i32_e32 vcc_lo, s5, v24
	v_mov_b64_e32 v[24:25], 0
	s_and_b32 s16, s0, vcc_lo
	s_and_saveexec_b32 s15, s16
	s_cbranch_execz .LBB57_11
; %bb.10:                               ;   in Loop: Header=BB57_9 Depth=2
	global_load_b64 v[24:25], v[20:21], off
.LBB57_11:                              ;   in Loop: Header=BB57_9 Depth=2
	s_wait_xcnt 0x0
	s_or_b32 exec_lo, exec_lo, s15
	v_add_nc_u32_e32 v26, s14, v29
	s_wait_loadcnt 0x0
	ds_store_b64 v30, v[24:25]
	v_cmp_gt_i32_e32 vcc_lo, s5, v26
	v_mov_b64_e32 v[26:27], 0
	s_and_b32 s16, vcc_lo, s1
	s_delay_alu instid0(SALU_CYCLE_1)
	s_and_saveexec_b32 s15, s16
	s_cbranch_execz .LBB57_8
; %bb.12:                               ;   in Loop: Header=BB57_9 Depth=2
	global_load_b64 v[26:27], v[22:23], off
	s_branch .LBB57_8
.LBB57_13:                              ;   in Loop: Header=BB57_6 Depth=1
	s_mul_u64 s[14:15], s[24:25], s[6:7]
	s_delay_alu instid0(SALU_CYCLE_1) | instskip(NEXT) | instid1(SALU_CYCLE_1)
	s_lshl_b64 s[14:15], s[14:15], 3
	s_add_nc_u64 s[14:15], s[20:21], s[14:15]
	s_delay_alu instid0(SALU_CYCLE_1)
	v_lshl_add_u64 v[20:21], v[0:1], 3, s[14:15]
	s_and_saveexec_b32 s16, s26
	s_cbranch_execz .LBB57_17
; %bb.14:                               ;   in Loop: Header=BB57_6 Depth=1
	v_mul_f64_e32 v[18:19], s[12:13], v[18:19]
	s_delay_alu instid0(VALU_DEP_2)
	v_lshl_add_u64 v[22:23], v[4:5], 3, v[20:21]
	s_and_b32 vcc_lo, exec_lo, s22
	s_cbranch_vccz .LBB57_28
; %bb.15:                               ;   in Loop: Header=BB57_6 Depth=1
	global_load_b64 v[24:25], v[22:23], off
	s_wait_loadcnt 0x0
	v_fma_f64 v[24:25], s[10:11], v[24:25], v[18:19]
	global_store_b64 v[22:23], v[24:25], off
	s_cbranch_execnz .LBB57_17
.LBB57_16:                              ;   in Loop: Header=BB57_6 Depth=1
	global_store_b64 v[22:23], v[18:19], off
.LBB57_17:                              ;   in Loop: Header=BB57_6 Depth=1
	s_wait_xcnt 0x0
	s_or_b32 exec_lo, exec_lo, s16
	s_and_saveexec_b32 s16, s27
	s_cbranch_execz .LBB57_21
; %bb.18:                               ;   in Loop: Header=BB57_6 Depth=1
	s_delay_alu instid0(VALU_DEP_4)
	v_mul_f64_e32 v[16:17], s[12:13], v[16:17]
	v_lshl_add_u64 v[18:19], v[6:7], 3, v[20:21]
	s_and_not1_b32 vcc_lo, exec_lo, s22
	s_cbranch_vccnz .LBB57_29
; %bb.19:                               ;   in Loop: Header=BB57_6 Depth=1
	global_load_b64 v[20:21], v[18:19], off
	s_wait_loadcnt 0x0
	v_fma_f64 v[20:21], s[10:11], v[20:21], v[16:17]
	global_store_b64 v[18:19], v[20:21], off
	s_cbranch_execnz .LBB57_21
.LBB57_20:                              ;   in Loop: Header=BB57_6 Depth=1
	global_store_b64 v[18:19], v[16:17], off
.LBB57_21:                              ;   in Loop: Header=BB57_6 Depth=1
	s_wait_xcnt 0x0
	s_or_b32 exec_lo, exec_lo, s16
	v_lshl_add_u64 v[16:17], v[2:3], 3, s[14:15]
	s_and_saveexec_b32 s14, s4
	s_cbranch_execz .LBB57_25
; %bb.22:                               ;   in Loop: Header=BB57_6 Depth=1
	s_delay_alu instid0(VALU_DEP_4) | instskip(NEXT) | instid1(VALU_DEP_2)
	v_mul_f64_e32 v[14:15], s[12:13], v[14:15]
	v_lshl_add_u64 v[18:19], v[4:5], 3, v[16:17]
	s_and_not1_b32 vcc_lo, exec_lo, s22
	s_cbranch_vccnz .LBB57_30
; %bb.23:                               ;   in Loop: Header=BB57_6 Depth=1
	global_load_b64 v[20:21], v[18:19], off
	s_wait_loadcnt 0x0
	v_fma_f64 v[20:21], s[10:11], v[20:21], v[14:15]
	global_store_b64 v[18:19], v[20:21], off
	s_cbranch_execnz .LBB57_25
.LBB57_24:                              ;   in Loop: Header=BB57_6 Depth=1
	global_store_b64 v[18:19], v[14:15], off
.LBB57_25:                              ;   in Loop: Header=BB57_6 Depth=1
	s_wait_xcnt 0x0
	s_or_b32 exec_lo, exec_lo, s14
	s_and_saveexec_b32 s14, s19
	s_cbranch_execz .LBB57_5
; %bb.26:                               ;   in Loop: Header=BB57_6 Depth=1
	s_delay_alu instid0(VALU_DEP_3)
	v_mul_f64_e32 v[12:13], s[12:13], v[12:13]
	v_lshl_add_u64 v[14:15], v[6:7], 3, v[16:17]
	s_and_not1_b32 vcc_lo, exec_lo, s22
	s_cbranch_vccnz .LBB57_31
; %bb.27:                               ;   in Loop: Header=BB57_6 Depth=1
	global_load_b64 v[16:17], v[14:15], off
	s_wait_loadcnt 0x0
	v_fma_f64 v[16:17], s[10:11], v[16:17], v[12:13]
	global_store_b64 v[14:15], v[16:17], off
	s_cbranch_execnz .LBB57_5
	s_branch .LBB57_32
.LBB57_28:                              ;   in Loop: Header=BB57_6 Depth=1
	s_branch .LBB57_16
.LBB57_29:                              ;   in Loop: Header=BB57_6 Depth=1
	s_branch .LBB57_20
.LBB57_30:                              ;   in Loop: Header=BB57_6 Depth=1
	s_branch .LBB57_24
.LBB57_31:                              ;   in Loop: Header=BB57_6 Depth=1
.LBB57_32:                              ;   in Loop: Header=BB57_6 Depth=1
	global_store_b64 v[14:15], v[12:13], off
	s_branch .LBB57_5
.LBB57_33:
	s_endpgm
	.section	.rodata,"a",@progbits
	.p2align	6, 0x0
	.amdhsa_kernel _ZL29rocblas_internal_gemmt_kernelIiLi16ELi32ELi8ELc84ELc78ELc85ELb0ELb0EddPKdPdEviT_T9_T10_S3_lS5_S3_lS4_T11_S3_li
		.amdhsa_group_segment_fixed_size 4096
		.amdhsa_private_segment_fixed_size 0
		.amdhsa_kernarg_size 100
		.amdhsa_user_sgpr_count 2
		.amdhsa_user_sgpr_dispatch_ptr 0
		.amdhsa_user_sgpr_queue_ptr 0
		.amdhsa_user_sgpr_kernarg_segment_ptr 1
		.amdhsa_user_sgpr_dispatch_id 0
		.amdhsa_user_sgpr_kernarg_preload_length 0
		.amdhsa_user_sgpr_kernarg_preload_offset 0
		.amdhsa_user_sgpr_private_segment_size 0
		.amdhsa_wavefront_size32 1
		.amdhsa_uses_dynamic_stack 0
		.amdhsa_enable_private_segment 0
		.amdhsa_system_sgpr_workgroup_id_x 1
		.amdhsa_system_sgpr_workgroup_id_y 1
		.amdhsa_system_sgpr_workgroup_id_z 1
		.amdhsa_system_sgpr_workgroup_info 0
		.amdhsa_system_vgpr_workitem_id 1
		.amdhsa_next_free_vgpr 50
		.amdhsa_next_free_sgpr 34
		.amdhsa_named_barrier_count 0
		.amdhsa_reserve_vcc 1
		.amdhsa_float_round_mode_32 0
		.amdhsa_float_round_mode_16_64 0
		.amdhsa_float_denorm_mode_32 3
		.amdhsa_float_denorm_mode_16_64 3
		.amdhsa_fp16_overflow 0
		.amdhsa_memory_ordered 1
		.amdhsa_forward_progress 1
		.amdhsa_inst_pref_size 13
		.amdhsa_round_robin_scheduling 0
		.amdhsa_exception_fp_ieee_invalid_op 0
		.amdhsa_exception_fp_denorm_src 0
		.amdhsa_exception_fp_ieee_div_zero 0
		.amdhsa_exception_fp_ieee_overflow 0
		.amdhsa_exception_fp_ieee_underflow 0
		.amdhsa_exception_fp_ieee_inexact 0
		.amdhsa_exception_int_div_zero 0
	.end_amdhsa_kernel
	.section	.text._ZL29rocblas_internal_gemmt_kernelIiLi16ELi32ELi8ELc84ELc78ELc85ELb0ELb0EddPKdPdEviT_T9_T10_S3_lS5_S3_lS4_T11_S3_li,"axG",@progbits,_ZL29rocblas_internal_gemmt_kernelIiLi16ELi32ELi8ELc84ELc78ELc85ELb0ELb0EddPKdPdEviT_T9_T10_S3_lS5_S3_lS4_T11_S3_li,comdat
.Lfunc_end57:
	.size	_ZL29rocblas_internal_gemmt_kernelIiLi16ELi32ELi8ELc84ELc78ELc85ELb0ELb0EddPKdPdEviT_T9_T10_S3_lS5_S3_lS4_T11_S3_li, .Lfunc_end57-_ZL29rocblas_internal_gemmt_kernelIiLi16ELi32ELi8ELc84ELc78ELc85ELb0ELb0EddPKdPdEviT_T9_T10_S3_lS5_S3_lS4_T11_S3_li
                                        ; -- End function
	.set _ZL29rocblas_internal_gemmt_kernelIiLi16ELi32ELi8ELc84ELc78ELc85ELb0ELb0EddPKdPdEviT_T9_T10_S3_lS5_S3_lS4_T11_S3_li.num_vgpr, 50
	.set _ZL29rocblas_internal_gemmt_kernelIiLi16ELi32ELi8ELc84ELc78ELc85ELb0ELb0EddPKdPdEviT_T9_T10_S3_lS5_S3_lS4_T11_S3_li.num_agpr, 0
	.set _ZL29rocblas_internal_gemmt_kernelIiLi16ELi32ELi8ELc84ELc78ELc85ELb0ELb0EddPKdPdEviT_T9_T10_S3_lS5_S3_lS4_T11_S3_li.numbered_sgpr, 34
	.set _ZL29rocblas_internal_gemmt_kernelIiLi16ELi32ELi8ELc84ELc78ELc85ELb0ELb0EddPKdPdEviT_T9_T10_S3_lS5_S3_lS4_T11_S3_li.num_named_barrier, 0
	.set _ZL29rocblas_internal_gemmt_kernelIiLi16ELi32ELi8ELc84ELc78ELc85ELb0ELb0EddPKdPdEviT_T9_T10_S3_lS5_S3_lS4_T11_S3_li.private_seg_size, 0
	.set _ZL29rocblas_internal_gemmt_kernelIiLi16ELi32ELi8ELc84ELc78ELc85ELb0ELb0EddPKdPdEviT_T9_T10_S3_lS5_S3_lS4_T11_S3_li.uses_vcc, 1
	.set _ZL29rocblas_internal_gemmt_kernelIiLi16ELi32ELi8ELc84ELc78ELc85ELb0ELb0EddPKdPdEviT_T9_T10_S3_lS5_S3_lS4_T11_S3_li.uses_flat_scratch, 0
	.set _ZL29rocblas_internal_gemmt_kernelIiLi16ELi32ELi8ELc84ELc78ELc85ELb0ELb0EddPKdPdEviT_T9_T10_S3_lS5_S3_lS4_T11_S3_li.has_dyn_sized_stack, 0
	.set _ZL29rocblas_internal_gemmt_kernelIiLi16ELi32ELi8ELc84ELc78ELc85ELb0ELb0EddPKdPdEviT_T9_T10_S3_lS5_S3_lS4_T11_S3_li.has_recursion, 0
	.set _ZL29rocblas_internal_gemmt_kernelIiLi16ELi32ELi8ELc84ELc78ELc85ELb0ELb0EddPKdPdEviT_T9_T10_S3_lS5_S3_lS4_T11_S3_li.has_indirect_call, 0
	.section	.AMDGPU.csdata,"",@progbits
; Kernel info:
; codeLenInByte = 1644
; TotalNumSgprs: 36
; NumVgprs: 50
; ScratchSize: 0
; MemoryBound: 0
; FloatMode: 240
; IeeeMode: 1
; LDSByteSize: 4096 bytes/workgroup (compile time only)
; SGPRBlocks: 0
; VGPRBlocks: 3
; NumSGPRsForWavesPerEU: 36
; NumVGPRsForWavesPerEU: 50
; NamedBarCnt: 0
; Occupancy: 16
; WaveLimiterHint : 0
; COMPUTE_PGM_RSRC2:SCRATCH_EN: 0
; COMPUTE_PGM_RSRC2:USER_SGPR: 2
; COMPUTE_PGM_RSRC2:TRAP_HANDLER: 0
; COMPUTE_PGM_RSRC2:TGID_X_EN: 1
; COMPUTE_PGM_RSRC2:TGID_Y_EN: 1
; COMPUTE_PGM_RSRC2:TGID_Z_EN: 1
; COMPUTE_PGM_RSRC2:TIDIG_COMP_CNT: 1
	.section	.text._ZL29rocblas_internal_gemmt_kernelIiLi16ELi32ELi8ELc84ELc84ELc85ELb0ELb0EddPKdPdEviT_T9_T10_S3_lS5_S3_lS4_T11_S3_li,"axG",@progbits,_ZL29rocblas_internal_gemmt_kernelIiLi16ELi32ELi8ELc84ELc84ELc85ELb0ELb0EddPKdPdEviT_T9_T10_S3_lS5_S3_lS4_T11_S3_li,comdat
	.globl	_ZL29rocblas_internal_gemmt_kernelIiLi16ELi32ELi8ELc84ELc84ELc85ELb0ELb0EddPKdPdEviT_T9_T10_S3_lS5_S3_lS4_T11_S3_li ; -- Begin function _ZL29rocblas_internal_gemmt_kernelIiLi16ELi32ELi8ELc84ELc84ELc85ELb0ELb0EddPKdPdEviT_T9_T10_S3_lS5_S3_lS4_T11_S3_li
	.p2align	8
	.type	_ZL29rocblas_internal_gemmt_kernelIiLi16ELi32ELi8ELc84ELc84ELc85ELb0ELb0EddPKdPdEviT_T9_T10_S3_lS5_S3_lS4_T11_S3_li,@function
_ZL29rocblas_internal_gemmt_kernelIiLi16ELi32ELi8ELc84ELc84ELc85ELb0ELb0EddPKdPdEviT_T9_T10_S3_lS5_S3_lS4_T11_S3_li: ; @_ZL29rocblas_internal_gemmt_kernelIiLi16ELi32ELi8ELc84ELc84ELc85ELb0ELb0EddPKdPdEviT_T9_T10_S3_lS5_S3_lS4_T11_S3_li
; %bb.0:
	s_clause 0x2
	s_load_b128 s[4:7], s[0:1], 0x38
	s_load_b64 s[20:21], s[0:1], 0x0
	s_load_b128 s[8:11], s[0:1], 0x8
	s_wait_kmcnt 0x0
	v_cmp_neq_f64_e64 s2, s[6:7], 1.0
	s_and_b32 vcc_lo, exec_lo, s2
	s_cbranch_vccnz .LBB58_2
; %bb.1:
	v_cmp_neq_f64_e64 s2, s[8:9], 0
	s_cmp_lg_u32 s21, 0
	s_cselect_b32 s3, -1, 0
	s_delay_alu instid0(SALU_CYCLE_1)
	s_and_b32 s2, s3, s2
.LBB58_2:
	s_delay_alu instid0(SALU_CYCLE_1)
	s_and_not1_b32 vcc_lo, exec_lo, s2
	s_cbranch_vccnz .LBB58_33
; %bb.3:
	s_load_b32 s19, s[0:1], 0x60
	s_bfe_u32 s2, ttmp6, 0x40014
	s_lshr_b32 s3, ttmp7, 16
	s_add_co_i32 s2, s2, 1
	s_bfe_u32 s12, ttmp6, 0x40008
	s_mul_i32 s2, s3, s2
	s_getreg_b32 s28, hwreg(HW_REG_IB_STS2, 6, 4)
	s_add_co_i32 s12, s12, s2
	s_cmp_eq_u32 s28, 0
	s_mov_b32 s23, 0
	s_cselect_b32 s22, s3, s12
	s_wait_kmcnt 0x0
	s_cmp_ge_u32 s22, s19
	s_cbranch_scc1 .LBB58_33
; %bb.4:
	s_clause 0x3
	s_load_b32 s2, s[0:1], 0x18
	s_load_b32 s26, s[0:1], 0x30
	s_load_b96 s[16:18], s[0:1], 0x48
	s_load_b128 s[12:15], s[0:1], 0x20
	v_and_b32_e32 v9, 0x3ff, v0
	v_bfe_u32 v10, v0, 10, 10
	s_load_b64 s[24:25], s[0:1], 0x58
	s_wait_xcnt 0x0
	s_bfe_u32 s1, ttmp6, 0x4000c
	s_bfe_u32 s3, ttmp6, 0x40010
	s_and_b32 s30, ttmp7, 0xffff
	s_add_co_i32 s1, s1, 1
	s_add_co_i32 s3, s3, 1
	v_lshl_add_u32 v1, v10, 4, v9
	s_and_b32 s0, ttmp6, 15
	s_mul_i32 s1, ttmp9, s1
	s_mul_i32 s31, s30, s3
	s_bfe_u32 s33, ttmp6, 0x40004
	s_add_co_i32 s0, s0, s1
	s_add_co_i32 s33, s33, s31
	v_dual_lshrrev_b32 v5, 3, v1 :: v_dual_bitop2_b32 v4, 31, v1 bitop3:0x40
	s_wait_kmcnt 0x0
	s_ashr_i32 s3, s2, 31
	s_ashr_i32 s27, s26, 31
	;; [unrolled: 1-line block ×3, first 2 shown]
	s_cmp_eq_u32 s28, 0
	v_dual_lshrrev_b32 v30, 5, v1 :: v_dual_bitop2_b32 v0, 7, v0 bitop3:0x40
	s_cselect_b32 s0, ttmp9, s0
	s_cselect_b32 s1, s30, s33
	s_lshl_b32 s30, s0, 5
	s_delay_alu instid0(SALU_CYCLE_1) | instskip(SKIP_2) | instid1(VALU_DEP_1)
	v_dual_mov_b32 v11, 0 :: v_dual_bitop2_b32 v2, s30, v4 bitop3:0x54
	s_lshl_b32 s0, s1, 5
	s_mov_b32 s28, s18
	v_dual_mov_b32 v1, v11 :: v_dual_add_nc_u32 v12, s0, v5
	v_add_nc_u32_e32 v14, s0, v10
	v_ashrrev_i32_e32 v3, 31, v2
	v_cmp_neq_f64_e64 s31, s[8:9], 0
	v_cmp_gt_i32_e64 s0, s20, v2
	v_mul_u64_e32 v[18:19], s[26:27], v[0:1]
	v_dual_add_nc_u32 v20, 16, v14 :: v_dual_lshlrev_b32 v1, 3, v0
	v_mul_u64_e32 v[16:17], s[2:3], v[2:3]
	v_dual_lshlrev_b32 v3, 3, v4 :: v_dual_ashrrev_i32 v15, 31, v14
	s_delay_alu instid0(VALU_DEP_3) | instskip(NEXT) | instid1(VALU_DEP_4)
	v_dual_ashrrev_i32 v21, 31, v20 :: v_dual_add_nc_u32 v2, s30, v9
	v_lshl_or_b32 v8, v5, 6, v1
	v_cmp_neq_f64_e64 s18, s[6:7], 0
	s_delay_alu instid0(VALU_DEP_4) | instskip(NEXT) | instid1(VALU_DEP_4)
	v_mul_u64_e32 v[4:5], s[28:29], v[14:15]
	v_mul_u64_e32 v[6:7], s[28:29], v[20:21]
	v_ashrrev_i32_e32 v13, 31, v12
	v_add_nc_u32_e32 v31, 0x800, v8
	v_add_nc_u32_e32 v8, 16, v2
	v_cmp_gt_i32_e64 s1, s20, v12
	v_lshl_add_u32 v33, v10, 6, 0x800
	v_lshlrev_b64_e32 v[12:13], 3, v[12:13]
	v_lshlrev_b32_e32 v10, 3, v30
	v_cmp_gt_i32_e32 vcc_lo, s20, v14
	v_cmp_le_i32_e64 s2, v2, v14
	v_lshlrev_b32_e32 v32, 3, v9
	v_cmp_le_i32_e64 s3, v8, v14
	v_ashrrev_i32_e32 v9, 31, v8
	s_cmp_gt_i32 s21, 0
	v_lshl_or_b32 v1, v30, 8, v3
	s_cselect_b32 s33, -1, 0
	s_and_b32 s28, vcc_lo, s2
	s_and_b32 s29, vcc_lo, s3
	v_cmp_gt_i32_e32 vcc_lo, s20, v20
	v_cmp_le_i32_e64 s2, v2, v20
	v_cmp_le_i32_e64 s3, v8, v20
	v_lshl_add_u64 v[12:13], v[18:19], 3, v[12:13]
	v_ashrrev_i32_e32 v3, 31, v2
	s_lshl_b64 s[4:5], s[4:5], 3
	v_lshl_add_u64 v[10:11], v[16:17], 3, v[10:11]
	s_and_b32 s20, vcc_lo, s2
	v_add_nc_u64_e32 v[12:13], s[14:15], v[12:13]
	s_and_b32 s30, vcc_lo, s3
	s_and_b32 s14, s31, s33
	v_add_nc_u64_e32 v[10:11], s[10:11], v[10:11]
	s_lshl_b64 s[2:3], s[12:13], 3
	s_lshl_b64 s[10:11], s[26:27], 6
	s_branch .LBB58_6
.LBB58_5:                               ;   in Loop: Header=BB58_6 Depth=1
	s_wait_xcnt 0x0
	s_or_b32 exec_lo, exec_lo, s12
	s_add_co_i32 s22, s22, 0x10000
	s_delay_alu instid0(SALU_CYCLE_1)
	s_cmp_lt_u32 s22, s19
	s_cbranch_scc0 .LBB58_33
.LBB58_6:                               ; =>This Loop Header: Depth=1
                                        ;     Child Loop BB58_9 Depth 2
	v_mov_b64_e32 v[20:21], 0
	v_mov_b64_e32 v[18:19], 0
	;; [unrolled: 1-line block ×4, first 2 shown]
	s_and_not1_b32 vcc_lo, exec_lo, s14
	s_cbranch_vccnz .LBB58_13
; %bb.7:                                ;   in Loop: Header=BB58_6 Depth=1
	v_mad_nc_u64_u32 v[22:23], s2, s22, v[10:11]
	v_mad_nc_u64_u32 v[24:25], s4, s22, v[12:13]
	v_mov_b64_e32 v[14:15], 0
	v_mov_b64_e32 v[16:17], 0
	;; [unrolled: 1-line block ×4, first 2 shown]
	s_mov_b32 s12, 0
	v_mad_u32 v23, s3, s22, v23
	v_mad_u32 v25, s5, s22, v25
	s_branch .LBB58_9
.LBB58_8:                               ;   in Loop: Header=BB58_9 Depth=2
	s_wait_xcnt 0x0
	s_or_b32 exec_lo, exec_lo, s13
	s_wait_loadcnt 0x0
	ds_store_b64 v31, v[28:29]
	s_wait_dscnt 0x0
	s_barrier_signal -1
	s_barrier_wait -1
	ds_load_b128 v[26:29], v33
	ds_load_2addr_b64 v[34:37], v32 offset1:16
	ds_load_b128 v[38:41], v33 offset:1024
	ds_load_b128 v[42:45], v33 offset:16
	;; [unrolled: 1-line block ×3, first 2 shown]
	v_add_nc_u64_e32 v[22:23], 64, v[22:23]
	v_add_nc_u64_e32 v[24:25], s[10:11], v[24:25]
	s_add_co_i32 s12, s12, 8
	s_delay_alu instid0(SALU_CYCLE_1)
	s_cmp_lt_i32 s12, s21
	s_wait_dscnt 0x3
	v_fmac_f64_e32 v[20:21], v[34:35], v[26:27]
	v_fmac_f64_e32 v[18:19], v[36:37], v[26:27]
	s_wait_dscnt 0x2
	v_fmac_f64_e32 v[16:17], v[34:35], v[38:39]
	v_fmac_f64_e32 v[14:15], v[36:37], v[38:39]
	ds_load_2addr_b64 v[34:37], v32 offset0:32 offset1:48
	s_wait_dscnt 0x0
	v_fmac_f64_e32 v[20:21], v[34:35], v[28:29]
	v_fmac_f64_e32 v[18:19], v[36:37], v[28:29]
	v_fmac_f64_e32 v[16:17], v[34:35], v[40:41]
	v_fmac_f64_e32 v[14:15], v[36:37], v[40:41]
	ds_load_2addr_b64 v[26:29], v32 offset0:64 offset1:80
	s_wait_dscnt 0x0
	v_fmac_f64_e32 v[20:21], v[26:27], v[42:43]
	v_fmac_f64_e32 v[18:19], v[28:29], v[42:43]
	;; [unrolled: 6-line block ×3, first 2 shown]
	v_fmac_f64_e32 v[16:17], v[26:27], v[48:49]
	v_fmac_f64_e32 v[14:15], v[28:29], v[48:49]
	ds_load_b128 v[26:29], v33 offset:32
	ds_load_2addr_b64 v[34:37], v32 offset0:128 offset1:144
	ds_load_b128 v[38:41], v33 offset:1056
	ds_load_b128 v[42:45], v33 offset:48
	;; [unrolled: 1-line block ×3, first 2 shown]
	s_wait_dscnt 0x3
	v_fmac_f64_e32 v[20:21], v[34:35], v[26:27]
	v_fmac_f64_e32 v[18:19], v[36:37], v[26:27]
	s_wait_dscnt 0x2
	v_fmac_f64_e32 v[16:17], v[34:35], v[38:39]
	v_fmac_f64_e32 v[14:15], v[36:37], v[38:39]
	ds_load_2addr_b64 v[34:37], v32 offset0:160 offset1:176
	s_wait_dscnt 0x0
	v_fmac_f64_e32 v[20:21], v[34:35], v[28:29]
	v_fmac_f64_e32 v[18:19], v[36:37], v[28:29]
	;; [unrolled: 1-line block ×4, first 2 shown]
	ds_load_2addr_b64 v[26:29], v32 offset0:192 offset1:208
	s_wait_dscnt 0x0
	v_fmac_f64_e32 v[20:21], v[26:27], v[42:43]
	v_fmac_f64_e32 v[18:19], v[28:29], v[42:43]
	;; [unrolled: 1-line block ×4, first 2 shown]
	ds_load_2addr_b64 v[26:29], v32 offset0:224 offset1:240
	s_wait_dscnt 0x0
	s_barrier_signal -1
	s_barrier_wait -1
	v_fmac_f64_e32 v[20:21], v[26:27], v[44:45]
	v_fmac_f64_e32 v[18:19], v[28:29], v[44:45]
	;; [unrolled: 1-line block ×4, first 2 shown]
	s_cbranch_scc0 .LBB58_13
.LBB58_9:                               ;   Parent Loop BB58_6 Depth=1
                                        ; =>  This Inner Loop Header: Depth=2
	v_add_nc_u32_e32 v26, s12, v30
	s_delay_alu instid0(VALU_DEP_1) | instskip(SKIP_2) | instid1(SALU_CYCLE_1)
	v_cmp_gt_i32_e32 vcc_lo, s21, v26
	v_mov_b64_e32 v[26:27], 0
	s_and_b32 s15, s0, vcc_lo
	s_and_saveexec_b32 s13, s15
	s_cbranch_execz .LBB58_11
; %bb.10:                               ;   in Loop: Header=BB58_9 Depth=2
	global_load_b64 v[26:27], v[22:23], off
.LBB58_11:                              ;   in Loop: Header=BB58_9 Depth=2
	s_wait_xcnt 0x0
	s_or_b32 exec_lo, exec_lo, s13
	v_add_nc_u32_e32 v28, s12, v0
	s_wait_loadcnt 0x0
	ds_store_b64 v1, v[26:27]
	v_cmp_gt_i32_e32 vcc_lo, s21, v28
	v_mov_b64_e32 v[28:29], 0
	s_and_b32 s15, vcc_lo, s1
	s_delay_alu instid0(SALU_CYCLE_1)
	s_and_saveexec_b32 s13, s15
	s_cbranch_execz .LBB58_8
; %bb.12:                               ;   in Loop: Header=BB58_9 Depth=2
	global_load_b64 v[28:29], v[24:25], off
	s_branch .LBB58_8
.LBB58_13:                              ;   in Loop: Header=BB58_6 Depth=1
	s_mul_u64 s[12:13], s[24:25], s[22:23]
	s_delay_alu instid0(SALU_CYCLE_1) | instskip(NEXT) | instid1(SALU_CYCLE_1)
	s_lshl_b64 s[12:13], s[12:13], 3
	s_add_nc_u64 s[12:13], s[16:17], s[12:13]
	s_delay_alu instid0(SALU_CYCLE_1)
	v_lshl_add_u64 v[22:23], v[4:5], 3, s[12:13]
	s_and_saveexec_b32 s15, s28
	s_cbranch_execz .LBB58_17
; %bb.14:                               ;   in Loop: Header=BB58_6 Depth=1
	v_mul_f64_e32 v[20:21], s[8:9], v[20:21]
	s_delay_alu instid0(VALU_DEP_2)
	v_lshl_add_u64 v[24:25], v[2:3], 3, v[22:23]
	s_and_b32 vcc_lo, exec_lo, s18
	s_cbranch_vccz .LBB58_28
; %bb.15:                               ;   in Loop: Header=BB58_6 Depth=1
	global_load_b64 v[26:27], v[24:25], off
	s_wait_loadcnt 0x0
	v_fma_f64 v[26:27], s[6:7], v[26:27], v[20:21]
	global_store_b64 v[24:25], v[26:27], off
	s_cbranch_execnz .LBB58_17
.LBB58_16:                              ;   in Loop: Header=BB58_6 Depth=1
	global_store_b64 v[24:25], v[20:21], off
.LBB58_17:                              ;   in Loop: Header=BB58_6 Depth=1
	s_wait_xcnt 0x0
	s_or_b32 exec_lo, exec_lo, s15
	s_and_saveexec_b32 s15, s29
	s_cbranch_execz .LBB58_21
; %bb.18:                               ;   in Loop: Header=BB58_6 Depth=1
	s_delay_alu instid0(VALU_DEP_4)
	v_mul_f64_e32 v[18:19], s[8:9], v[18:19]
	v_lshl_add_u64 v[20:21], v[8:9], 3, v[22:23]
	s_and_not1_b32 vcc_lo, exec_lo, s18
	s_cbranch_vccnz .LBB58_29
; %bb.19:                               ;   in Loop: Header=BB58_6 Depth=1
	global_load_b64 v[22:23], v[20:21], off
	s_wait_loadcnt 0x0
	v_fma_f64 v[22:23], s[6:7], v[22:23], v[18:19]
	global_store_b64 v[20:21], v[22:23], off
	s_cbranch_execnz .LBB58_21
.LBB58_20:                              ;   in Loop: Header=BB58_6 Depth=1
	global_store_b64 v[20:21], v[18:19], off
.LBB58_21:                              ;   in Loop: Header=BB58_6 Depth=1
	s_wait_xcnt 0x0
	s_or_b32 exec_lo, exec_lo, s15
	v_lshl_add_u64 v[18:19], v[6:7], 3, s[12:13]
	s_and_saveexec_b32 s12, s20
	s_cbranch_execz .LBB58_25
; %bb.22:                               ;   in Loop: Header=BB58_6 Depth=1
	s_delay_alu instid0(VALU_DEP_4) | instskip(NEXT) | instid1(VALU_DEP_2)
	v_mul_f64_e32 v[16:17], s[8:9], v[16:17]
	v_lshl_add_u64 v[20:21], v[2:3], 3, v[18:19]
	s_and_not1_b32 vcc_lo, exec_lo, s18
	s_cbranch_vccnz .LBB58_30
; %bb.23:                               ;   in Loop: Header=BB58_6 Depth=1
	global_load_b64 v[22:23], v[20:21], off
	s_wait_loadcnt 0x0
	v_fma_f64 v[22:23], s[6:7], v[22:23], v[16:17]
	global_store_b64 v[20:21], v[22:23], off
	s_cbranch_execnz .LBB58_25
.LBB58_24:                              ;   in Loop: Header=BB58_6 Depth=1
	global_store_b64 v[20:21], v[16:17], off
.LBB58_25:                              ;   in Loop: Header=BB58_6 Depth=1
	s_wait_xcnt 0x0
	s_or_b32 exec_lo, exec_lo, s12
	s_and_saveexec_b32 s12, s30
	s_cbranch_execz .LBB58_5
; %bb.26:                               ;   in Loop: Header=BB58_6 Depth=1
	s_delay_alu instid0(VALU_DEP_3)
	v_mul_f64_e32 v[14:15], s[8:9], v[14:15]
	v_lshl_add_u64 v[16:17], v[8:9], 3, v[18:19]
	s_and_not1_b32 vcc_lo, exec_lo, s18
	s_cbranch_vccnz .LBB58_31
; %bb.27:                               ;   in Loop: Header=BB58_6 Depth=1
	global_load_b64 v[18:19], v[16:17], off
	s_wait_loadcnt 0x0
	v_fma_f64 v[18:19], s[6:7], v[18:19], v[14:15]
	global_store_b64 v[16:17], v[18:19], off
	s_cbranch_execnz .LBB58_5
	s_branch .LBB58_32
.LBB58_28:                              ;   in Loop: Header=BB58_6 Depth=1
	s_branch .LBB58_16
.LBB58_29:                              ;   in Loop: Header=BB58_6 Depth=1
	s_branch .LBB58_20
.LBB58_30:                              ;   in Loop: Header=BB58_6 Depth=1
	s_branch .LBB58_24
.LBB58_31:                              ;   in Loop: Header=BB58_6 Depth=1
.LBB58_32:                              ;   in Loop: Header=BB58_6 Depth=1
	global_store_b64 v[16:17], v[14:15], off
	s_branch .LBB58_5
.LBB58_33:
	s_endpgm
	.section	.rodata,"a",@progbits
	.p2align	6, 0x0
	.amdhsa_kernel _ZL29rocblas_internal_gemmt_kernelIiLi16ELi32ELi8ELc84ELc84ELc85ELb0ELb0EddPKdPdEviT_T9_T10_S3_lS5_S3_lS4_T11_S3_li
		.amdhsa_group_segment_fixed_size 4096
		.amdhsa_private_segment_fixed_size 0
		.amdhsa_kernarg_size 100
		.amdhsa_user_sgpr_count 2
		.amdhsa_user_sgpr_dispatch_ptr 0
		.amdhsa_user_sgpr_queue_ptr 0
		.amdhsa_user_sgpr_kernarg_segment_ptr 1
		.amdhsa_user_sgpr_dispatch_id 0
		.amdhsa_user_sgpr_kernarg_preload_length 0
		.amdhsa_user_sgpr_kernarg_preload_offset 0
		.amdhsa_user_sgpr_private_segment_size 0
		.amdhsa_wavefront_size32 1
		.amdhsa_uses_dynamic_stack 0
		.amdhsa_enable_private_segment 0
		.amdhsa_system_sgpr_workgroup_id_x 1
		.amdhsa_system_sgpr_workgroup_id_y 1
		.amdhsa_system_sgpr_workgroup_id_z 1
		.amdhsa_system_sgpr_workgroup_info 0
		.amdhsa_system_vgpr_workitem_id 1
		.amdhsa_next_free_vgpr 50
		.amdhsa_next_free_sgpr 34
		.amdhsa_named_barrier_count 0
		.amdhsa_reserve_vcc 1
		.amdhsa_float_round_mode_32 0
		.amdhsa_float_round_mode_16_64 0
		.amdhsa_float_denorm_mode_32 3
		.amdhsa_float_denorm_mode_16_64 3
		.amdhsa_fp16_overflow 0
		.amdhsa_memory_ordered 1
		.amdhsa_forward_progress 1
		.amdhsa_inst_pref_size 13
		.amdhsa_round_robin_scheduling 0
		.amdhsa_exception_fp_ieee_invalid_op 0
		.amdhsa_exception_fp_denorm_src 0
		.amdhsa_exception_fp_ieee_div_zero 0
		.amdhsa_exception_fp_ieee_overflow 0
		.amdhsa_exception_fp_ieee_underflow 0
		.amdhsa_exception_fp_ieee_inexact 0
		.amdhsa_exception_int_div_zero 0
	.end_amdhsa_kernel
	.section	.text._ZL29rocblas_internal_gemmt_kernelIiLi16ELi32ELi8ELc84ELc84ELc85ELb0ELb0EddPKdPdEviT_T9_T10_S3_lS5_S3_lS4_T11_S3_li,"axG",@progbits,_ZL29rocblas_internal_gemmt_kernelIiLi16ELi32ELi8ELc84ELc84ELc85ELb0ELb0EddPKdPdEviT_T9_T10_S3_lS5_S3_lS4_T11_S3_li,comdat
.Lfunc_end58:
	.size	_ZL29rocblas_internal_gemmt_kernelIiLi16ELi32ELi8ELc84ELc84ELc85ELb0ELb0EddPKdPdEviT_T9_T10_S3_lS5_S3_lS4_T11_S3_li, .Lfunc_end58-_ZL29rocblas_internal_gemmt_kernelIiLi16ELi32ELi8ELc84ELc84ELc85ELb0ELb0EddPKdPdEviT_T9_T10_S3_lS5_S3_lS4_T11_S3_li
                                        ; -- End function
	.set _ZL29rocblas_internal_gemmt_kernelIiLi16ELi32ELi8ELc84ELc84ELc85ELb0ELb0EddPKdPdEviT_T9_T10_S3_lS5_S3_lS4_T11_S3_li.num_vgpr, 50
	.set _ZL29rocblas_internal_gemmt_kernelIiLi16ELi32ELi8ELc84ELc84ELc85ELb0ELb0EddPKdPdEviT_T9_T10_S3_lS5_S3_lS4_T11_S3_li.num_agpr, 0
	.set _ZL29rocblas_internal_gemmt_kernelIiLi16ELi32ELi8ELc84ELc84ELc85ELb0ELb0EddPKdPdEviT_T9_T10_S3_lS5_S3_lS4_T11_S3_li.numbered_sgpr, 34
	.set _ZL29rocblas_internal_gemmt_kernelIiLi16ELi32ELi8ELc84ELc84ELc85ELb0ELb0EddPKdPdEviT_T9_T10_S3_lS5_S3_lS4_T11_S3_li.num_named_barrier, 0
	.set _ZL29rocblas_internal_gemmt_kernelIiLi16ELi32ELi8ELc84ELc84ELc85ELb0ELb0EddPKdPdEviT_T9_T10_S3_lS5_S3_lS4_T11_S3_li.private_seg_size, 0
	.set _ZL29rocblas_internal_gemmt_kernelIiLi16ELi32ELi8ELc84ELc84ELc85ELb0ELb0EddPKdPdEviT_T9_T10_S3_lS5_S3_lS4_T11_S3_li.uses_vcc, 1
	.set _ZL29rocblas_internal_gemmt_kernelIiLi16ELi32ELi8ELc84ELc84ELc85ELb0ELb0EddPKdPdEviT_T9_T10_S3_lS5_S3_lS4_T11_S3_li.uses_flat_scratch, 0
	.set _ZL29rocblas_internal_gemmt_kernelIiLi16ELi32ELi8ELc84ELc84ELc85ELb0ELb0EddPKdPdEviT_T9_T10_S3_lS5_S3_lS4_T11_S3_li.has_dyn_sized_stack, 0
	.set _ZL29rocblas_internal_gemmt_kernelIiLi16ELi32ELi8ELc84ELc84ELc85ELb0ELb0EddPKdPdEviT_T9_T10_S3_lS5_S3_lS4_T11_S3_li.has_recursion, 0
	.set _ZL29rocblas_internal_gemmt_kernelIiLi16ELi32ELi8ELc84ELc84ELc85ELb0ELb0EddPKdPdEviT_T9_T10_S3_lS5_S3_lS4_T11_S3_li.has_indirect_call, 0
	.section	.AMDGPU.csdata,"",@progbits
; Kernel info:
; codeLenInByte = 1636
; TotalNumSgprs: 36
; NumVgprs: 50
; ScratchSize: 0
; MemoryBound: 0
; FloatMode: 240
; IeeeMode: 1
; LDSByteSize: 4096 bytes/workgroup (compile time only)
; SGPRBlocks: 0
; VGPRBlocks: 3
; NumSGPRsForWavesPerEU: 36
; NumVGPRsForWavesPerEU: 50
; NamedBarCnt: 0
; Occupancy: 16
; WaveLimiterHint : 0
; COMPUTE_PGM_RSRC2:SCRATCH_EN: 0
; COMPUTE_PGM_RSRC2:USER_SGPR: 2
; COMPUTE_PGM_RSRC2:TRAP_HANDLER: 0
; COMPUTE_PGM_RSRC2:TGID_X_EN: 1
; COMPUTE_PGM_RSRC2:TGID_Y_EN: 1
; COMPUTE_PGM_RSRC2:TGID_Z_EN: 1
; COMPUTE_PGM_RSRC2:TIDIG_COMP_CNT: 1
	.section	.text._ZL29rocblas_internal_gemmt_kernelIiLi16ELi32ELi8ELc84ELc67ELc85ELb0ELb0EddPKdPdEviT_T9_T10_S3_lS5_S3_lS4_T11_S3_li,"axG",@progbits,_ZL29rocblas_internal_gemmt_kernelIiLi16ELi32ELi8ELc84ELc67ELc85ELb0ELb0EddPKdPdEviT_T9_T10_S3_lS5_S3_lS4_T11_S3_li,comdat
	.globl	_ZL29rocblas_internal_gemmt_kernelIiLi16ELi32ELi8ELc84ELc67ELc85ELb0ELb0EddPKdPdEviT_T9_T10_S3_lS5_S3_lS4_T11_S3_li ; -- Begin function _ZL29rocblas_internal_gemmt_kernelIiLi16ELi32ELi8ELc84ELc67ELc85ELb0ELb0EddPKdPdEviT_T9_T10_S3_lS5_S3_lS4_T11_S3_li
	.p2align	8
	.type	_ZL29rocblas_internal_gemmt_kernelIiLi16ELi32ELi8ELc84ELc67ELc85ELb0ELb0EddPKdPdEviT_T9_T10_S3_lS5_S3_lS4_T11_S3_li,@function
_ZL29rocblas_internal_gemmt_kernelIiLi16ELi32ELi8ELc84ELc67ELc85ELb0ELb0EddPKdPdEviT_T9_T10_S3_lS5_S3_lS4_T11_S3_li: ; @_ZL29rocblas_internal_gemmt_kernelIiLi16ELi32ELi8ELc84ELc67ELc85ELb0ELb0EddPKdPdEviT_T9_T10_S3_lS5_S3_lS4_T11_S3_li
; %bb.0:
	s_clause 0x2
	s_load_b128 s[4:7], s[0:1], 0x38
	s_load_b64 s[20:21], s[0:1], 0x0
	s_load_b128 s[8:11], s[0:1], 0x8
	s_wait_kmcnt 0x0
	v_cmp_neq_f64_e64 s2, s[6:7], 1.0
	s_and_b32 vcc_lo, exec_lo, s2
	s_cbranch_vccnz .LBB59_2
; %bb.1:
	v_cmp_neq_f64_e64 s2, s[8:9], 0
	s_cmp_lg_u32 s21, 0
	s_cselect_b32 s3, -1, 0
	s_delay_alu instid0(SALU_CYCLE_1)
	s_and_b32 s2, s3, s2
.LBB59_2:
	s_delay_alu instid0(SALU_CYCLE_1)
	s_and_not1_b32 vcc_lo, exec_lo, s2
	s_cbranch_vccnz .LBB59_33
; %bb.3:
	s_load_b32 s19, s[0:1], 0x60
	s_bfe_u32 s2, ttmp6, 0x40014
	s_lshr_b32 s3, ttmp7, 16
	s_add_co_i32 s2, s2, 1
	s_bfe_u32 s12, ttmp6, 0x40008
	s_mul_i32 s2, s3, s2
	s_getreg_b32 s28, hwreg(HW_REG_IB_STS2, 6, 4)
	s_add_co_i32 s12, s12, s2
	s_cmp_eq_u32 s28, 0
	s_mov_b32 s23, 0
	s_cselect_b32 s22, s3, s12
	s_wait_kmcnt 0x0
	s_cmp_ge_u32 s22, s19
	s_cbranch_scc1 .LBB59_33
; %bb.4:
	s_clause 0x3
	s_load_b32 s2, s[0:1], 0x18
	s_load_b32 s26, s[0:1], 0x30
	s_load_b96 s[16:18], s[0:1], 0x48
	s_load_b128 s[12:15], s[0:1], 0x20
	v_and_b32_e32 v9, 0x3ff, v0
	v_bfe_u32 v10, v0, 10, 10
	s_load_b64 s[24:25], s[0:1], 0x58
	s_wait_xcnt 0x0
	s_bfe_u32 s1, ttmp6, 0x4000c
	s_bfe_u32 s3, ttmp6, 0x40010
	s_and_b32 s30, ttmp7, 0xffff
	s_add_co_i32 s1, s1, 1
	s_add_co_i32 s3, s3, 1
	v_lshl_add_u32 v1, v10, 4, v9
	s_and_b32 s0, ttmp6, 15
	s_mul_i32 s1, ttmp9, s1
	s_mul_i32 s31, s30, s3
	s_bfe_u32 s33, ttmp6, 0x40004
	s_add_co_i32 s0, s0, s1
	s_add_co_i32 s33, s33, s31
	v_dual_lshrrev_b32 v5, 3, v1 :: v_dual_bitop2_b32 v4, 31, v1 bitop3:0x40
	s_wait_kmcnt 0x0
	s_ashr_i32 s3, s2, 31
	s_ashr_i32 s27, s26, 31
	;; [unrolled: 1-line block ×3, first 2 shown]
	s_cmp_eq_u32 s28, 0
	v_dual_lshrrev_b32 v30, 5, v1 :: v_dual_bitop2_b32 v0, 7, v0 bitop3:0x40
	s_cselect_b32 s0, ttmp9, s0
	s_cselect_b32 s1, s30, s33
	s_lshl_b32 s30, s0, 5
	s_delay_alu instid0(SALU_CYCLE_1) | instskip(SKIP_2) | instid1(VALU_DEP_1)
	v_dual_mov_b32 v11, 0 :: v_dual_bitop2_b32 v2, s30, v4 bitop3:0x54
	s_lshl_b32 s0, s1, 5
	s_mov_b32 s28, s18
	v_dual_mov_b32 v1, v11 :: v_dual_add_nc_u32 v12, s0, v5
	v_add_nc_u32_e32 v14, s0, v10
	v_ashrrev_i32_e32 v3, 31, v2
	v_cmp_neq_f64_e64 s31, s[8:9], 0
	v_cmp_gt_i32_e64 s0, s20, v2
	v_mul_u64_e32 v[18:19], s[26:27], v[0:1]
	v_dual_add_nc_u32 v20, 16, v14 :: v_dual_lshlrev_b32 v1, 3, v0
	v_mul_u64_e32 v[16:17], s[2:3], v[2:3]
	v_dual_lshlrev_b32 v3, 3, v4 :: v_dual_ashrrev_i32 v15, 31, v14
	s_delay_alu instid0(VALU_DEP_3) | instskip(NEXT) | instid1(VALU_DEP_4)
	v_dual_ashrrev_i32 v21, 31, v20 :: v_dual_add_nc_u32 v2, s30, v9
	v_lshl_or_b32 v8, v5, 6, v1
	v_cmp_neq_f64_e64 s18, s[6:7], 0
	s_delay_alu instid0(VALU_DEP_4) | instskip(NEXT) | instid1(VALU_DEP_4)
	v_mul_u64_e32 v[4:5], s[28:29], v[14:15]
	v_mul_u64_e32 v[6:7], s[28:29], v[20:21]
	v_ashrrev_i32_e32 v13, 31, v12
	v_add_nc_u32_e32 v31, 0x800, v8
	v_add_nc_u32_e32 v8, 16, v2
	v_cmp_gt_i32_e64 s1, s20, v12
	v_lshl_add_u32 v33, v10, 6, 0x800
	v_lshlrev_b64_e32 v[12:13], 3, v[12:13]
	v_lshlrev_b32_e32 v10, 3, v30
	v_cmp_gt_i32_e32 vcc_lo, s20, v14
	v_cmp_le_i32_e64 s2, v2, v14
	v_lshlrev_b32_e32 v32, 3, v9
	v_cmp_le_i32_e64 s3, v8, v14
	v_ashrrev_i32_e32 v9, 31, v8
	s_cmp_gt_i32 s21, 0
	v_lshl_or_b32 v1, v30, 8, v3
	s_cselect_b32 s33, -1, 0
	s_and_b32 s28, vcc_lo, s2
	s_and_b32 s29, vcc_lo, s3
	v_cmp_gt_i32_e32 vcc_lo, s20, v20
	v_cmp_le_i32_e64 s2, v2, v20
	v_cmp_le_i32_e64 s3, v8, v20
	v_lshl_add_u64 v[12:13], v[18:19], 3, v[12:13]
	v_ashrrev_i32_e32 v3, 31, v2
	s_lshl_b64 s[4:5], s[4:5], 3
	v_lshl_add_u64 v[10:11], v[16:17], 3, v[10:11]
	s_and_b32 s20, vcc_lo, s2
	v_add_nc_u64_e32 v[12:13], s[14:15], v[12:13]
	s_and_b32 s30, vcc_lo, s3
	s_and_b32 s14, s31, s33
	v_add_nc_u64_e32 v[10:11], s[10:11], v[10:11]
	s_lshl_b64 s[2:3], s[12:13], 3
	s_lshl_b64 s[10:11], s[26:27], 6
	s_branch .LBB59_6
.LBB59_5:                               ;   in Loop: Header=BB59_6 Depth=1
	s_wait_xcnt 0x0
	s_or_b32 exec_lo, exec_lo, s12
	s_add_co_i32 s22, s22, 0x10000
	s_delay_alu instid0(SALU_CYCLE_1)
	s_cmp_lt_u32 s22, s19
	s_cbranch_scc0 .LBB59_33
.LBB59_6:                               ; =>This Loop Header: Depth=1
                                        ;     Child Loop BB59_9 Depth 2
	v_mov_b64_e32 v[20:21], 0
	v_mov_b64_e32 v[18:19], 0
	;; [unrolled: 1-line block ×4, first 2 shown]
	s_and_not1_b32 vcc_lo, exec_lo, s14
	s_cbranch_vccnz .LBB59_13
; %bb.7:                                ;   in Loop: Header=BB59_6 Depth=1
	v_mad_nc_u64_u32 v[22:23], s2, s22, v[10:11]
	v_mad_nc_u64_u32 v[24:25], s4, s22, v[12:13]
	v_mov_b64_e32 v[14:15], 0
	v_mov_b64_e32 v[16:17], 0
	;; [unrolled: 1-line block ×4, first 2 shown]
	s_mov_b32 s12, 0
	v_mad_u32 v23, s3, s22, v23
	v_mad_u32 v25, s5, s22, v25
	s_branch .LBB59_9
.LBB59_8:                               ;   in Loop: Header=BB59_9 Depth=2
	s_wait_xcnt 0x0
	s_or_b32 exec_lo, exec_lo, s13
	s_wait_loadcnt 0x0
	ds_store_b64 v31, v[28:29]
	s_wait_dscnt 0x0
	s_barrier_signal -1
	s_barrier_wait -1
	ds_load_b128 v[26:29], v33
	ds_load_2addr_b64 v[34:37], v32 offset1:16
	ds_load_b128 v[38:41], v33 offset:1024
	ds_load_b128 v[42:45], v33 offset:16
	;; [unrolled: 1-line block ×3, first 2 shown]
	v_add_nc_u64_e32 v[22:23], 64, v[22:23]
	v_add_nc_u64_e32 v[24:25], s[10:11], v[24:25]
	s_add_co_i32 s12, s12, 8
	s_delay_alu instid0(SALU_CYCLE_1)
	s_cmp_lt_i32 s12, s21
	s_wait_dscnt 0x3
	v_fmac_f64_e32 v[20:21], v[34:35], v[26:27]
	v_fmac_f64_e32 v[18:19], v[36:37], v[26:27]
	s_wait_dscnt 0x2
	v_fmac_f64_e32 v[16:17], v[34:35], v[38:39]
	v_fmac_f64_e32 v[14:15], v[36:37], v[38:39]
	ds_load_2addr_b64 v[34:37], v32 offset0:32 offset1:48
	s_wait_dscnt 0x0
	v_fmac_f64_e32 v[20:21], v[34:35], v[28:29]
	v_fmac_f64_e32 v[18:19], v[36:37], v[28:29]
	v_fmac_f64_e32 v[16:17], v[34:35], v[40:41]
	v_fmac_f64_e32 v[14:15], v[36:37], v[40:41]
	ds_load_2addr_b64 v[26:29], v32 offset0:64 offset1:80
	s_wait_dscnt 0x0
	v_fmac_f64_e32 v[20:21], v[26:27], v[42:43]
	v_fmac_f64_e32 v[18:19], v[28:29], v[42:43]
	;; [unrolled: 6-line block ×3, first 2 shown]
	v_fmac_f64_e32 v[16:17], v[26:27], v[48:49]
	v_fmac_f64_e32 v[14:15], v[28:29], v[48:49]
	ds_load_b128 v[26:29], v33 offset:32
	ds_load_2addr_b64 v[34:37], v32 offset0:128 offset1:144
	ds_load_b128 v[38:41], v33 offset:1056
	ds_load_b128 v[42:45], v33 offset:48
	;; [unrolled: 1-line block ×3, first 2 shown]
	s_wait_dscnt 0x3
	v_fmac_f64_e32 v[20:21], v[34:35], v[26:27]
	v_fmac_f64_e32 v[18:19], v[36:37], v[26:27]
	s_wait_dscnt 0x2
	v_fmac_f64_e32 v[16:17], v[34:35], v[38:39]
	v_fmac_f64_e32 v[14:15], v[36:37], v[38:39]
	ds_load_2addr_b64 v[34:37], v32 offset0:160 offset1:176
	s_wait_dscnt 0x0
	v_fmac_f64_e32 v[20:21], v[34:35], v[28:29]
	v_fmac_f64_e32 v[18:19], v[36:37], v[28:29]
	;; [unrolled: 1-line block ×4, first 2 shown]
	ds_load_2addr_b64 v[26:29], v32 offset0:192 offset1:208
	s_wait_dscnt 0x0
	v_fmac_f64_e32 v[20:21], v[26:27], v[42:43]
	v_fmac_f64_e32 v[18:19], v[28:29], v[42:43]
	;; [unrolled: 1-line block ×4, first 2 shown]
	ds_load_2addr_b64 v[26:29], v32 offset0:224 offset1:240
	s_wait_dscnt 0x0
	s_barrier_signal -1
	s_barrier_wait -1
	v_fmac_f64_e32 v[20:21], v[26:27], v[44:45]
	v_fmac_f64_e32 v[18:19], v[28:29], v[44:45]
	v_fmac_f64_e32 v[16:17], v[26:27], v[48:49]
	v_fmac_f64_e32 v[14:15], v[28:29], v[48:49]
	s_cbranch_scc0 .LBB59_13
.LBB59_9:                               ;   Parent Loop BB59_6 Depth=1
                                        ; =>  This Inner Loop Header: Depth=2
	v_add_nc_u32_e32 v26, s12, v30
	s_delay_alu instid0(VALU_DEP_1) | instskip(SKIP_2) | instid1(SALU_CYCLE_1)
	v_cmp_gt_i32_e32 vcc_lo, s21, v26
	v_mov_b64_e32 v[26:27], 0
	s_and_b32 s15, s0, vcc_lo
	s_and_saveexec_b32 s13, s15
	s_cbranch_execz .LBB59_11
; %bb.10:                               ;   in Loop: Header=BB59_9 Depth=2
	global_load_b64 v[26:27], v[22:23], off
.LBB59_11:                              ;   in Loop: Header=BB59_9 Depth=2
	s_wait_xcnt 0x0
	s_or_b32 exec_lo, exec_lo, s13
	v_add_nc_u32_e32 v28, s12, v0
	s_wait_loadcnt 0x0
	ds_store_b64 v1, v[26:27]
	v_cmp_gt_i32_e32 vcc_lo, s21, v28
	v_mov_b64_e32 v[28:29], 0
	s_and_b32 s15, vcc_lo, s1
	s_delay_alu instid0(SALU_CYCLE_1)
	s_and_saveexec_b32 s13, s15
	s_cbranch_execz .LBB59_8
; %bb.12:                               ;   in Loop: Header=BB59_9 Depth=2
	global_load_b64 v[28:29], v[24:25], off
	s_branch .LBB59_8
.LBB59_13:                              ;   in Loop: Header=BB59_6 Depth=1
	s_mul_u64 s[12:13], s[24:25], s[22:23]
	s_delay_alu instid0(SALU_CYCLE_1) | instskip(NEXT) | instid1(SALU_CYCLE_1)
	s_lshl_b64 s[12:13], s[12:13], 3
	s_add_nc_u64 s[12:13], s[16:17], s[12:13]
	s_delay_alu instid0(SALU_CYCLE_1)
	v_lshl_add_u64 v[22:23], v[4:5], 3, s[12:13]
	s_and_saveexec_b32 s15, s28
	s_cbranch_execz .LBB59_17
; %bb.14:                               ;   in Loop: Header=BB59_6 Depth=1
	v_mul_f64_e32 v[20:21], s[8:9], v[20:21]
	s_delay_alu instid0(VALU_DEP_2)
	v_lshl_add_u64 v[24:25], v[2:3], 3, v[22:23]
	s_and_b32 vcc_lo, exec_lo, s18
	s_cbranch_vccz .LBB59_28
; %bb.15:                               ;   in Loop: Header=BB59_6 Depth=1
	global_load_b64 v[26:27], v[24:25], off
	s_wait_loadcnt 0x0
	v_fma_f64 v[26:27], s[6:7], v[26:27], v[20:21]
	global_store_b64 v[24:25], v[26:27], off
	s_cbranch_execnz .LBB59_17
.LBB59_16:                              ;   in Loop: Header=BB59_6 Depth=1
	global_store_b64 v[24:25], v[20:21], off
.LBB59_17:                              ;   in Loop: Header=BB59_6 Depth=1
	s_wait_xcnt 0x0
	s_or_b32 exec_lo, exec_lo, s15
	s_and_saveexec_b32 s15, s29
	s_cbranch_execz .LBB59_21
; %bb.18:                               ;   in Loop: Header=BB59_6 Depth=1
	s_delay_alu instid0(VALU_DEP_4)
	v_mul_f64_e32 v[18:19], s[8:9], v[18:19]
	v_lshl_add_u64 v[20:21], v[8:9], 3, v[22:23]
	s_and_not1_b32 vcc_lo, exec_lo, s18
	s_cbranch_vccnz .LBB59_29
; %bb.19:                               ;   in Loop: Header=BB59_6 Depth=1
	global_load_b64 v[22:23], v[20:21], off
	s_wait_loadcnt 0x0
	v_fma_f64 v[22:23], s[6:7], v[22:23], v[18:19]
	global_store_b64 v[20:21], v[22:23], off
	s_cbranch_execnz .LBB59_21
.LBB59_20:                              ;   in Loop: Header=BB59_6 Depth=1
	global_store_b64 v[20:21], v[18:19], off
.LBB59_21:                              ;   in Loop: Header=BB59_6 Depth=1
	s_wait_xcnt 0x0
	s_or_b32 exec_lo, exec_lo, s15
	v_lshl_add_u64 v[18:19], v[6:7], 3, s[12:13]
	s_and_saveexec_b32 s12, s20
	s_cbranch_execz .LBB59_25
; %bb.22:                               ;   in Loop: Header=BB59_6 Depth=1
	s_delay_alu instid0(VALU_DEP_4) | instskip(NEXT) | instid1(VALU_DEP_2)
	v_mul_f64_e32 v[16:17], s[8:9], v[16:17]
	v_lshl_add_u64 v[20:21], v[2:3], 3, v[18:19]
	s_and_not1_b32 vcc_lo, exec_lo, s18
	s_cbranch_vccnz .LBB59_30
; %bb.23:                               ;   in Loop: Header=BB59_6 Depth=1
	global_load_b64 v[22:23], v[20:21], off
	s_wait_loadcnt 0x0
	v_fma_f64 v[22:23], s[6:7], v[22:23], v[16:17]
	global_store_b64 v[20:21], v[22:23], off
	s_cbranch_execnz .LBB59_25
.LBB59_24:                              ;   in Loop: Header=BB59_6 Depth=1
	global_store_b64 v[20:21], v[16:17], off
.LBB59_25:                              ;   in Loop: Header=BB59_6 Depth=1
	s_wait_xcnt 0x0
	s_or_b32 exec_lo, exec_lo, s12
	s_and_saveexec_b32 s12, s30
	s_cbranch_execz .LBB59_5
; %bb.26:                               ;   in Loop: Header=BB59_6 Depth=1
	s_delay_alu instid0(VALU_DEP_3)
	v_mul_f64_e32 v[14:15], s[8:9], v[14:15]
	v_lshl_add_u64 v[16:17], v[8:9], 3, v[18:19]
	s_and_not1_b32 vcc_lo, exec_lo, s18
	s_cbranch_vccnz .LBB59_31
; %bb.27:                               ;   in Loop: Header=BB59_6 Depth=1
	global_load_b64 v[18:19], v[16:17], off
	s_wait_loadcnt 0x0
	v_fma_f64 v[18:19], s[6:7], v[18:19], v[14:15]
	global_store_b64 v[16:17], v[18:19], off
	s_cbranch_execnz .LBB59_5
	s_branch .LBB59_32
.LBB59_28:                              ;   in Loop: Header=BB59_6 Depth=1
	s_branch .LBB59_16
.LBB59_29:                              ;   in Loop: Header=BB59_6 Depth=1
	s_branch .LBB59_20
.LBB59_30:                              ;   in Loop: Header=BB59_6 Depth=1
	s_branch .LBB59_24
.LBB59_31:                              ;   in Loop: Header=BB59_6 Depth=1
.LBB59_32:                              ;   in Loop: Header=BB59_6 Depth=1
	global_store_b64 v[16:17], v[14:15], off
	s_branch .LBB59_5
.LBB59_33:
	s_endpgm
	.section	.rodata,"a",@progbits
	.p2align	6, 0x0
	.amdhsa_kernel _ZL29rocblas_internal_gemmt_kernelIiLi16ELi32ELi8ELc84ELc67ELc85ELb0ELb0EddPKdPdEviT_T9_T10_S3_lS5_S3_lS4_T11_S3_li
		.amdhsa_group_segment_fixed_size 4096
		.amdhsa_private_segment_fixed_size 0
		.amdhsa_kernarg_size 100
		.amdhsa_user_sgpr_count 2
		.amdhsa_user_sgpr_dispatch_ptr 0
		.amdhsa_user_sgpr_queue_ptr 0
		.amdhsa_user_sgpr_kernarg_segment_ptr 1
		.amdhsa_user_sgpr_dispatch_id 0
		.amdhsa_user_sgpr_kernarg_preload_length 0
		.amdhsa_user_sgpr_kernarg_preload_offset 0
		.amdhsa_user_sgpr_private_segment_size 0
		.amdhsa_wavefront_size32 1
		.amdhsa_uses_dynamic_stack 0
		.amdhsa_enable_private_segment 0
		.amdhsa_system_sgpr_workgroup_id_x 1
		.amdhsa_system_sgpr_workgroup_id_y 1
		.amdhsa_system_sgpr_workgroup_id_z 1
		.amdhsa_system_sgpr_workgroup_info 0
		.amdhsa_system_vgpr_workitem_id 1
		.amdhsa_next_free_vgpr 50
		.amdhsa_next_free_sgpr 34
		.amdhsa_named_barrier_count 0
		.amdhsa_reserve_vcc 1
		.amdhsa_float_round_mode_32 0
		.amdhsa_float_round_mode_16_64 0
		.amdhsa_float_denorm_mode_32 3
		.amdhsa_float_denorm_mode_16_64 3
		.amdhsa_fp16_overflow 0
		.amdhsa_memory_ordered 1
		.amdhsa_forward_progress 1
		.amdhsa_inst_pref_size 13
		.amdhsa_round_robin_scheduling 0
		.amdhsa_exception_fp_ieee_invalid_op 0
		.amdhsa_exception_fp_denorm_src 0
		.amdhsa_exception_fp_ieee_div_zero 0
		.amdhsa_exception_fp_ieee_overflow 0
		.amdhsa_exception_fp_ieee_underflow 0
		.amdhsa_exception_fp_ieee_inexact 0
		.amdhsa_exception_int_div_zero 0
	.end_amdhsa_kernel
	.section	.text._ZL29rocblas_internal_gemmt_kernelIiLi16ELi32ELi8ELc84ELc67ELc85ELb0ELb0EddPKdPdEviT_T9_T10_S3_lS5_S3_lS4_T11_S3_li,"axG",@progbits,_ZL29rocblas_internal_gemmt_kernelIiLi16ELi32ELi8ELc84ELc67ELc85ELb0ELb0EddPKdPdEviT_T9_T10_S3_lS5_S3_lS4_T11_S3_li,comdat
.Lfunc_end59:
	.size	_ZL29rocblas_internal_gemmt_kernelIiLi16ELi32ELi8ELc84ELc67ELc85ELb0ELb0EddPKdPdEviT_T9_T10_S3_lS5_S3_lS4_T11_S3_li, .Lfunc_end59-_ZL29rocblas_internal_gemmt_kernelIiLi16ELi32ELi8ELc84ELc67ELc85ELb0ELb0EddPKdPdEviT_T9_T10_S3_lS5_S3_lS4_T11_S3_li
                                        ; -- End function
	.set _ZL29rocblas_internal_gemmt_kernelIiLi16ELi32ELi8ELc84ELc67ELc85ELb0ELb0EddPKdPdEviT_T9_T10_S3_lS5_S3_lS4_T11_S3_li.num_vgpr, 50
	.set _ZL29rocblas_internal_gemmt_kernelIiLi16ELi32ELi8ELc84ELc67ELc85ELb0ELb0EddPKdPdEviT_T9_T10_S3_lS5_S3_lS4_T11_S3_li.num_agpr, 0
	.set _ZL29rocblas_internal_gemmt_kernelIiLi16ELi32ELi8ELc84ELc67ELc85ELb0ELb0EddPKdPdEviT_T9_T10_S3_lS5_S3_lS4_T11_S3_li.numbered_sgpr, 34
	.set _ZL29rocblas_internal_gemmt_kernelIiLi16ELi32ELi8ELc84ELc67ELc85ELb0ELb0EddPKdPdEviT_T9_T10_S3_lS5_S3_lS4_T11_S3_li.num_named_barrier, 0
	.set _ZL29rocblas_internal_gemmt_kernelIiLi16ELi32ELi8ELc84ELc67ELc85ELb0ELb0EddPKdPdEviT_T9_T10_S3_lS5_S3_lS4_T11_S3_li.private_seg_size, 0
	.set _ZL29rocblas_internal_gemmt_kernelIiLi16ELi32ELi8ELc84ELc67ELc85ELb0ELb0EddPKdPdEviT_T9_T10_S3_lS5_S3_lS4_T11_S3_li.uses_vcc, 1
	.set _ZL29rocblas_internal_gemmt_kernelIiLi16ELi32ELi8ELc84ELc67ELc85ELb0ELb0EddPKdPdEviT_T9_T10_S3_lS5_S3_lS4_T11_S3_li.uses_flat_scratch, 0
	.set _ZL29rocblas_internal_gemmt_kernelIiLi16ELi32ELi8ELc84ELc67ELc85ELb0ELb0EddPKdPdEviT_T9_T10_S3_lS5_S3_lS4_T11_S3_li.has_dyn_sized_stack, 0
	.set _ZL29rocblas_internal_gemmt_kernelIiLi16ELi32ELi8ELc84ELc67ELc85ELb0ELb0EddPKdPdEviT_T9_T10_S3_lS5_S3_lS4_T11_S3_li.has_recursion, 0
	.set _ZL29rocblas_internal_gemmt_kernelIiLi16ELi32ELi8ELc84ELc67ELc85ELb0ELb0EddPKdPdEviT_T9_T10_S3_lS5_S3_lS4_T11_S3_li.has_indirect_call, 0
	.section	.AMDGPU.csdata,"",@progbits
; Kernel info:
; codeLenInByte = 1636
; TotalNumSgprs: 36
; NumVgprs: 50
; ScratchSize: 0
; MemoryBound: 0
; FloatMode: 240
; IeeeMode: 1
; LDSByteSize: 4096 bytes/workgroup (compile time only)
; SGPRBlocks: 0
; VGPRBlocks: 3
; NumSGPRsForWavesPerEU: 36
; NumVGPRsForWavesPerEU: 50
; NamedBarCnt: 0
; Occupancy: 16
; WaveLimiterHint : 0
; COMPUTE_PGM_RSRC2:SCRATCH_EN: 0
; COMPUTE_PGM_RSRC2:USER_SGPR: 2
; COMPUTE_PGM_RSRC2:TRAP_HANDLER: 0
; COMPUTE_PGM_RSRC2:TGID_X_EN: 1
; COMPUTE_PGM_RSRC2:TGID_Y_EN: 1
; COMPUTE_PGM_RSRC2:TGID_Z_EN: 1
; COMPUTE_PGM_RSRC2:TIDIG_COMP_CNT: 1
	.section	.text._ZL29rocblas_internal_gemmt_kernelIiLi16ELi32ELi8ELc67ELc78ELc85ELb0ELb0EddPKdPdEviT_T9_T10_S3_lS5_S3_lS4_T11_S3_li,"axG",@progbits,_ZL29rocblas_internal_gemmt_kernelIiLi16ELi32ELi8ELc67ELc78ELc85ELb0ELb0EddPKdPdEviT_T9_T10_S3_lS5_S3_lS4_T11_S3_li,comdat
	.globl	_ZL29rocblas_internal_gemmt_kernelIiLi16ELi32ELi8ELc67ELc78ELc85ELb0ELb0EddPKdPdEviT_T9_T10_S3_lS5_S3_lS4_T11_S3_li ; -- Begin function _ZL29rocblas_internal_gemmt_kernelIiLi16ELi32ELi8ELc67ELc78ELc85ELb0ELb0EddPKdPdEviT_T9_T10_S3_lS5_S3_lS4_T11_S3_li
	.p2align	8
	.type	_ZL29rocblas_internal_gemmt_kernelIiLi16ELi32ELi8ELc67ELc78ELc85ELb0ELb0EddPKdPdEviT_T9_T10_S3_lS5_S3_lS4_T11_S3_li,@function
_ZL29rocblas_internal_gemmt_kernelIiLi16ELi32ELi8ELc67ELc78ELc85ELb0ELb0EddPKdPdEviT_T9_T10_S3_lS5_S3_lS4_T11_S3_li: ; @_ZL29rocblas_internal_gemmt_kernelIiLi16ELi32ELi8ELc67ELc78ELc85ELb0ELb0EddPKdPdEviT_T9_T10_S3_lS5_S3_lS4_T11_S3_li
; %bb.0:
	s_clause 0x2
	s_load_b128 s[8:11], s[0:1], 0x38
	s_load_b64 s[4:5], s[0:1], 0x0
	s_load_b128 s[12:15], s[0:1], 0x8
	s_wait_kmcnt 0x0
	v_cmp_neq_f64_e64 s2, s[10:11], 1.0
	s_and_b32 vcc_lo, exec_lo, s2
	s_cbranch_vccnz .LBB60_2
; %bb.1:
	v_cmp_neq_f64_e64 s2, s[12:13], 0
	s_cmp_lg_u32 s5, 0
	s_cselect_b32 s3, -1, 0
	s_delay_alu instid0(SALU_CYCLE_1)
	s_and_b32 s2, s3, s2
.LBB60_2:
	s_delay_alu instid0(SALU_CYCLE_1)
	s_and_not1_b32 vcc_lo, exec_lo, s2
	s_cbranch_vccnz .LBB60_33
; %bb.3:
	s_load_b32 s23, s[0:1], 0x60
	s_bfe_u32 s2, ttmp6, 0x40014
	s_lshr_b32 s3, ttmp7, 16
	s_add_co_i32 s2, s2, 1
	s_bfe_u32 s6, ttmp6, 0x40008
	s_mul_i32 s2, s3, s2
	s_getreg_b32 s28, hwreg(HW_REG_IB_STS2, 6, 4)
	s_add_co_i32 s6, s6, s2
	s_cmp_eq_u32 s28, 0
	s_mov_b32 s7, 0
	s_cselect_b32 s6, s3, s6
	s_wait_kmcnt 0x0
	s_cmp_ge_u32 s6, s23
	s_cbranch_scc1 .LBB60_33
; %bb.4:
	s_clause 0x3
	s_load_b32 s26, s[0:1], 0x18
	s_load_b32 s2, s[0:1], 0x30
	s_load_b96 s[20:22], s[0:1], 0x48
	s_load_b128 s[16:19], s[0:1], 0x20
	v_and_b32_e32 v5, 0x3ff, v0
	v_bfe_u32 v17, v0, 10, 10
	s_load_b64 s[24:25], s[0:1], 0x58
	s_wait_xcnt 0x0
	s_bfe_u32 s1, ttmp6, 0x4000c
	s_bfe_u32 s3, ttmp6, 0x40010
	s_and_b32 s30, ttmp7, 0xffff
	s_add_co_i32 s1, s1, 1
	s_add_co_i32 s3, s3, 1
	v_lshl_add_u32 v1, v17, 4, v5
	s_and_b32 s0, ttmp6, 15
	s_bfe_u32 s31, ttmp6, 0x40004
	s_mul_i32 s1, ttmp9, s1
	s_mul_i32 s33, s30, s3
	s_add_co_i32 s0, s0, s1
	s_add_co_i32 s31, s31, s33
	v_dual_lshrrev_b32 v4, 3, v1 :: v_dual_bitop2_b32 v18, 31, v1 bitop3:0x40
	s_wait_kmcnt 0x0
	s_ashr_i32 s27, s26, 31
	s_ashr_i32 s3, s2, 31
	;; [unrolled: 1-line block ×3, first 2 shown]
	s_cmp_eq_u32 s28, 0
	v_dual_lshrrev_b32 v28, 5, v1 :: v_dual_bitop2_b32 v29, 7, v0 bitop3:0x40
	s_cselect_b32 s0, ttmp9, s0
	s_cselect_b32 s1, s30, s31
	s_lshl_b32 s30, s0, 5
	s_lshl_b32 s0, s1, 5
	s_delay_alu instid0(SALU_CYCLE_1) | instskip(SKIP_2) | instid1(VALU_DEP_2)
	v_dual_add_nc_u32 v6, s0, v4 :: v_dual_bitop2_b32 v2, s30, v18 bitop3:0x54
	s_mov_b32 s28, s22
	v_add_nc_u32_e32 v8, s0, v17
	v_dual_lshlrev_b32 v16, 3, v29 :: v_dual_ashrrev_i32 v3, 31, v2
	s_delay_alu instid0(VALU_DEP_3) | instskip(SKIP_1) | instid1(VALU_DEP_4)
	v_ashrrev_i32_e32 v7, 31, v6
	v_cmp_neq_f64_e64 s31, s[12:13], 0
	v_dual_add_nc_u32 v14, 16, v8 :: v_dual_ashrrev_i32 v9, 31, v8
	s_delay_alu instid0(VALU_DEP_4) | instskip(NEXT) | instid1(VALU_DEP_4)
	v_mul_u64_e32 v[10:11], s[26:27], v[2:3]
	v_mul_u64_e32 v[12:13], s[2:3], v[6:7]
	v_cmp_gt_i32_e64 s0, s4, v2
	s_delay_alu instid0(VALU_DEP_4)
	v_ashrrev_i32_e32 v15, 31, v14
	v_dual_lshlrev_b32 v7, 3, v18 :: v_dual_lshlrev_b32 v32, 3, v5
	v_lshl_or_b32 v18, v4, 6, v16
	v_cmp_neq_f64_e64 s22, s[10:11], 0
	v_mul_u64_e32 v[0:1], s[28:29], v[8:9]
	v_add_nc_u32_e32 v4, s30, v5
	v_mul_u64_e32 v[2:3], s[28:29], v[14:15]
	v_cmp_gt_i32_e64 s1, s4, v6
	v_cmp_gt_i32_e32 vcc_lo, s4, v8
	s_delay_alu instid0(VALU_DEP_4)
	v_dual_mov_b32 v9, 0 :: v_dual_add_nc_u32 v6, 16, v4
	v_cmp_le_i32_e64 s2, v4, v8
	s_cmp_gt_i32 s5, 0
	v_lshl_add_u32 v33, v17, 6, 0x800
	s_cselect_b32 s33, -1, 0
	v_dual_ashrrev_i32 v5, 31, v4 :: v_dual_mov_b32 v17, v9
	s_and_b32 s26, vcc_lo, s2
	v_cmp_le_i32_e64 s2, v6, v8
	v_lshlrev_b32_e32 v8, 3, v28
	v_lshl_or_b32 v30, v28, 8, v7
	v_ashrrev_i32_e32 v7, 31, v6
	v_cmp_gt_i32_e64 s3, s4, v14
	v_cmp_le_i32_e64 s4, v4, v14
	s_and_b32 s27, vcc_lo, s2
	v_cmp_le_i32_e32 vcc_lo, v6, v14
	v_add_nc_u32_e32 v31, 0x800, v18
	s_lshl_b64 s[8:9], s[8:9], 3
	v_lshl_add_u64 v[8:9], v[10:11], 3, v[8:9]
	v_lshl_add_u64 v[10:11], v[12:13], 3, v[16:17]
	s_and_b32 s4, s3, s4
	s_delay_alu instid0(VALU_DEP_2) | instskip(NEXT) | instid1(VALU_DEP_2)
	v_add_nc_u64_e32 v[8:9], s[14:15], v[8:9]
	v_add_nc_u64_e32 v[10:11], s[18:19], v[10:11]
	s_and_b32 s18, s31, s33
	s_and_b32 s19, s3, vcc_lo
	s_lshl_b64 s[2:3], s[16:17], 3
	s_branch .LBB60_6
.LBB60_5:                               ;   in Loop: Header=BB60_6 Depth=1
	s_wait_xcnt 0x0
	s_or_b32 exec_lo, exec_lo, s14
	s_add_co_i32 s6, s6, 0x10000
	s_delay_alu instid0(SALU_CYCLE_1)
	s_cmp_lt_u32 s6, s23
	s_cbranch_scc0 .LBB60_33
.LBB60_6:                               ; =>This Loop Header: Depth=1
                                        ;     Child Loop BB60_9 Depth 2
	v_mov_b64_e32 v[18:19], 0
	v_mov_b64_e32 v[16:17], 0
	;; [unrolled: 1-line block ×4, first 2 shown]
	s_and_not1_b32 vcc_lo, exec_lo, s18
	s_cbranch_vccnz .LBB60_13
; %bb.7:                                ;   in Loop: Header=BB60_6 Depth=1
	v_mad_nc_u64_u32 v[20:21], s2, s6, v[8:9]
	v_mad_nc_u64_u32 v[22:23], s8, s6, v[10:11]
	v_mov_b64_e32 v[12:13], 0
	v_mov_b64_e32 v[14:15], 0
	;; [unrolled: 1-line block ×4, first 2 shown]
	s_mov_b32 s14, 0
	v_mad_u32 v21, s3, s6, v21
	v_mad_u32 v23, s9, s6, v23
	s_branch .LBB60_9
.LBB60_8:                               ;   in Loop: Header=BB60_9 Depth=2
	s_wait_xcnt 0x0
	s_or_b32 exec_lo, exec_lo, s15
	s_wait_loadcnt 0x0
	ds_store_b64 v31, v[26:27]
	s_wait_dscnt 0x0
	s_barrier_signal -1
	s_barrier_wait -1
	ds_load_b128 v[24:27], v33
	ds_load_2addr_b64 v[34:37], v32 offset1:16
	ds_load_b128 v[38:41], v33 offset:1024
	ds_load_b128 v[42:45], v33 offset:16
	;; [unrolled: 1-line block ×3, first 2 shown]
	v_add_nc_u64_e32 v[20:21], 64, v[20:21]
	v_add_nc_u64_e32 v[22:23], 64, v[22:23]
	s_add_co_i32 s14, s14, 8
	s_delay_alu instid0(SALU_CYCLE_1)
	s_cmp_lt_i32 s14, s5
	s_wait_dscnt 0x3
	v_fmac_f64_e32 v[18:19], v[34:35], v[24:25]
	v_fmac_f64_e32 v[16:17], v[36:37], v[24:25]
	s_wait_dscnt 0x2
	v_fmac_f64_e32 v[14:15], v[34:35], v[38:39]
	v_fmac_f64_e32 v[12:13], v[36:37], v[38:39]
	ds_load_2addr_b64 v[34:37], v32 offset0:32 offset1:48
	s_wait_dscnt 0x0
	v_fmac_f64_e32 v[18:19], v[34:35], v[26:27]
	v_fmac_f64_e32 v[16:17], v[36:37], v[26:27]
	v_fmac_f64_e32 v[14:15], v[34:35], v[40:41]
	v_fmac_f64_e32 v[12:13], v[36:37], v[40:41]
	ds_load_2addr_b64 v[24:27], v32 offset0:64 offset1:80
	s_wait_dscnt 0x0
	v_fmac_f64_e32 v[18:19], v[24:25], v[42:43]
	v_fmac_f64_e32 v[16:17], v[26:27], v[42:43]
	;; [unrolled: 6-line block ×3, first 2 shown]
	v_fmac_f64_e32 v[14:15], v[24:25], v[48:49]
	v_fmac_f64_e32 v[12:13], v[26:27], v[48:49]
	ds_load_b128 v[24:27], v33 offset:32
	ds_load_2addr_b64 v[34:37], v32 offset0:128 offset1:144
	ds_load_b128 v[38:41], v33 offset:1056
	ds_load_b128 v[42:45], v33 offset:48
	;; [unrolled: 1-line block ×3, first 2 shown]
	s_wait_dscnt 0x3
	v_fmac_f64_e32 v[18:19], v[34:35], v[24:25]
	v_fmac_f64_e32 v[16:17], v[36:37], v[24:25]
	s_wait_dscnt 0x2
	v_fmac_f64_e32 v[14:15], v[34:35], v[38:39]
	v_fmac_f64_e32 v[12:13], v[36:37], v[38:39]
	ds_load_2addr_b64 v[34:37], v32 offset0:160 offset1:176
	s_wait_dscnt 0x0
	v_fmac_f64_e32 v[18:19], v[34:35], v[26:27]
	v_fmac_f64_e32 v[16:17], v[36:37], v[26:27]
	;; [unrolled: 1-line block ×4, first 2 shown]
	ds_load_2addr_b64 v[24:27], v32 offset0:192 offset1:208
	s_wait_dscnt 0x0
	v_fmac_f64_e32 v[18:19], v[24:25], v[42:43]
	v_fmac_f64_e32 v[16:17], v[26:27], v[42:43]
	;; [unrolled: 1-line block ×4, first 2 shown]
	ds_load_2addr_b64 v[24:27], v32 offset0:224 offset1:240
	s_wait_dscnt 0x0
	s_barrier_signal -1
	s_barrier_wait -1
	v_fmac_f64_e32 v[18:19], v[24:25], v[44:45]
	v_fmac_f64_e32 v[16:17], v[26:27], v[44:45]
	;; [unrolled: 1-line block ×4, first 2 shown]
	s_cbranch_scc0 .LBB60_13
.LBB60_9:                               ;   Parent Loop BB60_6 Depth=1
                                        ; =>  This Inner Loop Header: Depth=2
	v_add_nc_u32_e32 v24, s14, v28
	s_delay_alu instid0(VALU_DEP_1) | instskip(SKIP_2) | instid1(SALU_CYCLE_1)
	v_cmp_gt_i32_e32 vcc_lo, s5, v24
	v_mov_b64_e32 v[24:25], 0
	s_and_b32 s16, s0, vcc_lo
	s_and_saveexec_b32 s15, s16
	s_cbranch_execz .LBB60_11
; %bb.10:                               ;   in Loop: Header=BB60_9 Depth=2
	global_load_b64 v[24:25], v[20:21], off
.LBB60_11:                              ;   in Loop: Header=BB60_9 Depth=2
	s_wait_xcnt 0x0
	s_or_b32 exec_lo, exec_lo, s15
	v_add_nc_u32_e32 v26, s14, v29
	s_wait_loadcnt 0x0
	ds_store_b64 v30, v[24:25]
	v_cmp_gt_i32_e32 vcc_lo, s5, v26
	v_mov_b64_e32 v[26:27], 0
	s_and_b32 s16, vcc_lo, s1
	s_delay_alu instid0(SALU_CYCLE_1)
	s_and_saveexec_b32 s15, s16
	s_cbranch_execz .LBB60_8
; %bb.12:                               ;   in Loop: Header=BB60_9 Depth=2
	global_load_b64 v[26:27], v[22:23], off
	s_branch .LBB60_8
.LBB60_13:                              ;   in Loop: Header=BB60_6 Depth=1
	s_mul_u64 s[14:15], s[24:25], s[6:7]
	s_delay_alu instid0(SALU_CYCLE_1) | instskip(NEXT) | instid1(SALU_CYCLE_1)
	s_lshl_b64 s[14:15], s[14:15], 3
	s_add_nc_u64 s[14:15], s[20:21], s[14:15]
	s_delay_alu instid0(SALU_CYCLE_1)
	v_lshl_add_u64 v[20:21], v[0:1], 3, s[14:15]
	s_and_saveexec_b32 s16, s26
	s_cbranch_execz .LBB60_17
; %bb.14:                               ;   in Loop: Header=BB60_6 Depth=1
	v_mul_f64_e32 v[18:19], s[12:13], v[18:19]
	s_delay_alu instid0(VALU_DEP_2)
	v_lshl_add_u64 v[22:23], v[4:5], 3, v[20:21]
	s_and_b32 vcc_lo, exec_lo, s22
	s_cbranch_vccz .LBB60_28
; %bb.15:                               ;   in Loop: Header=BB60_6 Depth=1
	global_load_b64 v[24:25], v[22:23], off
	s_wait_loadcnt 0x0
	v_fma_f64 v[24:25], s[10:11], v[24:25], v[18:19]
	global_store_b64 v[22:23], v[24:25], off
	s_cbranch_execnz .LBB60_17
.LBB60_16:                              ;   in Loop: Header=BB60_6 Depth=1
	global_store_b64 v[22:23], v[18:19], off
.LBB60_17:                              ;   in Loop: Header=BB60_6 Depth=1
	s_wait_xcnt 0x0
	s_or_b32 exec_lo, exec_lo, s16
	s_and_saveexec_b32 s16, s27
	s_cbranch_execz .LBB60_21
; %bb.18:                               ;   in Loop: Header=BB60_6 Depth=1
	s_delay_alu instid0(VALU_DEP_4)
	v_mul_f64_e32 v[16:17], s[12:13], v[16:17]
	v_lshl_add_u64 v[18:19], v[6:7], 3, v[20:21]
	s_and_not1_b32 vcc_lo, exec_lo, s22
	s_cbranch_vccnz .LBB60_29
; %bb.19:                               ;   in Loop: Header=BB60_6 Depth=1
	global_load_b64 v[20:21], v[18:19], off
	s_wait_loadcnt 0x0
	v_fma_f64 v[20:21], s[10:11], v[20:21], v[16:17]
	global_store_b64 v[18:19], v[20:21], off
	s_cbranch_execnz .LBB60_21
.LBB60_20:                              ;   in Loop: Header=BB60_6 Depth=1
	global_store_b64 v[18:19], v[16:17], off
.LBB60_21:                              ;   in Loop: Header=BB60_6 Depth=1
	s_wait_xcnt 0x0
	s_or_b32 exec_lo, exec_lo, s16
	v_lshl_add_u64 v[16:17], v[2:3], 3, s[14:15]
	s_and_saveexec_b32 s14, s4
	s_cbranch_execz .LBB60_25
; %bb.22:                               ;   in Loop: Header=BB60_6 Depth=1
	s_delay_alu instid0(VALU_DEP_4) | instskip(NEXT) | instid1(VALU_DEP_2)
	v_mul_f64_e32 v[14:15], s[12:13], v[14:15]
	v_lshl_add_u64 v[18:19], v[4:5], 3, v[16:17]
	s_and_not1_b32 vcc_lo, exec_lo, s22
	s_cbranch_vccnz .LBB60_30
; %bb.23:                               ;   in Loop: Header=BB60_6 Depth=1
	global_load_b64 v[20:21], v[18:19], off
	s_wait_loadcnt 0x0
	v_fma_f64 v[20:21], s[10:11], v[20:21], v[14:15]
	global_store_b64 v[18:19], v[20:21], off
	s_cbranch_execnz .LBB60_25
.LBB60_24:                              ;   in Loop: Header=BB60_6 Depth=1
	global_store_b64 v[18:19], v[14:15], off
.LBB60_25:                              ;   in Loop: Header=BB60_6 Depth=1
	s_wait_xcnt 0x0
	s_or_b32 exec_lo, exec_lo, s14
	s_and_saveexec_b32 s14, s19
	s_cbranch_execz .LBB60_5
; %bb.26:                               ;   in Loop: Header=BB60_6 Depth=1
	s_delay_alu instid0(VALU_DEP_3)
	v_mul_f64_e32 v[12:13], s[12:13], v[12:13]
	v_lshl_add_u64 v[14:15], v[6:7], 3, v[16:17]
	s_and_not1_b32 vcc_lo, exec_lo, s22
	s_cbranch_vccnz .LBB60_31
; %bb.27:                               ;   in Loop: Header=BB60_6 Depth=1
	global_load_b64 v[16:17], v[14:15], off
	s_wait_loadcnt 0x0
	v_fma_f64 v[16:17], s[10:11], v[16:17], v[12:13]
	global_store_b64 v[14:15], v[16:17], off
	s_cbranch_execnz .LBB60_5
	s_branch .LBB60_32
.LBB60_28:                              ;   in Loop: Header=BB60_6 Depth=1
	s_branch .LBB60_16
.LBB60_29:                              ;   in Loop: Header=BB60_6 Depth=1
	s_branch .LBB60_20
.LBB60_30:                              ;   in Loop: Header=BB60_6 Depth=1
	s_branch .LBB60_24
.LBB60_31:                              ;   in Loop: Header=BB60_6 Depth=1
.LBB60_32:                              ;   in Loop: Header=BB60_6 Depth=1
	global_store_b64 v[14:15], v[12:13], off
	s_branch .LBB60_5
.LBB60_33:
	s_endpgm
	.section	.rodata,"a",@progbits
	.p2align	6, 0x0
	.amdhsa_kernel _ZL29rocblas_internal_gemmt_kernelIiLi16ELi32ELi8ELc67ELc78ELc85ELb0ELb0EddPKdPdEviT_T9_T10_S3_lS5_S3_lS4_T11_S3_li
		.amdhsa_group_segment_fixed_size 4096
		.amdhsa_private_segment_fixed_size 0
		.amdhsa_kernarg_size 100
		.amdhsa_user_sgpr_count 2
		.amdhsa_user_sgpr_dispatch_ptr 0
		.amdhsa_user_sgpr_queue_ptr 0
		.amdhsa_user_sgpr_kernarg_segment_ptr 1
		.amdhsa_user_sgpr_dispatch_id 0
		.amdhsa_user_sgpr_kernarg_preload_length 0
		.amdhsa_user_sgpr_kernarg_preload_offset 0
		.amdhsa_user_sgpr_private_segment_size 0
		.amdhsa_wavefront_size32 1
		.amdhsa_uses_dynamic_stack 0
		.amdhsa_enable_private_segment 0
		.amdhsa_system_sgpr_workgroup_id_x 1
		.amdhsa_system_sgpr_workgroup_id_y 1
		.amdhsa_system_sgpr_workgroup_id_z 1
		.amdhsa_system_sgpr_workgroup_info 0
		.amdhsa_system_vgpr_workitem_id 1
		.amdhsa_next_free_vgpr 50
		.amdhsa_next_free_sgpr 34
		.amdhsa_named_barrier_count 0
		.amdhsa_reserve_vcc 1
		.amdhsa_float_round_mode_32 0
		.amdhsa_float_round_mode_16_64 0
		.amdhsa_float_denorm_mode_32 3
		.amdhsa_float_denorm_mode_16_64 3
		.amdhsa_fp16_overflow 0
		.amdhsa_memory_ordered 1
		.amdhsa_forward_progress 1
		.amdhsa_inst_pref_size 13
		.amdhsa_round_robin_scheduling 0
		.amdhsa_exception_fp_ieee_invalid_op 0
		.amdhsa_exception_fp_denorm_src 0
		.amdhsa_exception_fp_ieee_div_zero 0
		.amdhsa_exception_fp_ieee_overflow 0
		.amdhsa_exception_fp_ieee_underflow 0
		.amdhsa_exception_fp_ieee_inexact 0
		.amdhsa_exception_int_div_zero 0
	.end_amdhsa_kernel
	.section	.text._ZL29rocblas_internal_gemmt_kernelIiLi16ELi32ELi8ELc67ELc78ELc85ELb0ELb0EddPKdPdEviT_T9_T10_S3_lS5_S3_lS4_T11_S3_li,"axG",@progbits,_ZL29rocblas_internal_gemmt_kernelIiLi16ELi32ELi8ELc67ELc78ELc85ELb0ELb0EddPKdPdEviT_T9_T10_S3_lS5_S3_lS4_T11_S3_li,comdat
.Lfunc_end60:
	.size	_ZL29rocblas_internal_gemmt_kernelIiLi16ELi32ELi8ELc67ELc78ELc85ELb0ELb0EddPKdPdEviT_T9_T10_S3_lS5_S3_lS4_T11_S3_li, .Lfunc_end60-_ZL29rocblas_internal_gemmt_kernelIiLi16ELi32ELi8ELc67ELc78ELc85ELb0ELb0EddPKdPdEviT_T9_T10_S3_lS5_S3_lS4_T11_S3_li
                                        ; -- End function
	.set _ZL29rocblas_internal_gemmt_kernelIiLi16ELi32ELi8ELc67ELc78ELc85ELb0ELb0EddPKdPdEviT_T9_T10_S3_lS5_S3_lS4_T11_S3_li.num_vgpr, 50
	.set _ZL29rocblas_internal_gemmt_kernelIiLi16ELi32ELi8ELc67ELc78ELc85ELb0ELb0EddPKdPdEviT_T9_T10_S3_lS5_S3_lS4_T11_S3_li.num_agpr, 0
	.set _ZL29rocblas_internal_gemmt_kernelIiLi16ELi32ELi8ELc67ELc78ELc85ELb0ELb0EddPKdPdEviT_T9_T10_S3_lS5_S3_lS4_T11_S3_li.numbered_sgpr, 34
	.set _ZL29rocblas_internal_gemmt_kernelIiLi16ELi32ELi8ELc67ELc78ELc85ELb0ELb0EddPKdPdEviT_T9_T10_S3_lS5_S3_lS4_T11_S3_li.num_named_barrier, 0
	.set _ZL29rocblas_internal_gemmt_kernelIiLi16ELi32ELi8ELc67ELc78ELc85ELb0ELb0EddPKdPdEviT_T9_T10_S3_lS5_S3_lS4_T11_S3_li.private_seg_size, 0
	.set _ZL29rocblas_internal_gemmt_kernelIiLi16ELi32ELi8ELc67ELc78ELc85ELb0ELb0EddPKdPdEviT_T9_T10_S3_lS5_S3_lS4_T11_S3_li.uses_vcc, 1
	.set _ZL29rocblas_internal_gemmt_kernelIiLi16ELi32ELi8ELc67ELc78ELc85ELb0ELb0EddPKdPdEviT_T9_T10_S3_lS5_S3_lS4_T11_S3_li.uses_flat_scratch, 0
	.set _ZL29rocblas_internal_gemmt_kernelIiLi16ELi32ELi8ELc67ELc78ELc85ELb0ELb0EddPKdPdEviT_T9_T10_S3_lS5_S3_lS4_T11_S3_li.has_dyn_sized_stack, 0
	.set _ZL29rocblas_internal_gemmt_kernelIiLi16ELi32ELi8ELc67ELc78ELc85ELb0ELb0EddPKdPdEviT_T9_T10_S3_lS5_S3_lS4_T11_S3_li.has_recursion, 0
	.set _ZL29rocblas_internal_gemmt_kernelIiLi16ELi32ELi8ELc67ELc78ELc85ELb0ELb0EddPKdPdEviT_T9_T10_S3_lS5_S3_lS4_T11_S3_li.has_indirect_call, 0
	.section	.AMDGPU.csdata,"",@progbits
; Kernel info:
; codeLenInByte = 1644
; TotalNumSgprs: 36
; NumVgprs: 50
; ScratchSize: 0
; MemoryBound: 0
; FloatMode: 240
; IeeeMode: 1
; LDSByteSize: 4096 bytes/workgroup (compile time only)
; SGPRBlocks: 0
; VGPRBlocks: 3
; NumSGPRsForWavesPerEU: 36
; NumVGPRsForWavesPerEU: 50
; NamedBarCnt: 0
; Occupancy: 16
; WaveLimiterHint : 0
; COMPUTE_PGM_RSRC2:SCRATCH_EN: 0
; COMPUTE_PGM_RSRC2:USER_SGPR: 2
; COMPUTE_PGM_RSRC2:TRAP_HANDLER: 0
; COMPUTE_PGM_RSRC2:TGID_X_EN: 1
; COMPUTE_PGM_RSRC2:TGID_Y_EN: 1
; COMPUTE_PGM_RSRC2:TGID_Z_EN: 1
; COMPUTE_PGM_RSRC2:TIDIG_COMP_CNT: 1
	.section	.text._ZL29rocblas_internal_gemmt_kernelIiLi16ELi32ELi8ELc67ELc84ELc85ELb0ELb0EddPKdPdEviT_T9_T10_S3_lS5_S3_lS4_T11_S3_li,"axG",@progbits,_ZL29rocblas_internal_gemmt_kernelIiLi16ELi32ELi8ELc67ELc84ELc85ELb0ELb0EddPKdPdEviT_T9_T10_S3_lS5_S3_lS4_T11_S3_li,comdat
	.globl	_ZL29rocblas_internal_gemmt_kernelIiLi16ELi32ELi8ELc67ELc84ELc85ELb0ELb0EddPKdPdEviT_T9_T10_S3_lS5_S3_lS4_T11_S3_li ; -- Begin function _ZL29rocblas_internal_gemmt_kernelIiLi16ELi32ELi8ELc67ELc84ELc85ELb0ELb0EddPKdPdEviT_T9_T10_S3_lS5_S3_lS4_T11_S3_li
	.p2align	8
	.type	_ZL29rocblas_internal_gemmt_kernelIiLi16ELi32ELi8ELc67ELc84ELc85ELb0ELb0EddPKdPdEviT_T9_T10_S3_lS5_S3_lS4_T11_S3_li,@function
_ZL29rocblas_internal_gemmt_kernelIiLi16ELi32ELi8ELc67ELc84ELc85ELb0ELb0EddPKdPdEviT_T9_T10_S3_lS5_S3_lS4_T11_S3_li: ; @_ZL29rocblas_internal_gemmt_kernelIiLi16ELi32ELi8ELc67ELc84ELc85ELb0ELb0EddPKdPdEviT_T9_T10_S3_lS5_S3_lS4_T11_S3_li
; %bb.0:
	s_clause 0x2
	s_load_b128 s[4:7], s[0:1], 0x38
	s_load_b64 s[20:21], s[0:1], 0x0
	s_load_b128 s[8:11], s[0:1], 0x8
	s_wait_kmcnt 0x0
	v_cmp_neq_f64_e64 s2, s[6:7], 1.0
	s_and_b32 vcc_lo, exec_lo, s2
	s_cbranch_vccnz .LBB61_2
; %bb.1:
	v_cmp_neq_f64_e64 s2, s[8:9], 0
	s_cmp_lg_u32 s21, 0
	s_cselect_b32 s3, -1, 0
	s_delay_alu instid0(SALU_CYCLE_1)
	s_and_b32 s2, s3, s2
.LBB61_2:
	s_delay_alu instid0(SALU_CYCLE_1)
	s_and_not1_b32 vcc_lo, exec_lo, s2
	s_cbranch_vccnz .LBB61_33
; %bb.3:
	s_load_b32 s19, s[0:1], 0x60
	s_bfe_u32 s2, ttmp6, 0x40014
	s_lshr_b32 s3, ttmp7, 16
	s_add_co_i32 s2, s2, 1
	s_bfe_u32 s12, ttmp6, 0x40008
	s_mul_i32 s2, s3, s2
	s_getreg_b32 s28, hwreg(HW_REG_IB_STS2, 6, 4)
	s_add_co_i32 s12, s12, s2
	s_cmp_eq_u32 s28, 0
	s_mov_b32 s23, 0
	s_cselect_b32 s22, s3, s12
	s_wait_kmcnt 0x0
	s_cmp_ge_u32 s22, s19
	s_cbranch_scc1 .LBB61_33
; %bb.4:
	s_clause 0x3
	s_load_b32 s2, s[0:1], 0x18
	s_load_b32 s26, s[0:1], 0x30
	s_load_b96 s[16:18], s[0:1], 0x48
	s_load_b128 s[12:15], s[0:1], 0x20
	v_and_b32_e32 v9, 0x3ff, v0
	v_bfe_u32 v10, v0, 10, 10
	s_load_b64 s[24:25], s[0:1], 0x58
	s_wait_xcnt 0x0
	s_bfe_u32 s1, ttmp6, 0x4000c
	s_bfe_u32 s3, ttmp6, 0x40010
	s_and_b32 s30, ttmp7, 0xffff
	s_add_co_i32 s1, s1, 1
	s_add_co_i32 s3, s3, 1
	v_lshl_add_u32 v1, v10, 4, v9
	s_and_b32 s0, ttmp6, 15
	s_mul_i32 s1, ttmp9, s1
	s_mul_i32 s31, s30, s3
	s_bfe_u32 s33, ttmp6, 0x40004
	s_add_co_i32 s0, s0, s1
	s_add_co_i32 s33, s33, s31
	v_dual_lshrrev_b32 v5, 3, v1 :: v_dual_bitop2_b32 v4, 31, v1 bitop3:0x40
	s_wait_kmcnt 0x0
	s_ashr_i32 s3, s2, 31
	s_ashr_i32 s27, s26, 31
	;; [unrolled: 1-line block ×3, first 2 shown]
	s_cmp_eq_u32 s28, 0
	v_dual_lshrrev_b32 v30, 5, v1 :: v_dual_bitop2_b32 v0, 7, v0 bitop3:0x40
	s_cselect_b32 s0, ttmp9, s0
	s_cselect_b32 s1, s30, s33
	s_lshl_b32 s30, s0, 5
	s_delay_alu instid0(SALU_CYCLE_1) | instskip(SKIP_2) | instid1(VALU_DEP_1)
	v_dual_mov_b32 v11, 0 :: v_dual_bitop2_b32 v2, s30, v4 bitop3:0x54
	s_lshl_b32 s0, s1, 5
	s_mov_b32 s28, s18
	v_dual_mov_b32 v1, v11 :: v_dual_add_nc_u32 v12, s0, v5
	v_add_nc_u32_e32 v14, s0, v10
	v_ashrrev_i32_e32 v3, 31, v2
	v_cmp_neq_f64_e64 s31, s[8:9], 0
	v_cmp_gt_i32_e64 s0, s20, v2
	v_mul_u64_e32 v[18:19], s[26:27], v[0:1]
	v_dual_add_nc_u32 v20, 16, v14 :: v_dual_lshlrev_b32 v1, 3, v0
	v_mul_u64_e32 v[16:17], s[2:3], v[2:3]
	v_dual_lshlrev_b32 v3, 3, v4 :: v_dual_ashrrev_i32 v15, 31, v14
	s_delay_alu instid0(VALU_DEP_3) | instskip(NEXT) | instid1(VALU_DEP_4)
	v_dual_ashrrev_i32 v21, 31, v20 :: v_dual_add_nc_u32 v2, s30, v9
	v_lshl_or_b32 v8, v5, 6, v1
	v_cmp_neq_f64_e64 s18, s[6:7], 0
	s_delay_alu instid0(VALU_DEP_4) | instskip(NEXT) | instid1(VALU_DEP_4)
	v_mul_u64_e32 v[4:5], s[28:29], v[14:15]
	v_mul_u64_e32 v[6:7], s[28:29], v[20:21]
	v_ashrrev_i32_e32 v13, 31, v12
	v_add_nc_u32_e32 v31, 0x800, v8
	v_add_nc_u32_e32 v8, 16, v2
	v_cmp_gt_i32_e64 s1, s20, v12
	v_lshl_add_u32 v33, v10, 6, 0x800
	v_lshlrev_b64_e32 v[12:13], 3, v[12:13]
	v_lshlrev_b32_e32 v10, 3, v30
	v_cmp_gt_i32_e32 vcc_lo, s20, v14
	v_cmp_le_i32_e64 s2, v2, v14
	v_lshlrev_b32_e32 v32, 3, v9
	v_cmp_le_i32_e64 s3, v8, v14
	v_ashrrev_i32_e32 v9, 31, v8
	s_cmp_gt_i32 s21, 0
	v_lshl_or_b32 v1, v30, 8, v3
	s_cselect_b32 s33, -1, 0
	s_and_b32 s28, vcc_lo, s2
	s_and_b32 s29, vcc_lo, s3
	v_cmp_gt_i32_e32 vcc_lo, s20, v20
	v_cmp_le_i32_e64 s2, v2, v20
	v_cmp_le_i32_e64 s3, v8, v20
	v_lshl_add_u64 v[12:13], v[18:19], 3, v[12:13]
	v_ashrrev_i32_e32 v3, 31, v2
	s_lshl_b64 s[4:5], s[4:5], 3
	v_lshl_add_u64 v[10:11], v[16:17], 3, v[10:11]
	s_and_b32 s20, vcc_lo, s2
	v_add_nc_u64_e32 v[12:13], s[14:15], v[12:13]
	s_and_b32 s30, vcc_lo, s3
	s_and_b32 s14, s31, s33
	v_add_nc_u64_e32 v[10:11], s[10:11], v[10:11]
	s_lshl_b64 s[2:3], s[12:13], 3
	s_lshl_b64 s[10:11], s[26:27], 6
	s_branch .LBB61_6
.LBB61_5:                               ;   in Loop: Header=BB61_6 Depth=1
	s_wait_xcnt 0x0
	s_or_b32 exec_lo, exec_lo, s12
	s_add_co_i32 s22, s22, 0x10000
	s_delay_alu instid0(SALU_CYCLE_1)
	s_cmp_lt_u32 s22, s19
	s_cbranch_scc0 .LBB61_33
.LBB61_6:                               ; =>This Loop Header: Depth=1
                                        ;     Child Loop BB61_9 Depth 2
	v_mov_b64_e32 v[20:21], 0
	v_mov_b64_e32 v[18:19], 0
	;; [unrolled: 1-line block ×4, first 2 shown]
	s_and_not1_b32 vcc_lo, exec_lo, s14
	s_cbranch_vccnz .LBB61_13
; %bb.7:                                ;   in Loop: Header=BB61_6 Depth=1
	v_mad_nc_u64_u32 v[22:23], s2, s22, v[10:11]
	v_mad_nc_u64_u32 v[24:25], s4, s22, v[12:13]
	v_mov_b64_e32 v[14:15], 0
	v_mov_b64_e32 v[16:17], 0
	v_mov_b64_e32 v[18:19], 0
	v_mov_b64_e32 v[20:21], 0
	s_mov_b32 s12, 0
	v_mad_u32 v23, s3, s22, v23
	v_mad_u32 v25, s5, s22, v25
	s_branch .LBB61_9
.LBB61_8:                               ;   in Loop: Header=BB61_9 Depth=2
	s_wait_xcnt 0x0
	s_or_b32 exec_lo, exec_lo, s13
	s_wait_loadcnt 0x0
	ds_store_b64 v31, v[28:29]
	s_wait_dscnt 0x0
	s_barrier_signal -1
	s_barrier_wait -1
	ds_load_b128 v[26:29], v33
	ds_load_2addr_b64 v[34:37], v32 offset1:16
	ds_load_b128 v[38:41], v33 offset:1024
	ds_load_b128 v[42:45], v33 offset:16
	;; [unrolled: 1-line block ×3, first 2 shown]
	v_add_nc_u64_e32 v[22:23], 64, v[22:23]
	v_add_nc_u64_e32 v[24:25], s[10:11], v[24:25]
	s_add_co_i32 s12, s12, 8
	s_delay_alu instid0(SALU_CYCLE_1)
	s_cmp_lt_i32 s12, s21
	s_wait_dscnt 0x3
	v_fmac_f64_e32 v[20:21], v[34:35], v[26:27]
	v_fmac_f64_e32 v[18:19], v[36:37], v[26:27]
	s_wait_dscnt 0x2
	v_fmac_f64_e32 v[16:17], v[34:35], v[38:39]
	v_fmac_f64_e32 v[14:15], v[36:37], v[38:39]
	ds_load_2addr_b64 v[34:37], v32 offset0:32 offset1:48
	s_wait_dscnt 0x0
	v_fmac_f64_e32 v[20:21], v[34:35], v[28:29]
	v_fmac_f64_e32 v[18:19], v[36:37], v[28:29]
	v_fmac_f64_e32 v[16:17], v[34:35], v[40:41]
	v_fmac_f64_e32 v[14:15], v[36:37], v[40:41]
	ds_load_2addr_b64 v[26:29], v32 offset0:64 offset1:80
	s_wait_dscnt 0x0
	v_fmac_f64_e32 v[20:21], v[26:27], v[42:43]
	v_fmac_f64_e32 v[18:19], v[28:29], v[42:43]
	;; [unrolled: 6-line block ×3, first 2 shown]
	v_fmac_f64_e32 v[16:17], v[26:27], v[48:49]
	v_fmac_f64_e32 v[14:15], v[28:29], v[48:49]
	ds_load_b128 v[26:29], v33 offset:32
	ds_load_2addr_b64 v[34:37], v32 offset0:128 offset1:144
	ds_load_b128 v[38:41], v33 offset:1056
	ds_load_b128 v[42:45], v33 offset:48
	;; [unrolled: 1-line block ×3, first 2 shown]
	s_wait_dscnt 0x3
	v_fmac_f64_e32 v[20:21], v[34:35], v[26:27]
	v_fmac_f64_e32 v[18:19], v[36:37], v[26:27]
	s_wait_dscnt 0x2
	v_fmac_f64_e32 v[16:17], v[34:35], v[38:39]
	v_fmac_f64_e32 v[14:15], v[36:37], v[38:39]
	ds_load_2addr_b64 v[34:37], v32 offset0:160 offset1:176
	s_wait_dscnt 0x0
	v_fmac_f64_e32 v[20:21], v[34:35], v[28:29]
	v_fmac_f64_e32 v[18:19], v[36:37], v[28:29]
	;; [unrolled: 1-line block ×4, first 2 shown]
	ds_load_2addr_b64 v[26:29], v32 offset0:192 offset1:208
	s_wait_dscnt 0x0
	v_fmac_f64_e32 v[20:21], v[26:27], v[42:43]
	v_fmac_f64_e32 v[18:19], v[28:29], v[42:43]
	;; [unrolled: 1-line block ×4, first 2 shown]
	ds_load_2addr_b64 v[26:29], v32 offset0:224 offset1:240
	s_wait_dscnt 0x0
	s_barrier_signal -1
	s_barrier_wait -1
	v_fmac_f64_e32 v[20:21], v[26:27], v[44:45]
	v_fmac_f64_e32 v[18:19], v[28:29], v[44:45]
	;; [unrolled: 1-line block ×4, first 2 shown]
	s_cbranch_scc0 .LBB61_13
.LBB61_9:                               ;   Parent Loop BB61_6 Depth=1
                                        ; =>  This Inner Loop Header: Depth=2
	v_add_nc_u32_e32 v26, s12, v30
	s_delay_alu instid0(VALU_DEP_1) | instskip(SKIP_2) | instid1(SALU_CYCLE_1)
	v_cmp_gt_i32_e32 vcc_lo, s21, v26
	v_mov_b64_e32 v[26:27], 0
	s_and_b32 s15, s0, vcc_lo
	s_and_saveexec_b32 s13, s15
	s_cbranch_execz .LBB61_11
; %bb.10:                               ;   in Loop: Header=BB61_9 Depth=2
	global_load_b64 v[26:27], v[22:23], off
.LBB61_11:                              ;   in Loop: Header=BB61_9 Depth=2
	s_wait_xcnt 0x0
	s_or_b32 exec_lo, exec_lo, s13
	v_add_nc_u32_e32 v28, s12, v0
	s_wait_loadcnt 0x0
	ds_store_b64 v1, v[26:27]
	v_cmp_gt_i32_e32 vcc_lo, s21, v28
	v_mov_b64_e32 v[28:29], 0
	s_and_b32 s15, vcc_lo, s1
	s_delay_alu instid0(SALU_CYCLE_1)
	s_and_saveexec_b32 s13, s15
	s_cbranch_execz .LBB61_8
; %bb.12:                               ;   in Loop: Header=BB61_9 Depth=2
	global_load_b64 v[28:29], v[24:25], off
	s_branch .LBB61_8
.LBB61_13:                              ;   in Loop: Header=BB61_6 Depth=1
	s_mul_u64 s[12:13], s[24:25], s[22:23]
	s_delay_alu instid0(SALU_CYCLE_1) | instskip(NEXT) | instid1(SALU_CYCLE_1)
	s_lshl_b64 s[12:13], s[12:13], 3
	s_add_nc_u64 s[12:13], s[16:17], s[12:13]
	s_delay_alu instid0(SALU_CYCLE_1)
	v_lshl_add_u64 v[22:23], v[4:5], 3, s[12:13]
	s_and_saveexec_b32 s15, s28
	s_cbranch_execz .LBB61_17
; %bb.14:                               ;   in Loop: Header=BB61_6 Depth=1
	v_mul_f64_e32 v[20:21], s[8:9], v[20:21]
	s_delay_alu instid0(VALU_DEP_2)
	v_lshl_add_u64 v[24:25], v[2:3], 3, v[22:23]
	s_and_b32 vcc_lo, exec_lo, s18
	s_cbranch_vccz .LBB61_28
; %bb.15:                               ;   in Loop: Header=BB61_6 Depth=1
	global_load_b64 v[26:27], v[24:25], off
	s_wait_loadcnt 0x0
	v_fma_f64 v[26:27], s[6:7], v[26:27], v[20:21]
	global_store_b64 v[24:25], v[26:27], off
	s_cbranch_execnz .LBB61_17
.LBB61_16:                              ;   in Loop: Header=BB61_6 Depth=1
	global_store_b64 v[24:25], v[20:21], off
.LBB61_17:                              ;   in Loop: Header=BB61_6 Depth=1
	s_wait_xcnt 0x0
	s_or_b32 exec_lo, exec_lo, s15
	s_and_saveexec_b32 s15, s29
	s_cbranch_execz .LBB61_21
; %bb.18:                               ;   in Loop: Header=BB61_6 Depth=1
	s_delay_alu instid0(VALU_DEP_4)
	v_mul_f64_e32 v[18:19], s[8:9], v[18:19]
	v_lshl_add_u64 v[20:21], v[8:9], 3, v[22:23]
	s_and_not1_b32 vcc_lo, exec_lo, s18
	s_cbranch_vccnz .LBB61_29
; %bb.19:                               ;   in Loop: Header=BB61_6 Depth=1
	global_load_b64 v[22:23], v[20:21], off
	s_wait_loadcnt 0x0
	v_fma_f64 v[22:23], s[6:7], v[22:23], v[18:19]
	global_store_b64 v[20:21], v[22:23], off
	s_cbranch_execnz .LBB61_21
.LBB61_20:                              ;   in Loop: Header=BB61_6 Depth=1
	global_store_b64 v[20:21], v[18:19], off
.LBB61_21:                              ;   in Loop: Header=BB61_6 Depth=1
	s_wait_xcnt 0x0
	s_or_b32 exec_lo, exec_lo, s15
	v_lshl_add_u64 v[18:19], v[6:7], 3, s[12:13]
	s_and_saveexec_b32 s12, s20
	s_cbranch_execz .LBB61_25
; %bb.22:                               ;   in Loop: Header=BB61_6 Depth=1
	s_delay_alu instid0(VALU_DEP_4) | instskip(NEXT) | instid1(VALU_DEP_2)
	v_mul_f64_e32 v[16:17], s[8:9], v[16:17]
	v_lshl_add_u64 v[20:21], v[2:3], 3, v[18:19]
	s_and_not1_b32 vcc_lo, exec_lo, s18
	s_cbranch_vccnz .LBB61_30
; %bb.23:                               ;   in Loop: Header=BB61_6 Depth=1
	global_load_b64 v[22:23], v[20:21], off
	s_wait_loadcnt 0x0
	v_fma_f64 v[22:23], s[6:7], v[22:23], v[16:17]
	global_store_b64 v[20:21], v[22:23], off
	s_cbranch_execnz .LBB61_25
.LBB61_24:                              ;   in Loop: Header=BB61_6 Depth=1
	global_store_b64 v[20:21], v[16:17], off
.LBB61_25:                              ;   in Loop: Header=BB61_6 Depth=1
	s_wait_xcnt 0x0
	s_or_b32 exec_lo, exec_lo, s12
	s_and_saveexec_b32 s12, s30
	s_cbranch_execz .LBB61_5
; %bb.26:                               ;   in Loop: Header=BB61_6 Depth=1
	s_delay_alu instid0(VALU_DEP_3)
	v_mul_f64_e32 v[14:15], s[8:9], v[14:15]
	v_lshl_add_u64 v[16:17], v[8:9], 3, v[18:19]
	s_and_not1_b32 vcc_lo, exec_lo, s18
	s_cbranch_vccnz .LBB61_31
; %bb.27:                               ;   in Loop: Header=BB61_6 Depth=1
	global_load_b64 v[18:19], v[16:17], off
	s_wait_loadcnt 0x0
	v_fma_f64 v[18:19], s[6:7], v[18:19], v[14:15]
	global_store_b64 v[16:17], v[18:19], off
	s_cbranch_execnz .LBB61_5
	s_branch .LBB61_32
.LBB61_28:                              ;   in Loop: Header=BB61_6 Depth=1
	s_branch .LBB61_16
.LBB61_29:                              ;   in Loop: Header=BB61_6 Depth=1
	s_branch .LBB61_20
.LBB61_30:                              ;   in Loop: Header=BB61_6 Depth=1
	s_branch .LBB61_24
.LBB61_31:                              ;   in Loop: Header=BB61_6 Depth=1
.LBB61_32:                              ;   in Loop: Header=BB61_6 Depth=1
	global_store_b64 v[16:17], v[14:15], off
	s_branch .LBB61_5
.LBB61_33:
	s_endpgm
	.section	.rodata,"a",@progbits
	.p2align	6, 0x0
	.amdhsa_kernel _ZL29rocblas_internal_gemmt_kernelIiLi16ELi32ELi8ELc67ELc84ELc85ELb0ELb0EddPKdPdEviT_T9_T10_S3_lS5_S3_lS4_T11_S3_li
		.amdhsa_group_segment_fixed_size 4096
		.amdhsa_private_segment_fixed_size 0
		.amdhsa_kernarg_size 100
		.amdhsa_user_sgpr_count 2
		.amdhsa_user_sgpr_dispatch_ptr 0
		.amdhsa_user_sgpr_queue_ptr 0
		.amdhsa_user_sgpr_kernarg_segment_ptr 1
		.amdhsa_user_sgpr_dispatch_id 0
		.amdhsa_user_sgpr_kernarg_preload_length 0
		.amdhsa_user_sgpr_kernarg_preload_offset 0
		.amdhsa_user_sgpr_private_segment_size 0
		.amdhsa_wavefront_size32 1
		.amdhsa_uses_dynamic_stack 0
		.amdhsa_enable_private_segment 0
		.amdhsa_system_sgpr_workgroup_id_x 1
		.amdhsa_system_sgpr_workgroup_id_y 1
		.amdhsa_system_sgpr_workgroup_id_z 1
		.amdhsa_system_sgpr_workgroup_info 0
		.amdhsa_system_vgpr_workitem_id 1
		.amdhsa_next_free_vgpr 50
		.amdhsa_next_free_sgpr 34
		.amdhsa_named_barrier_count 0
		.amdhsa_reserve_vcc 1
		.amdhsa_float_round_mode_32 0
		.amdhsa_float_round_mode_16_64 0
		.amdhsa_float_denorm_mode_32 3
		.amdhsa_float_denorm_mode_16_64 3
		.amdhsa_fp16_overflow 0
		.amdhsa_memory_ordered 1
		.amdhsa_forward_progress 1
		.amdhsa_inst_pref_size 13
		.amdhsa_round_robin_scheduling 0
		.amdhsa_exception_fp_ieee_invalid_op 0
		.amdhsa_exception_fp_denorm_src 0
		.amdhsa_exception_fp_ieee_div_zero 0
		.amdhsa_exception_fp_ieee_overflow 0
		.amdhsa_exception_fp_ieee_underflow 0
		.amdhsa_exception_fp_ieee_inexact 0
		.amdhsa_exception_int_div_zero 0
	.end_amdhsa_kernel
	.section	.text._ZL29rocblas_internal_gemmt_kernelIiLi16ELi32ELi8ELc67ELc84ELc85ELb0ELb0EddPKdPdEviT_T9_T10_S3_lS5_S3_lS4_T11_S3_li,"axG",@progbits,_ZL29rocblas_internal_gemmt_kernelIiLi16ELi32ELi8ELc67ELc84ELc85ELb0ELb0EddPKdPdEviT_T9_T10_S3_lS5_S3_lS4_T11_S3_li,comdat
.Lfunc_end61:
	.size	_ZL29rocblas_internal_gemmt_kernelIiLi16ELi32ELi8ELc67ELc84ELc85ELb0ELb0EddPKdPdEviT_T9_T10_S3_lS5_S3_lS4_T11_S3_li, .Lfunc_end61-_ZL29rocblas_internal_gemmt_kernelIiLi16ELi32ELi8ELc67ELc84ELc85ELb0ELb0EddPKdPdEviT_T9_T10_S3_lS5_S3_lS4_T11_S3_li
                                        ; -- End function
	.set _ZL29rocblas_internal_gemmt_kernelIiLi16ELi32ELi8ELc67ELc84ELc85ELb0ELb0EddPKdPdEviT_T9_T10_S3_lS5_S3_lS4_T11_S3_li.num_vgpr, 50
	.set _ZL29rocblas_internal_gemmt_kernelIiLi16ELi32ELi8ELc67ELc84ELc85ELb0ELb0EddPKdPdEviT_T9_T10_S3_lS5_S3_lS4_T11_S3_li.num_agpr, 0
	.set _ZL29rocblas_internal_gemmt_kernelIiLi16ELi32ELi8ELc67ELc84ELc85ELb0ELb0EddPKdPdEviT_T9_T10_S3_lS5_S3_lS4_T11_S3_li.numbered_sgpr, 34
	.set _ZL29rocblas_internal_gemmt_kernelIiLi16ELi32ELi8ELc67ELc84ELc85ELb0ELb0EddPKdPdEviT_T9_T10_S3_lS5_S3_lS4_T11_S3_li.num_named_barrier, 0
	.set _ZL29rocblas_internal_gemmt_kernelIiLi16ELi32ELi8ELc67ELc84ELc85ELb0ELb0EddPKdPdEviT_T9_T10_S3_lS5_S3_lS4_T11_S3_li.private_seg_size, 0
	.set _ZL29rocblas_internal_gemmt_kernelIiLi16ELi32ELi8ELc67ELc84ELc85ELb0ELb0EddPKdPdEviT_T9_T10_S3_lS5_S3_lS4_T11_S3_li.uses_vcc, 1
	.set _ZL29rocblas_internal_gemmt_kernelIiLi16ELi32ELi8ELc67ELc84ELc85ELb0ELb0EddPKdPdEviT_T9_T10_S3_lS5_S3_lS4_T11_S3_li.uses_flat_scratch, 0
	.set _ZL29rocblas_internal_gemmt_kernelIiLi16ELi32ELi8ELc67ELc84ELc85ELb0ELb0EddPKdPdEviT_T9_T10_S3_lS5_S3_lS4_T11_S3_li.has_dyn_sized_stack, 0
	.set _ZL29rocblas_internal_gemmt_kernelIiLi16ELi32ELi8ELc67ELc84ELc85ELb0ELb0EddPKdPdEviT_T9_T10_S3_lS5_S3_lS4_T11_S3_li.has_recursion, 0
	.set _ZL29rocblas_internal_gemmt_kernelIiLi16ELi32ELi8ELc67ELc84ELc85ELb0ELb0EddPKdPdEviT_T9_T10_S3_lS5_S3_lS4_T11_S3_li.has_indirect_call, 0
	.section	.AMDGPU.csdata,"",@progbits
; Kernel info:
; codeLenInByte = 1636
; TotalNumSgprs: 36
; NumVgprs: 50
; ScratchSize: 0
; MemoryBound: 0
; FloatMode: 240
; IeeeMode: 1
; LDSByteSize: 4096 bytes/workgroup (compile time only)
; SGPRBlocks: 0
; VGPRBlocks: 3
; NumSGPRsForWavesPerEU: 36
; NumVGPRsForWavesPerEU: 50
; NamedBarCnt: 0
; Occupancy: 16
; WaveLimiterHint : 0
; COMPUTE_PGM_RSRC2:SCRATCH_EN: 0
; COMPUTE_PGM_RSRC2:USER_SGPR: 2
; COMPUTE_PGM_RSRC2:TRAP_HANDLER: 0
; COMPUTE_PGM_RSRC2:TGID_X_EN: 1
; COMPUTE_PGM_RSRC2:TGID_Y_EN: 1
; COMPUTE_PGM_RSRC2:TGID_Z_EN: 1
; COMPUTE_PGM_RSRC2:TIDIG_COMP_CNT: 1
	.section	.text._ZL29rocblas_internal_gemmt_kernelIiLi16ELi32ELi8ELc67ELc67ELc85ELb0ELb0EddPKdPdEviT_T9_T10_S3_lS5_S3_lS4_T11_S3_li,"axG",@progbits,_ZL29rocblas_internal_gemmt_kernelIiLi16ELi32ELi8ELc67ELc67ELc85ELb0ELb0EddPKdPdEviT_T9_T10_S3_lS5_S3_lS4_T11_S3_li,comdat
	.globl	_ZL29rocblas_internal_gemmt_kernelIiLi16ELi32ELi8ELc67ELc67ELc85ELb0ELb0EddPKdPdEviT_T9_T10_S3_lS5_S3_lS4_T11_S3_li ; -- Begin function _ZL29rocblas_internal_gemmt_kernelIiLi16ELi32ELi8ELc67ELc67ELc85ELb0ELb0EddPKdPdEviT_T9_T10_S3_lS5_S3_lS4_T11_S3_li
	.p2align	8
	.type	_ZL29rocblas_internal_gemmt_kernelIiLi16ELi32ELi8ELc67ELc67ELc85ELb0ELb0EddPKdPdEviT_T9_T10_S3_lS5_S3_lS4_T11_S3_li,@function
_ZL29rocblas_internal_gemmt_kernelIiLi16ELi32ELi8ELc67ELc67ELc85ELb0ELb0EddPKdPdEviT_T9_T10_S3_lS5_S3_lS4_T11_S3_li: ; @_ZL29rocblas_internal_gemmt_kernelIiLi16ELi32ELi8ELc67ELc67ELc85ELb0ELb0EddPKdPdEviT_T9_T10_S3_lS5_S3_lS4_T11_S3_li
; %bb.0:
	s_clause 0x2
	s_load_b128 s[4:7], s[0:1], 0x38
	s_load_b64 s[20:21], s[0:1], 0x0
	s_load_b128 s[8:11], s[0:1], 0x8
	s_wait_kmcnt 0x0
	v_cmp_neq_f64_e64 s2, s[6:7], 1.0
	s_and_b32 vcc_lo, exec_lo, s2
	s_cbranch_vccnz .LBB62_2
; %bb.1:
	v_cmp_neq_f64_e64 s2, s[8:9], 0
	s_cmp_lg_u32 s21, 0
	s_cselect_b32 s3, -1, 0
	s_delay_alu instid0(SALU_CYCLE_1)
	s_and_b32 s2, s3, s2
.LBB62_2:
	s_delay_alu instid0(SALU_CYCLE_1)
	s_and_not1_b32 vcc_lo, exec_lo, s2
	s_cbranch_vccnz .LBB62_33
; %bb.3:
	s_load_b32 s19, s[0:1], 0x60
	s_bfe_u32 s2, ttmp6, 0x40014
	s_lshr_b32 s3, ttmp7, 16
	s_add_co_i32 s2, s2, 1
	s_bfe_u32 s12, ttmp6, 0x40008
	s_mul_i32 s2, s3, s2
	s_getreg_b32 s28, hwreg(HW_REG_IB_STS2, 6, 4)
	s_add_co_i32 s12, s12, s2
	s_cmp_eq_u32 s28, 0
	s_mov_b32 s23, 0
	s_cselect_b32 s22, s3, s12
	s_wait_kmcnt 0x0
	s_cmp_ge_u32 s22, s19
	s_cbranch_scc1 .LBB62_33
; %bb.4:
	s_clause 0x3
	s_load_b32 s2, s[0:1], 0x18
	s_load_b32 s26, s[0:1], 0x30
	s_load_b96 s[16:18], s[0:1], 0x48
	s_load_b128 s[12:15], s[0:1], 0x20
	v_and_b32_e32 v9, 0x3ff, v0
	v_bfe_u32 v10, v0, 10, 10
	s_load_b64 s[24:25], s[0:1], 0x58
	s_wait_xcnt 0x0
	s_bfe_u32 s1, ttmp6, 0x4000c
	s_bfe_u32 s3, ttmp6, 0x40010
	s_and_b32 s30, ttmp7, 0xffff
	s_add_co_i32 s1, s1, 1
	s_add_co_i32 s3, s3, 1
	v_lshl_add_u32 v1, v10, 4, v9
	s_and_b32 s0, ttmp6, 15
	s_mul_i32 s1, ttmp9, s1
	s_mul_i32 s31, s30, s3
	s_bfe_u32 s33, ttmp6, 0x40004
	s_add_co_i32 s0, s0, s1
	s_add_co_i32 s33, s33, s31
	v_dual_lshrrev_b32 v5, 3, v1 :: v_dual_bitop2_b32 v4, 31, v1 bitop3:0x40
	s_wait_kmcnt 0x0
	s_ashr_i32 s3, s2, 31
	s_ashr_i32 s27, s26, 31
	;; [unrolled: 1-line block ×3, first 2 shown]
	s_cmp_eq_u32 s28, 0
	v_dual_lshrrev_b32 v30, 5, v1 :: v_dual_bitop2_b32 v0, 7, v0 bitop3:0x40
	s_cselect_b32 s0, ttmp9, s0
	s_cselect_b32 s1, s30, s33
	s_lshl_b32 s30, s0, 5
	s_delay_alu instid0(SALU_CYCLE_1) | instskip(SKIP_2) | instid1(VALU_DEP_1)
	v_dual_mov_b32 v11, 0 :: v_dual_bitop2_b32 v2, s30, v4 bitop3:0x54
	s_lshl_b32 s0, s1, 5
	s_mov_b32 s28, s18
	v_dual_mov_b32 v1, v11 :: v_dual_add_nc_u32 v12, s0, v5
	v_add_nc_u32_e32 v14, s0, v10
	v_ashrrev_i32_e32 v3, 31, v2
	v_cmp_neq_f64_e64 s31, s[8:9], 0
	v_cmp_gt_i32_e64 s0, s20, v2
	v_mul_u64_e32 v[18:19], s[26:27], v[0:1]
	v_dual_add_nc_u32 v20, 16, v14 :: v_dual_lshlrev_b32 v1, 3, v0
	v_mul_u64_e32 v[16:17], s[2:3], v[2:3]
	v_dual_lshlrev_b32 v3, 3, v4 :: v_dual_ashrrev_i32 v15, 31, v14
	s_delay_alu instid0(VALU_DEP_3) | instskip(NEXT) | instid1(VALU_DEP_4)
	v_dual_ashrrev_i32 v21, 31, v20 :: v_dual_add_nc_u32 v2, s30, v9
	v_lshl_or_b32 v8, v5, 6, v1
	v_cmp_neq_f64_e64 s18, s[6:7], 0
	s_delay_alu instid0(VALU_DEP_4) | instskip(NEXT) | instid1(VALU_DEP_4)
	v_mul_u64_e32 v[4:5], s[28:29], v[14:15]
	v_mul_u64_e32 v[6:7], s[28:29], v[20:21]
	v_ashrrev_i32_e32 v13, 31, v12
	v_add_nc_u32_e32 v31, 0x800, v8
	v_add_nc_u32_e32 v8, 16, v2
	v_cmp_gt_i32_e64 s1, s20, v12
	v_lshl_add_u32 v33, v10, 6, 0x800
	v_lshlrev_b64_e32 v[12:13], 3, v[12:13]
	v_lshlrev_b32_e32 v10, 3, v30
	v_cmp_gt_i32_e32 vcc_lo, s20, v14
	v_cmp_le_i32_e64 s2, v2, v14
	v_lshlrev_b32_e32 v32, 3, v9
	v_cmp_le_i32_e64 s3, v8, v14
	v_ashrrev_i32_e32 v9, 31, v8
	s_cmp_gt_i32 s21, 0
	v_lshl_or_b32 v1, v30, 8, v3
	s_cselect_b32 s33, -1, 0
	s_and_b32 s28, vcc_lo, s2
	s_and_b32 s29, vcc_lo, s3
	v_cmp_gt_i32_e32 vcc_lo, s20, v20
	v_cmp_le_i32_e64 s2, v2, v20
	v_cmp_le_i32_e64 s3, v8, v20
	v_lshl_add_u64 v[12:13], v[18:19], 3, v[12:13]
	v_ashrrev_i32_e32 v3, 31, v2
	s_lshl_b64 s[4:5], s[4:5], 3
	v_lshl_add_u64 v[10:11], v[16:17], 3, v[10:11]
	s_and_b32 s20, vcc_lo, s2
	v_add_nc_u64_e32 v[12:13], s[14:15], v[12:13]
	s_and_b32 s30, vcc_lo, s3
	s_and_b32 s14, s31, s33
	v_add_nc_u64_e32 v[10:11], s[10:11], v[10:11]
	s_lshl_b64 s[2:3], s[12:13], 3
	s_lshl_b64 s[10:11], s[26:27], 6
	s_branch .LBB62_6
.LBB62_5:                               ;   in Loop: Header=BB62_6 Depth=1
	s_wait_xcnt 0x0
	s_or_b32 exec_lo, exec_lo, s12
	s_add_co_i32 s22, s22, 0x10000
	s_delay_alu instid0(SALU_CYCLE_1)
	s_cmp_lt_u32 s22, s19
	s_cbranch_scc0 .LBB62_33
.LBB62_6:                               ; =>This Loop Header: Depth=1
                                        ;     Child Loop BB62_9 Depth 2
	v_mov_b64_e32 v[20:21], 0
	v_mov_b64_e32 v[18:19], 0
	;; [unrolled: 1-line block ×4, first 2 shown]
	s_and_not1_b32 vcc_lo, exec_lo, s14
	s_cbranch_vccnz .LBB62_13
; %bb.7:                                ;   in Loop: Header=BB62_6 Depth=1
	v_mad_nc_u64_u32 v[22:23], s2, s22, v[10:11]
	v_mad_nc_u64_u32 v[24:25], s4, s22, v[12:13]
	v_mov_b64_e32 v[14:15], 0
	v_mov_b64_e32 v[16:17], 0
	;; [unrolled: 1-line block ×4, first 2 shown]
	s_mov_b32 s12, 0
	v_mad_u32 v23, s3, s22, v23
	v_mad_u32 v25, s5, s22, v25
	s_branch .LBB62_9
.LBB62_8:                               ;   in Loop: Header=BB62_9 Depth=2
	s_wait_xcnt 0x0
	s_or_b32 exec_lo, exec_lo, s13
	s_wait_loadcnt 0x0
	ds_store_b64 v31, v[28:29]
	s_wait_dscnt 0x0
	s_barrier_signal -1
	s_barrier_wait -1
	ds_load_b128 v[26:29], v33
	ds_load_2addr_b64 v[34:37], v32 offset1:16
	ds_load_b128 v[38:41], v33 offset:1024
	ds_load_b128 v[42:45], v33 offset:16
	;; [unrolled: 1-line block ×3, first 2 shown]
	v_add_nc_u64_e32 v[22:23], 64, v[22:23]
	v_add_nc_u64_e32 v[24:25], s[10:11], v[24:25]
	s_add_co_i32 s12, s12, 8
	s_delay_alu instid0(SALU_CYCLE_1)
	s_cmp_lt_i32 s12, s21
	s_wait_dscnt 0x3
	v_fmac_f64_e32 v[20:21], v[34:35], v[26:27]
	v_fmac_f64_e32 v[18:19], v[36:37], v[26:27]
	s_wait_dscnt 0x2
	v_fmac_f64_e32 v[16:17], v[34:35], v[38:39]
	v_fmac_f64_e32 v[14:15], v[36:37], v[38:39]
	ds_load_2addr_b64 v[34:37], v32 offset0:32 offset1:48
	s_wait_dscnt 0x0
	v_fmac_f64_e32 v[20:21], v[34:35], v[28:29]
	v_fmac_f64_e32 v[18:19], v[36:37], v[28:29]
	v_fmac_f64_e32 v[16:17], v[34:35], v[40:41]
	v_fmac_f64_e32 v[14:15], v[36:37], v[40:41]
	ds_load_2addr_b64 v[26:29], v32 offset0:64 offset1:80
	s_wait_dscnt 0x0
	v_fmac_f64_e32 v[20:21], v[26:27], v[42:43]
	v_fmac_f64_e32 v[18:19], v[28:29], v[42:43]
	;; [unrolled: 6-line block ×3, first 2 shown]
	v_fmac_f64_e32 v[16:17], v[26:27], v[48:49]
	v_fmac_f64_e32 v[14:15], v[28:29], v[48:49]
	ds_load_b128 v[26:29], v33 offset:32
	ds_load_2addr_b64 v[34:37], v32 offset0:128 offset1:144
	ds_load_b128 v[38:41], v33 offset:1056
	ds_load_b128 v[42:45], v33 offset:48
	;; [unrolled: 1-line block ×3, first 2 shown]
	s_wait_dscnt 0x3
	v_fmac_f64_e32 v[20:21], v[34:35], v[26:27]
	v_fmac_f64_e32 v[18:19], v[36:37], v[26:27]
	s_wait_dscnt 0x2
	v_fmac_f64_e32 v[16:17], v[34:35], v[38:39]
	v_fmac_f64_e32 v[14:15], v[36:37], v[38:39]
	ds_load_2addr_b64 v[34:37], v32 offset0:160 offset1:176
	s_wait_dscnt 0x0
	v_fmac_f64_e32 v[20:21], v[34:35], v[28:29]
	v_fmac_f64_e32 v[18:19], v[36:37], v[28:29]
	;; [unrolled: 1-line block ×4, first 2 shown]
	ds_load_2addr_b64 v[26:29], v32 offset0:192 offset1:208
	s_wait_dscnt 0x0
	v_fmac_f64_e32 v[20:21], v[26:27], v[42:43]
	v_fmac_f64_e32 v[18:19], v[28:29], v[42:43]
	v_fmac_f64_e32 v[16:17], v[26:27], v[46:47]
	v_fmac_f64_e32 v[14:15], v[28:29], v[46:47]
	ds_load_2addr_b64 v[26:29], v32 offset0:224 offset1:240
	s_wait_dscnt 0x0
	s_barrier_signal -1
	s_barrier_wait -1
	v_fmac_f64_e32 v[20:21], v[26:27], v[44:45]
	v_fmac_f64_e32 v[18:19], v[28:29], v[44:45]
	;; [unrolled: 1-line block ×4, first 2 shown]
	s_cbranch_scc0 .LBB62_13
.LBB62_9:                               ;   Parent Loop BB62_6 Depth=1
                                        ; =>  This Inner Loop Header: Depth=2
	v_add_nc_u32_e32 v26, s12, v30
	s_delay_alu instid0(VALU_DEP_1) | instskip(SKIP_2) | instid1(SALU_CYCLE_1)
	v_cmp_gt_i32_e32 vcc_lo, s21, v26
	v_mov_b64_e32 v[26:27], 0
	s_and_b32 s15, s0, vcc_lo
	s_and_saveexec_b32 s13, s15
	s_cbranch_execz .LBB62_11
; %bb.10:                               ;   in Loop: Header=BB62_9 Depth=2
	global_load_b64 v[26:27], v[22:23], off
.LBB62_11:                              ;   in Loop: Header=BB62_9 Depth=2
	s_wait_xcnt 0x0
	s_or_b32 exec_lo, exec_lo, s13
	v_add_nc_u32_e32 v28, s12, v0
	s_wait_loadcnt 0x0
	ds_store_b64 v1, v[26:27]
	v_cmp_gt_i32_e32 vcc_lo, s21, v28
	v_mov_b64_e32 v[28:29], 0
	s_and_b32 s15, vcc_lo, s1
	s_delay_alu instid0(SALU_CYCLE_1)
	s_and_saveexec_b32 s13, s15
	s_cbranch_execz .LBB62_8
; %bb.12:                               ;   in Loop: Header=BB62_9 Depth=2
	global_load_b64 v[28:29], v[24:25], off
	s_branch .LBB62_8
.LBB62_13:                              ;   in Loop: Header=BB62_6 Depth=1
	s_mul_u64 s[12:13], s[24:25], s[22:23]
	s_delay_alu instid0(SALU_CYCLE_1) | instskip(NEXT) | instid1(SALU_CYCLE_1)
	s_lshl_b64 s[12:13], s[12:13], 3
	s_add_nc_u64 s[12:13], s[16:17], s[12:13]
	s_delay_alu instid0(SALU_CYCLE_1)
	v_lshl_add_u64 v[22:23], v[4:5], 3, s[12:13]
	s_and_saveexec_b32 s15, s28
	s_cbranch_execz .LBB62_17
; %bb.14:                               ;   in Loop: Header=BB62_6 Depth=1
	v_mul_f64_e32 v[20:21], s[8:9], v[20:21]
	s_delay_alu instid0(VALU_DEP_2)
	v_lshl_add_u64 v[24:25], v[2:3], 3, v[22:23]
	s_and_b32 vcc_lo, exec_lo, s18
	s_cbranch_vccz .LBB62_28
; %bb.15:                               ;   in Loop: Header=BB62_6 Depth=1
	global_load_b64 v[26:27], v[24:25], off
	s_wait_loadcnt 0x0
	v_fma_f64 v[26:27], s[6:7], v[26:27], v[20:21]
	global_store_b64 v[24:25], v[26:27], off
	s_cbranch_execnz .LBB62_17
.LBB62_16:                              ;   in Loop: Header=BB62_6 Depth=1
	global_store_b64 v[24:25], v[20:21], off
.LBB62_17:                              ;   in Loop: Header=BB62_6 Depth=1
	s_wait_xcnt 0x0
	s_or_b32 exec_lo, exec_lo, s15
	s_and_saveexec_b32 s15, s29
	s_cbranch_execz .LBB62_21
; %bb.18:                               ;   in Loop: Header=BB62_6 Depth=1
	s_delay_alu instid0(VALU_DEP_4)
	v_mul_f64_e32 v[18:19], s[8:9], v[18:19]
	v_lshl_add_u64 v[20:21], v[8:9], 3, v[22:23]
	s_and_not1_b32 vcc_lo, exec_lo, s18
	s_cbranch_vccnz .LBB62_29
; %bb.19:                               ;   in Loop: Header=BB62_6 Depth=1
	global_load_b64 v[22:23], v[20:21], off
	s_wait_loadcnt 0x0
	v_fma_f64 v[22:23], s[6:7], v[22:23], v[18:19]
	global_store_b64 v[20:21], v[22:23], off
	s_cbranch_execnz .LBB62_21
.LBB62_20:                              ;   in Loop: Header=BB62_6 Depth=1
	global_store_b64 v[20:21], v[18:19], off
.LBB62_21:                              ;   in Loop: Header=BB62_6 Depth=1
	s_wait_xcnt 0x0
	s_or_b32 exec_lo, exec_lo, s15
	v_lshl_add_u64 v[18:19], v[6:7], 3, s[12:13]
	s_and_saveexec_b32 s12, s20
	s_cbranch_execz .LBB62_25
; %bb.22:                               ;   in Loop: Header=BB62_6 Depth=1
	s_delay_alu instid0(VALU_DEP_4) | instskip(NEXT) | instid1(VALU_DEP_2)
	v_mul_f64_e32 v[16:17], s[8:9], v[16:17]
	v_lshl_add_u64 v[20:21], v[2:3], 3, v[18:19]
	s_and_not1_b32 vcc_lo, exec_lo, s18
	s_cbranch_vccnz .LBB62_30
; %bb.23:                               ;   in Loop: Header=BB62_6 Depth=1
	global_load_b64 v[22:23], v[20:21], off
	s_wait_loadcnt 0x0
	v_fma_f64 v[22:23], s[6:7], v[22:23], v[16:17]
	global_store_b64 v[20:21], v[22:23], off
	s_cbranch_execnz .LBB62_25
.LBB62_24:                              ;   in Loop: Header=BB62_6 Depth=1
	global_store_b64 v[20:21], v[16:17], off
.LBB62_25:                              ;   in Loop: Header=BB62_6 Depth=1
	s_wait_xcnt 0x0
	s_or_b32 exec_lo, exec_lo, s12
	s_and_saveexec_b32 s12, s30
	s_cbranch_execz .LBB62_5
; %bb.26:                               ;   in Loop: Header=BB62_6 Depth=1
	s_delay_alu instid0(VALU_DEP_3)
	v_mul_f64_e32 v[14:15], s[8:9], v[14:15]
	v_lshl_add_u64 v[16:17], v[8:9], 3, v[18:19]
	s_and_not1_b32 vcc_lo, exec_lo, s18
	s_cbranch_vccnz .LBB62_31
; %bb.27:                               ;   in Loop: Header=BB62_6 Depth=1
	global_load_b64 v[18:19], v[16:17], off
	s_wait_loadcnt 0x0
	v_fma_f64 v[18:19], s[6:7], v[18:19], v[14:15]
	global_store_b64 v[16:17], v[18:19], off
	s_cbranch_execnz .LBB62_5
	s_branch .LBB62_32
.LBB62_28:                              ;   in Loop: Header=BB62_6 Depth=1
	s_branch .LBB62_16
.LBB62_29:                              ;   in Loop: Header=BB62_6 Depth=1
	s_branch .LBB62_20
.LBB62_30:                              ;   in Loop: Header=BB62_6 Depth=1
	s_branch .LBB62_24
.LBB62_31:                              ;   in Loop: Header=BB62_6 Depth=1
.LBB62_32:                              ;   in Loop: Header=BB62_6 Depth=1
	global_store_b64 v[16:17], v[14:15], off
	s_branch .LBB62_5
.LBB62_33:
	s_endpgm
	.section	.rodata,"a",@progbits
	.p2align	6, 0x0
	.amdhsa_kernel _ZL29rocblas_internal_gemmt_kernelIiLi16ELi32ELi8ELc67ELc67ELc85ELb0ELb0EddPKdPdEviT_T9_T10_S3_lS5_S3_lS4_T11_S3_li
		.amdhsa_group_segment_fixed_size 4096
		.amdhsa_private_segment_fixed_size 0
		.amdhsa_kernarg_size 100
		.amdhsa_user_sgpr_count 2
		.amdhsa_user_sgpr_dispatch_ptr 0
		.amdhsa_user_sgpr_queue_ptr 0
		.amdhsa_user_sgpr_kernarg_segment_ptr 1
		.amdhsa_user_sgpr_dispatch_id 0
		.amdhsa_user_sgpr_kernarg_preload_length 0
		.amdhsa_user_sgpr_kernarg_preload_offset 0
		.amdhsa_user_sgpr_private_segment_size 0
		.amdhsa_wavefront_size32 1
		.amdhsa_uses_dynamic_stack 0
		.amdhsa_enable_private_segment 0
		.amdhsa_system_sgpr_workgroup_id_x 1
		.amdhsa_system_sgpr_workgroup_id_y 1
		.amdhsa_system_sgpr_workgroup_id_z 1
		.amdhsa_system_sgpr_workgroup_info 0
		.amdhsa_system_vgpr_workitem_id 1
		.amdhsa_next_free_vgpr 50
		.amdhsa_next_free_sgpr 34
		.amdhsa_named_barrier_count 0
		.amdhsa_reserve_vcc 1
		.amdhsa_float_round_mode_32 0
		.amdhsa_float_round_mode_16_64 0
		.amdhsa_float_denorm_mode_32 3
		.amdhsa_float_denorm_mode_16_64 3
		.amdhsa_fp16_overflow 0
		.amdhsa_memory_ordered 1
		.amdhsa_forward_progress 1
		.amdhsa_inst_pref_size 13
		.amdhsa_round_robin_scheduling 0
		.amdhsa_exception_fp_ieee_invalid_op 0
		.amdhsa_exception_fp_denorm_src 0
		.amdhsa_exception_fp_ieee_div_zero 0
		.amdhsa_exception_fp_ieee_overflow 0
		.amdhsa_exception_fp_ieee_underflow 0
		.amdhsa_exception_fp_ieee_inexact 0
		.amdhsa_exception_int_div_zero 0
	.end_amdhsa_kernel
	.section	.text._ZL29rocblas_internal_gemmt_kernelIiLi16ELi32ELi8ELc67ELc67ELc85ELb0ELb0EddPKdPdEviT_T9_T10_S3_lS5_S3_lS4_T11_S3_li,"axG",@progbits,_ZL29rocblas_internal_gemmt_kernelIiLi16ELi32ELi8ELc67ELc67ELc85ELb0ELb0EddPKdPdEviT_T9_T10_S3_lS5_S3_lS4_T11_S3_li,comdat
.Lfunc_end62:
	.size	_ZL29rocblas_internal_gemmt_kernelIiLi16ELi32ELi8ELc67ELc67ELc85ELb0ELb0EddPKdPdEviT_T9_T10_S3_lS5_S3_lS4_T11_S3_li, .Lfunc_end62-_ZL29rocblas_internal_gemmt_kernelIiLi16ELi32ELi8ELc67ELc67ELc85ELb0ELb0EddPKdPdEviT_T9_T10_S3_lS5_S3_lS4_T11_S3_li
                                        ; -- End function
	.set _ZL29rocblas_internal_gemmt_kernelIiLi16ELi32ELi8ELc67ELc67ELc85ELb0ELb0EddPKdPdEviT_T9_T10_S3_lS5_S3_lS4_T11_S3_li.num_vgpr, 50
	.set _ZL29rocblas_internal_gemmt_kernelIiLi16ELi32ELi8ELc67ELc67ELc85ELb0ELb0EddPKdPdEviT_T9_T10_S3_lS5_S3_lS4_T11_S3_li.num_agpr, 0
	.set _ZL29rocblas_internal_gemmt_kernelIiLi16ELi32ELi8ELc67ELc67ELc85ELb0ELb0EddPKdPdEviT_T9_T10_S3_lS5_S3_lS4_T11_S3_li.numbered_sgpr, 34
	.set _ZL29rocblas_internal_gemmt_kernelIiLi16ELi32ELi8ELc67ELc67ELc85ELb0ELb0EddPKdPdEviT_T9_T10_S3_lS5_S3_lS4_T11_S3_li.num_named_barrier, 0
	.set _ZL29rocblas_internal_gemmt_kernelIiLi16ELi32ELi8ELc67ELc67ELc85ELb0ELb0EddPKdPdEviT_T9_T10_S3_lS5_S3_lS4_T11_S3_li.private_seg_size, 0
	.set _ZL29rocblas_internal_gemmt_kernelIiLi16ELi32ELi8ELc67ELc67ELc85ELb0ELb0EddPKdPdEviT_T9_T10_S3_lS5_S3_lS4_T11_S3_li.uses_vcc, 1
	.set _ZL29rocblas_internal_gemmt_kernelIiLi16ELi32ELi8ELc67ELc67ELc85ELb0ELb0EddPKdPdEviT_T9_T10_S3_lS5_S3_lS4_T11_S3_li.uses_flat_scratch, 0
	.set _ZL29rocblas_internal_gemmt_kernelIiLi16ELi32ELi8ELc67ELc67ELc85ELb0ELb0EddPKdPdEviT_T9_T10_S3_lS5_S3_lS4_T11_S3_li.has_dyn_sized_stack, 0
	.set _ZL29rocblas_internal_gemmt_kernelIiLi16ELi32ELi8ELc67ELc67ELc85ELb0ELb0EddPKdPdEviT_T9_T10_S3_lS5_S3_lS4_T11_S3_li.has_recursion, 0
	.set _ZL29rocblas_internal_gemmt_kernelIiLi16ELi32ELi8ELc67ELc67ELc85ELb0ELb0EddPKdPdEviT_T9_T10_S3_lS5_S3_lS4_T11_S3_li.has_indirect_call, 0
	.section	.AMDGPU.csdata,"",@progbits
; Kernel info:
; codeLenInByte = 1636
; TotalNumSgprs: 36
; NumVgprs: 50
; ScratchSize: 0
; MemoryBound: 0
; FloatMode: 240
; IeeeMode: 1
; LDSByteSize: 4096 bytes/workgroup (compile time only)
; SGPRBlocks: 0
; VGPRBlocks: 3
; NumSGPRsForWavesPerEU: 36
; NumVGPRsForWavesPerEU: 50
; NamedBarCnt: 0
; Occupancy: 16
; WaveLimiterHint : 0
; COMPUTE_PGM_RSRC2:SCRATCH_EN: 0
; COMPUTE_PGM_RSRC2:USER_SGPR: 2
; COMPUTE_PGM_RSRC2:TRAP_HANDLER: 0
; COMPUTE_PGM_RSRC2:TGID_X_EN: 1
; COMPUTE_PGM_RSRC2:TGID_Y_EN: 1
; COMPUTE_PGM_RSRC2:TGID_Z_EN: 1
; COMPUTE_PGM_RSRC2:TIDIG_COMP_CNT: 1
	.section	.text._ZL29rocblas_internal_gemmt_kernelIiLi16ELi32ELi8ELc78ELc78ELc76ELb0ELb0EddPKdPdEviT_T9_T10_S3_lS5_S3_lS4_T11_S3_li,"axG",@progbits,_ZL29rocblas_internal_gemmt_kernelIiLi16ELi32ELi8ELc78ELc78ELc76ELb0ELb0EddPKdPdEviT_T9_T10_S3_lS5_S3_lS4_T11_S3_li,comdat
	.globl	_ZL29rocblas_internal_gemmt_kernelIiLi16ELi32ELi8ELc78ELc78ELc76ELb0ELb0EddPKdPdEviT_T9_T10_S3_lS5_S3_lS4_T11_S3_li ; -- Begin function _ZL29rocblas_internal_gemmt_kernelIiLi16ELi32ELi8ELc78ELc78ELc76ELb0ELb0EddPKdPdEviT_T9_T10_S3_lS5_S3_lS4_T11_S3_li
	.p2align	8
	.type	_ZL29rocblas_internal_gemmt_kernelIiLi16ELi32ELi8ELc78ELc78ELc76ELb0ELb0EddPKdPdEviT_T9_T10_S3_lS5_S3_lS4_T11_S3_li,@function
_ZL29rocblas_internal_gemmt_kernelIiLi16ELi32ELi8ELc78ELc78ELc76ELb0ELb0EddPKdPdEviT_T9_T10_S3_lS5_S3_lS4_T11_S3_li: ; @_ZL29rocblas_internal_gemmt_kernelIiLi16ELi32ELi8ELc78ELc78ELc76ELb0ELb0EddPKdPdEviT_T9_T10_S3_lS5_S3_lS4_T11_S3_li
; %bb.0:
	s_clause 0x2
	s_load_b128 s[8:11], s[0:1], 0x38
	s_load_b64 s[4:5], s[0:1], 0x0
	s_load_b128 s[12:15], s[0:1], 0x8
	s_wait_kmcnt 0x0
	v_cmp_neq_f64_e64 s2, s[10:11], 1.0
	s_and_b32 vcc_lo, exec_lo, s2
	s_cbranch_vccnz .LBB63_2
; %bb.1:
	v_cmp_neq_f64_e64 s2, s[12:13], 0
	s_cmp_lg_u32 s5, 0
	s_cselect_b32 s3, -1, 0
	s_delay_alu instid0(SALU_CYCLE_1)
	s_and_b32 s2, s3, s2
.LBB63_2:
	s_delay_alu instid0(SALU_CYCLE_1)
	s_and_not1_b32 vcc_lo, exec_lo, s2
	s_cbranch_vccnz .LBB63_33
; %bb.3:
	s_load_b32 s23, s[0:1], 0x60
	s_bfe_u32 s2, ttmp6, 0x40014
	s_lshr_b32 s3, ttmp7, 16
	s_add_co_i32 s2, s2, 1
	s_bfe_u32 s6, ttmp6, 0x40008
	s_mul_i32 s2, s3, s2
	s_getreg_b32 s28, hwreg(HW_REG_IB_STS2, 6, 4)
	s_add_co_i32 s6, s6, s2
	s_cmp_eq_u32 s28, 0
	s_mov_b32 s7, 0
	s_cselect_b32 s6, s3, s6
	s_wait_kmcnt 0x0
	s_cmp_ge_u32 s6, s23
	s_cbranch_scc1 .LBB63_33
; %bb.4:
	s_clause 0x3
	s_load_b32 s26, s[0:1], 0x18
	s_load_b32 s2, s[0:1], 0x30
	s_load_b96 s[20:22], s[0:1], 0x48
	s_load_b128 s[16:19], s[0:1], 0x20
	v_and_b32_e32 v1, 0x3ff, v0
	v_bfe_u32 v21, v0, 10, 10
	s_load_b64 s[24:25], s[0:1], 0x58
	s_wait_xcnt 0x0
	s_bfe_u32 s1, ttmp6, 0x4000c
	s_bfe_u32 s3, ttmp6, 0x40010
	s_and_b32 s30, ttmp7, 0xffff
	s_add_co_i32 s1, s1, 1
	s_add_co_i32 s3, s3, 1
	v_lshl_add_u32 v3, v21, 4, v1
	s_and_b32 s0, ttmp6, 15
	s_mul_i32 s1, ttmp9, s1
	s_mul_i32 s31, s30, s3
	s_bfe_u32 s33, ttmp6, 0x40004
	s_add_co_i32 s0, s0, s1
	s_add_co_i32 s33, s33, s31
	v_dual_lshrrev_b32 v2, 5, v3 :: v_dual_lshrrev_b32 v4, 3, v3
	s_wait_kmcnt 0x0
	s_ashr_i32 s27, s26, 31
	s_ashr_i32 s3, s2, 31
	;; [unrolled: 1-line block ×3, first 2 shown]
	s_cmp_eq_u32 s28, 0
	v_and_b32_e32 v30, 7, v0
	s_cselect_b32 s1, s30, s33
	s_cselect_b32 s0, ttmp9, s0
	s_lshl_b32 s1, s1, 5
	s_delay_alu instid0(SALU_CYCLE_1) | instskip(SKIP_2) | instid1(VALU_DEP_2)
	v_dual_add_nc_u32 v8, s1, v4 :: v_dual_bitop2_b32 v5, 31, v3 bitop3:0x40
	s_lshl_b32 s30, s0, 5
	v_dual_mov_b32 v3, 0 :: v_dual_add_nc_u32 v12, s1, v21
	v_dual_lshlrev_b32 v20, 3, v30 :: v_dual_bitop2_b32 v10, s30, v5 bitop3:0x54
	s_delay_alu instid0(VALU_DEP_3) | instskip(NEXT) | instid1(VALU_DEP_3)
	v_ashrrev_i32_e32 v9, 31, v8
	v_mul_u64_e32 v[14:15], s[26:27], v[2:3]
	s_delay_alu instid0(VALU_DEP_4)
	v_add_nc_u32_e32 v18, 16, v12
	s_mov_b32 s28, s22
	v_cmp_neq_f64_e64 s31, s[12:13], 0
	v_mul_u64_e32 v[16:17], s[2:3], v[8:9]
	v_dual_lshlrev_b32 v9, 3, v5 :: v_dual_ashrrev_i32 v13, 31, v12
	v_ashrrev_i32_e32 v19, 31, v18
	v_lshl_or_b32 v11, v4, 6, v20
	v_cmp_neq_f64_e64 s22, s[10:11], 0
	v_dual_add_nc_u32 v0, s30, v1 :: v_dual_lshlrev_b32 v33, 3, v1
	v_mul_u64_e32 v[4:5], s[28:29], v[12:13]
	v_mul_u64_e32 v[6:7], s[28:29], v[18:19]
	v_cmp_gt_i32_e64 s1, s4, v8
	v_add_nc_u32_e32 v32, 0x800, v11
	v_dual_add_nc_u32 v8, 16, v0 :: v_dual_ashrrev_i32 v11, 31, v10
	v_cmp_gt_i32_e64 s0, s4, v10
	v_lshl_add_u32 v34, v21, 6, 0x800
	v_mov_b32_e32 v21, v3
	v_cmp_le_i32_e32 vcc_lo, v12, v0
	v_lshlrev_b64_e32 v[10:11], 3, v[10:11]
	v_cmp_gt_i32_e64 s2, s4, v0
	v_cmp_le_i32_e64 s3, v12, v8
	v_cmp_gt_i32_e64 s4, s4, v8
	s_cmp_gt_i32 s5, 0
	v_lshl_or_b32 v31, v2, 8, v9
	s_cselect_b32 s33, -1, 0
	s_and_b32 s28, vcc_lo, s2
	s_and_b32 s29, s3, s4
	v_cmp_le_i32_e32 vcc_lo, v18, v0
	v_lshl_add_u64 v[10:11], v[14:15], 3, v[10:11]
	v_cmp_le_i32_e64 s3, v18, v8
	v_ashrrev_i32_e32 v1, 31, v0
	v_ashrrev_i32_e32 v9, 31, v8
	v_lshl_add_u64 v[12:13], v[16:17], 3, v[20:21]
	v_add_nc_u64_e32 v[10:11], s[14:15], v[10:11]
	s_and_b32 s30, vcc_lo, s2
	s_and_b32 s4, s3, s4
	s_lshl_b64 s[2:3], s[16:17], 3
	v_add_nc_u64_e32 v[12:13], s[18:19], v[12:13]
	s_and_b32 s18, s31, s33
	s_lshl_b64 s[14:15], s[26:27], 6
	s_lshl_b64 s[8:9], s[8:9], 3
	s_branch .LBB63_6
.LBB63_5:                               ;   in Loop: Header=BB63_6 Depth=1
	s_wait_xcnt 0x0
	s_or_b32 exec_lo, exec_lo, s16
	s_add_co_i32 s6, s6, 0x10000
	s_delay_alu instid0(SALU_CYCLE_1)
	s_cmp_lt_u32 s6, s23
	s_cbranch_scc0 .LBB63_33
.LBB63_6:                               ; =>This Loop Header: Depth=1
                                        ;     Child Loop BB63_9 Depth 2
	v_mov_b64_e32 v[20:21], 0
	v_mov_b64_e32 v[18:19], 0
	;; [unrolled: 1-line block ×4, first 2 shown]
	s_and_not1_b32 vcc_lo, exec_lo, s18
	s_cbranch_vccnz .LBB63_13
; %bb.7:                                ;   in Loop: Header=BB63_6 Depth=1
	v_mad_nc_u64_u32 v[22:23], s2, s6, v[10:11]
	v_mad_nc_u64_u32 v[24:25], s8, s6, v[12:13]
	v_mov_b64_e32 v[14:15], 0
	v_mov_b64_e32 v[16:17], 0
	;; [unrolled: 1-line block ×4, first 2 shown]
	s_mov_b32 s16, 0
	v_mad_u32 v23, s3, s6, v23
	v_mad_u32 v25, s9, s6, v25
	s_branch .LBB63_9
.LBB63_8:                               ;   in Loop: Header=BB63_9 Depth=2
	s_wait_xcnt 0x0
	s_or_b32 exec_lo, exec_lo, s17
	s_wait_loadcnt 0x0
	ds_store_b64 v32, v[28:29]
	s_wait_dscnt 0x0
	s_barrier_signal -1
	s_barrier_wait -1
	ds_load_b128 v[26:29], v34
	ds_load_2addr_b64 v[36:39], v33 offset1:16
	ds_load_b128 v[40:43], v34 offset:1024
	ds_load_b128 v[44:47], v34 offset:16
	;; [unrolled: 1-line block ×3, first 2 shown]
	v_add_nc_u64_e32 v[22:23], s[14:15], v[22:23]
	v_add_nc_u64_e32 v[24:25], 64, v[24:25]
	s_add_co_i32 s16, s16, 8
	s_delay_alu instid0(SALU_CYCLE_1)
	s_cmp_lt_i32 s16, s5
	s_wait_dscnt 0x3
	v_fmac_f64_e32 v[20:21], v[36:37], v[26:27]
	v_fmac_f64_e32 v[18:19], v[38:39], v[26:27]
	s_wait_dscnt 0x2
	v_fmac_f64_e32 v[16:17], v[36:37], v[40:41]
	v_fmac_f64_e32 v[14:15], v[38:39], v[40:41]
	ds_load_2addr_b64 v[36:39], v33 offset0:32 offset1:48
	s_wait_dscnt 0x0
	v_fmac_f64_e32 v[20:21], v[36:37], v[28:29]
	v_fmac_f64_e32 v[18:19], v[38:39], v[28:29]
	v_fmac_f64_e32 v[16:17], v[36:37], v[42:43]
	v_fmac_f64_e32 v[14:15], v[38:39], v[42:43]
	ds_load_2addr_b64 v[26:29], v33 offset0:64 offset1:80
	s_wait_dscnt 0x0
	v_fmac_f64_e32 v[20:21], v[26:27], v[44:45]
	v_fmac_f64_e32 v[18:19], v[28:29], v[44:45]
	;; [unrolled: 6-line block ×3, first 2 shown]
	v_fmac_f64_e32 v[16:17], v[26:27], v[50:51]
	v_fmac_f64_e32 v[14:15], v[28:29], v[50:51]
	ds_load_b128 v[26:29], v34 offset:32
	ds_load_2addr_b64 v[36:39], v33 offset0:128 offset1:144
	ds_load_b128 v[40:43], v34 offset:1056
	ds_load_b128 v[44:47], v34 offset:48
	ds_load_b128 v[48:51], v34 offset:1072
	s_wait_dscnt 0x3
	v_fmac_f64_e32 v[20:21], v[36:37], v[26:27]
	v_fmac_f64_e32 v[18:19], v[38:39], v[26:27]
	s_wait_dscnt 0x2
	v_fmac_f64_e32 v[16:17], v[36:37], v[40:41]
	v_fmac_f64_e32 v[14:15], v[38:39], v[40:41]
	ds_load_2addr_b64 v[36:39], v33 offset0:160 offset1:176
	s_wait_dscnt 0x0
	v_fmac_f64_e32 v[20:21], v[36:37], v[28:29]
	v_fmac_f64_e32 v[18:19], v[38:39], v[28:29]
	;; [unrolled: 1-line block ×4, first 2 shown]
	ds_load_2addr_b64 v[26:29], v33 offset0:192 offset1:208
	s_wait_dscnt 0x0
	v_fmac_f64_e32 v[20:21], v[26:27], v[44:45]
	v_fmac_f64_e32 v[18:19], v[28:29], v[44:45]
	;; [unrolled: 1-line block ×4, first 2 shown]
	ds_load_2addr_b64 v[26:29], v33 offset0:224 offset1:240
	s_wait_dscnt 0x0
	s_barrier_signal -1
	s_barrier_wait -1
	v_fmac_f64_e32 v[20:21], v[26:27], v[46:47]
	v_fmac_f64_e32 v[18:19], v[28:29], v[46:47]
	;; [unrolled: 1-line block ×4, first 2 shown]
	s_cbranch_scc0 .LBB63_13
.LBB63_9:                               ;   Parent Loop BB63_6 Depth=1
                                        ; =>  This Inner Loop Header: Depth=2
	v_add_nc_u32_e32 v3, s16, v2
	v_mov_b64_e32 v[26:27], 0
	s_delay_alu instid0(VALU_DEP_2) | instskip(SKIP_1) | instid1(SALU_CYCLE_1)
	v_cmp_gt_i32_e32 vcc_lo, s5, v3
	s_and_b32 s19, s0, vcc_lo
	s_and_saveexec_b32 s17, s19
	s_cbranch_execz .LBB63_11
; %bb.10:                               ;   in Loop: Header=BB63_9 Depth=2
	global_load_b64 v[26:27], v[22:23], off
.LBB63_11:                              ;   in Loop: Header=BB63_9 Depth=2
	s_wait_xcnt 0x0
	s_or_b32 exec_lo, exec_lo, s17
	v_add_nc_u32_e32 v3, s16, v30
	v_mov_b64_e32 v[28:29], 0
	s_wait_loadcnt 0x0
	ds_store_b64 v31, v[26:27]
	v_cmp_gt_i32_e32 vcc_lo, s5, v3
	s_and_b32 s19, vcc_lo, s1
	s_delay_alu instid0(SALU_CYCLE_1)
	s_and_saveexec_b32 s17, s19
	s_cbranch_execz .LBB63_8
; %bb.12:                               ;   in Loop: Header=BB63_9 Depth=2
	global_load_b64 v[28:29], v[24:25], off
	s_branch .LBB63_8
.LBB63_13:                              ;   in Loop: Header=BB63_6 Depth=1
	s_mul_u64 s[16:17], s[24:25], s[6:7]
	s_delay_alu instid0(SALU_CYCLE_1) | instskip(NEXT) | instid1(SALU_CYCLE_1)
	s_lshl_b64 s[16:17], s[16:17], 3
	s_add_nc_u64 s[16:17], s[20:21], s[16:17]
	s_delay_alu instid0(SALU_CYCLE_1)
	v_lshl_add_u64 v[22:23], v[4:5], 3, s[16:17]
	s_and_saveexec_b32 s19, s28
	s_cbranch_execz .LBB63_17
; %bb.14:                               ;   in Loop: Header=BB63_6 Depth=1
	v_mul_f64_e32 v[20:21], s[12:13], v[20:21]
	s_delay_alu instid0(VALU_DEP_2)
	v_lshl_add_u64 v[24:25], v[0:1], 3, v[22:23]
	s_and_b32 vcc_lo, exec_lo, s22
	s_cbranch_vccz .LBB63_28
; %bb.15:                               ;   in Loop: Header=BB63_6 Depth=1
	global_load_b64 v[26:27], v[24:25], off
	s_wait_loadcnt 0x0
	v_fma_f64 v[26:27], s[10:11], v[26:27], v[20:21]
	global_store_b64 v[24:25], v[26:27], off
	s_cbranch_execnz .LBB63_17
.LBB63_16:                              ;   in Loop: Header=BB63_6 Depth=1
	global_store_b64 v[24:25], v[20:21], off
.LBB63_17:                              ;   in Loop: Header=BB63_6 Depth=1
	s_wait_xcnt 0x0
	s_or_b32 exec_lo, exec_lo, s19
	s_and_saveexec_b32 s19, s29
	s_cbranch_execz .LBB63_21
; %bb.18:                               ;   in Loop: Header=BB63_6 Depth=1
	s_delay_alu instid0(VALU_DEP_4)
	v_mul_f64_e32 v[18:19], s[12:13], v[18:19]
	v_lshl_add_u64 v[20:21], v[8:9], 3, v[22:23]
	s_and_not1_b32 vcc_lo, exec_lo, s22
	s_cbranch_vccnz .LBB63_29
; %bb.19:                               ;   in Loop: Header=BB63_6 Depth=1
	global_load_b64 v[22:23], v[20:21], off
	s_wait_loadcnt 0x0
	v_fma_f64 v[22:23], s[10:11], v[22:23], v[18:19]
	global_store_b64 v[20:21], v[22:23], off
	s_cbranch_execnz .LBB63_21
.LBB63_20:                              ;   in Loop: Header=BB63_6 Depth=1
	global_store_b64 v[20:21], v[18:19], off
.LBB63_21:                              ;   in Loop: Header=BB63_6 Depth=1
	s_wait_xcnt 0x0
	s_or_b32 exec_lo, exec_lo, s19
	v_lshl_add_u64 v[18:19], v[6:7], 3, s[16:17]
	s_and_saveexec_b32 s16, s30
	s_cbranch_execz .LBB63_25
; %bb.22:                               ;   in Loop: Header=BB63_6 Depth=1
	s_delay_alu instid0(VALU_DEP_4) | instskip(NEXT) | instid1(VALU_DEP_2)
	v_mul_f64_e32 v[16:17], s[12:13], v[16:17]
	v_lshl_add_u64 v[20:21], v[0:1], 3, v[18:19]
	s_and_not1_b32 vcc_lo, exec_lo, s22
	s_cbranch_vccnz .LBB63_30
; %bb.23:                               ;   in Loop: Header=BB63_6 Depth=1
	global_load_b64 v[22:23], v[20:21], off
	s_wait_loadcnt 0x0
	v_fma_f64 v[22:23], s[10:11], v[22:23], v[16:17]
	global_store_b64 v[20:21], v[22:23], off
	s_cbranch_execnz .LBB63_25
.LBB63_24:                              ;   in Loop: Header=BB63_6 Depth=1
	global_store_b64 v[20:21], v[16:17], off
.LBB63_25:                              ;   in Loop: Header=BB63_6 Depth=1
	s_wait_xcnt 0x0
	s_or_b32 exec_lo, exec_lo, s16
	s_and_saveexec_b32 s16, s4
	s_cbranch_execz .LBB63_5
; %bb.26:                               ;   in Loop: Header=BB63_6 Depth=1
	s_delay_alu instid0(VALU_DEP_3)
	v_mul_f64_e32 v[14:15], s[12:13], v[14:15]
	v_lshl_add_u64 v[16:17], v[8:9], 3, v[18:19]
	s_and_not1_b32 vcc_lo, exec_lo, s22
	s_cbranch_vccnz .LBB63_31
; %bb.27:                               ;   in Loop: Header=BB63_6 Depth=1
	global_load_b64 v[18:19], v[16:17], off
	s_wait_loadcnt 0x0
	v_fma_f64 v[18:19], s[10:11], v[18:19], v[14:15]
	global_store_b64 v[16:17], v[18:19], off
	s_cbranch_execnz .LBB63_5
	s_branch .LBB63_32
.LBB63_28:                              ;   in Loop: Header=BB63_6 Depth=1
	s_branch .LBB63_16
.LBB63_29:                              ;   in Loop: Header=BB63_6 Depth=1
	s_branch .LBB63_20
.LBB63_30:                              ;   in Loop: Header=BB63_6 Depth=1
	s_branch .LBB63_24
.LBB63_31:                              ;   in Loop: Header=BB63_6 Depth=1
.LBB63_32:                              ;   in Loop: Header=BB63_6 Depth=1
	global_store_b64 v[16:17], v[14:15], off
	s_branch .LBB63_5
.LBB63_33:
	s_endpgm
	.section	.rodata,"a",@progbits
	.p2align	6, 0x0
	.amdhsa_kernel _ZL29rocblas_internal_gemmt_kernelIiLi16ELi32ELi8ELc78ELc78ELc76ELb0ELb0EddPKdPdEviT_T9_T10_S3_lS5_S3_lS4_T11_S3_li
		.amdhsa_group_segment_fixed_size 4096
		.amdhsa_private_segment_fixed_size 0
		.amdhsa_kernarg_size 100
		.amdhsa_user_sgpr_count 2
		.amdhsa_user_sgpr_dispatch_ptr 0
		.amdhsa_user_sgpr_queue_ptr 0
		.amdhsa_user_sgpr_kernarg_segment_ptr 1
		.amdhsa_user_sgpr_dispatch_id 0
		.amdhsa_user_sgpr_kernarg_preload_length 0
		.amdhsa_user_sgpr_kernarg_preload_offset 0
		.amdhsa_user_sgpr_private_segment_size 0
		.amdhsa_wavefront_size32 1
		.amdhsa_uses_dynamic_stack 0
		.amdhsa_enable_private_segment 0
		.amdhsa_system_sgpr_workgroup_id_x 1
		.amdhsa_system_sgpr_workgroup_id_y 1
		.amdhsa_system_sgpr_workgroup_id_z 1
		.amdhsa_system_sgpr_workgroup_info 0
		.amdhsa_system_vgpr_workitem_id 1
		.amdhsa_next_free_vgpr 52
		.amdhsa_next_free_sgpr 34
		.amdhsa_named_barrier_count 0
		.amdhsa_reserve_vcc 1
		.amdhsa_float_round_mode_32 0
		.amdhsa_float_round_mode_16_64 0
		.amdhsa_float_denorm_mode_32 3
		.amdhsa_float_denorm_mode_16_64 3
		.amdhsa_fp16_overflow 0
		.amdhsa_memory_ordered 1
		.amdhsa_forward_progress 1
		.amdhsa_inst_pref_size 13
		.amdhsa_round_robin_scheduling 0
		.amdhsa_exception_fp_ieee_invalid_op 0
		.amdhsa_exception_fp_denorm_src 0
		.amdhsa_exception_fp_ieee_div_zero 0
		.amdhsa_exception_fp_ieee_overflow 0
		.amdhsa_exception_fp_ieee_underflow 0
		.amdhsa_exception_fp_ieee_inexact 0
		.amdhsa_exception_int_div_zero 0
	.end_amdhsa_kernel
	.section	.text._ZL29rocblas_internal_gemmt_kernelIiLi16ELi32ELi8ELc78ELc78ELc76ELb0ELb0EddPKdPdEviT_T9_T10_S3_lS5_S3_lS4_T11_S3_li,"axG",@progbits,_ZL29rocblas_internal_gemmt_kernelIiLi16ELi32ELi8ELc78ELc78ELc76ELb0ELb0EddPKdPdEviT_T9_T10_S3_lS5_S3_lS4_T11_S3_li,comdat
.Lfunc_end63:
	.size	_ZL29rocblas_internal_gemmt_kernelIiLi16ELi32ELi8ELc78ELc78ELc76ELb0ELb0EddPKdPdEviT_T9_T10_S3_lS5_S3_lS4_T11_S3_li, .Lfunc_end63-_ZL29rocblas_internal_gemmt_kernelIiLi16ELi32ELi8ELc78ELc78ELc76ELb0ELb0EddPKdPdEviT_T9_T10_S3_lS5_S3_lS4_T11_S3_li
                                        ; -- End function
	.set _ZL29rocblas_internal_gemmt_kernelIiLi16ELi32ELi8ELc78ELc78ELc76ELb0ELb0EddPKdPdEviT_T9_T10_S3_lS5_S3_lS4_T11_S3_li.num_vgpr, 52
	.set _ZL29rocblas_internal_gemmt_kernelIiLi16ELi32ELi8ELc78ELc78ELc76ELb0ELb0EddPKdPdEviT_T9_T10_S3_lS5_S3_lS4_T11_S3_li.num_agpr, 0
	.set _ZL29rocblas_internal_gemmt_kernelIiLi16ELi32ELi8ELc78ELc78ELc76ELb0ELb0EddPKdPdEviT_T9_T10_S3_lS5_S3_lS4_T11_S3_li.numbered_sgpr, 34
	.set _ZL29rocblas_internal_gemmt_kernelIiLi16ELi32ELi8ELc78ELc78ELc76ELb0ELb0EddPKdPdEviT_T9_T10_S3_lS5_S3_lS4_T11_S3_li.num_named_barrier, 0
	.set _ZL29rocblas_internal_gemmt_kernelIiLi16ELi32ELi8ELc78ELc78ELc76ELb0ELb0EddPKdPdEviT_T9_T10_S3_lS5_S3_lS4_T11_S3_li.private_seg_size, 0
	.set _ZL29rocblas_internal_gemmt_kernelIiLi16ELi32ELi8ELc78ELc78ELc76ELb0ELb0EddPKdPdEviT_T9_T10_S3_lS5_S3_lS4_T11_S3_li.uses_vcc, 1
	.set _ZL29rocblas_internal_gemmt_kernelIiLi16ELi32ELi8ELc78ELc78ELc76ELb0ELb0EddPKdPdEviT_T9_T10_S3_lS5_S3_lS4_T11_S3_li.uses_flat_scratch, 0
	.set _ZL29rocblas_internal_gemmt_kernelIiLi16ELi32ELi8ELc78ELc78ELc76ELb0ELb0EddPKdPdEviT_T9_T10_S3_lS5_S3_lS4_T11_S3_li.has_dyn_sized_stack, 0
	.set _ZL29rocblas_internal_gemmt_kernelIiLi16ELi32ELi8ELc78ELc78ELc76ELb0ELb0EddPKdPdEviT_T9_T10_S3_lS5_S3_lS4_T11_S3_li.has_recursion, 0
	.set _ZL29rocblas_internal_gemmt_kernelIiLi16ELi32ELi8ELc78ELc78ELc76ELb0ELb0EddPKdPdEviT_T9_T10_S3_lS5_S3_lS4_T11_S3_li.has_indirect_call, 0
	.section	.AMDGPU.csdata,"",@progbits
; Kernel info:
; codeLenInByte = 1632
; TotalNumSgprs: 36
; NumVgprs: 52
; ScratchSize: 0
; MemoryBound: 0
; FloatMode: 240
; IeeeMode: 1
; LDSByteSize: 4096 bytes/workgroup (compile time only)
; SGPRBlocks: 0
; VGPRBlocks: 3
; NumSGPRsForWavesPerEU: 36
; NumVGPRsForWavesPerEU: 52
; NamedBarCnt: 0
; Occupancy: 16
; WaveLimiterHint : 0
; COMPUTE_PGM_RSRC2:SCRATCH_EN: 0
; COMPUTE_PGM_RSRC2:USER_SGPR: 2
; COMPUTE_PGM_RSRC2:TRAP_HANDLER: 0
; COMPUTE_PGM_RSRC2:TGID_X_EN: 1
; COMPUTE_PGM_RSRC2:TGID_Y_EN: 1
; COMPUTE_PGM_RSRC2:TGID_Z_EN: 1
; COMPUTE_PGM_RSRC2:TIDIG_COMP_CNT: 1
	.section	.text._ZL29rocblas_internal_gemmt_kernelIiLi16ELi32ELi8ELc78ELc84ELc76ELb0ELb0EddPKdPdEviT_T9_T10_S3_lS5_S3_lS4_T11_S3_li,"axG",@progbits,_ZL29rocblas_internal_gemmt_kernelIiLi16ELi32ELi8ELc78ELc84ELc76ELb0ELb0EddPKdPdEviT_T9_T10_S3_lS5_S3_lS4_T11_S3_li,comdat
	.globl	_ZL29rocblas_internal_gemmt_kernelIiLi16ELi32ELi8ELc78ELc84ELc76ELb0ELb0EddPKdPdEviT_T9_T10_S3_lS5_S3_lS4_T11_S3_li ; -- Begin function _ZL29rocblas_internal_gemmt_kernelIiLi16ELi32ELi8ELc78ELc84ELc76ELb0ELb0EddPKdPdEviT_T9_T10_S3_lS5_S3_lS4_T11_S3_li
	.p2align	8
	.type	_ZL29rocblas_internal_gemmt_kernelIiLi16ELi32ELi8ELc78ELc84ELc76ELb0ELb0EddPKdPdEviT_T9_T10_S3_lS5_S3_lS4_T11_S3_li,@function
_ZL29rocblas_internal_gemmt_kernelIiLi16ELi32ELi8ELc78ELc84ELc76ELb0ELb0EddPKdPdEviT_T9_T10_S3_lS5_S3_lS4_T11_S3_li: ; @_ZL29rocblas_internal_gemmt_kernelIiLi16ELi32ELi8ELc78ELc84ELc76ELb0ELb0EddPKdPdEviT_T9_T10_S3_lS5_S3_lS4_T11_S3_li
; %bb.0:
	s_clause 0x2
	s_load_b128 s[8:11], s[0:1], 0x38
	s_load_b64 s[4:5], s[0:1], 0x0
	s_load_b128 s[12:15], s[0:1], 0x8
	s_wait_kmcnt 0x0
	v_cmp_neq_f64_e64 s2, s[10:11], 1.0
	s_and_b32 vcc_lo, exec_lo, s2
	s_cbranch_vccnz .LBB64_2
; %bb.1:
	v_cmp_neq_f64_e64 s2, s[12:13], 0
	s_cmp_lg_u32 s5, 0
	s_cselect_b32 s3, -1, 0
	s_delay_alu instid0(SALU_CYCLE_1)
	s_and_b32 s2, s3, s2
.LBB64_2:
	s_delay_alu instid0(SALU_CYCLE_1)
	s_and_not1_b32 vcc_lo, exec_lo, s2
	s_cbranch_vccnz .LBB64_33
; %bb.3:
	s_load_b32 s23, s[0:1], 0x60
	s_bfe_u32 s2, ttmp6, 0x40014
	s_lshr_b32 s3, ttmp7, 16
	s_add_co_i32 s2, s2, 1
	s_bfe_u32 s7, ttmp6, 0x40008
	s_mul_i32 s6, s3, s2
	s_getreg_b32 s2, hwreg(HW_REG_IB_STS2, 6, 4)
	s_add_co_i32 s7, s7, s6
	s_cmp_eq_u32 s2, 0
	s_cselect_b32 s6, s3, s7
	s_mov_b32 s7, 0
	s_wait_kmcnt 0x0
	s_cmp_ge_u32 s6, s23
	s_cbranch_scc1 .LBB64_33
; %bb.4:
	s_clause 0x4
	s_load_b32 s26, s[0:1], 0x18
	s_load_b32 s28, s[0:1], 0x30
	s_load_b96 s[20:22], s[0:1], 0x48
	s_load_b128 s[16:19], s[0:1], 0x20
	s_load_b64 s[24:25], s[0:1], 0x58
	s_wait_xcnt 0x0
	s_bfe_u32 s1, ttmp6, 0x4000c
	s_bfe_u32 s27, ttmp6, 0x40010
	v_and_b32_e32 v5, 0x3ff, v0
	v_bfe_u32 v11, v0, 10, 10
	s_and_b32 s3, ttmp7, 0xffff
	s_add_co_i32 s1, s1, 1
	s_add_co_i32 s33, s27, 1
	s_and_b32 s0, ttmp6, 15
	s_mul_i32 s1, ttmp9, s1
	v_lshl_add_u32 v1, v11, 4, v5
	s_add_co_i32 s0, s0, s1
	v_and_b32_e32 v0, 7, v0
	v_cmp_neq_f64_e64 s34, s[12:13], 0
	v_lshl_add_u32 v33, v11, 6, 0x800
	v_dual_lshrrev_b32 v4, 3, v1 :: v_dual_bitop2_b32 v6, 31, v1 bitop3:0x40
	s_wait_kmcnt 0x0
	s_ashr_i32 s27, s26, 31
	s_ashr_i32 s31, s22, 31
	s_mov_b32 s30, s22
	s_mul_i32 s22, s3, s33
	s_bfe_u32 s33, ttmp6, 0x40004
	s_ashr_i32 s29, s28, 31
	s_add_co_i32 s33, s33, s22
	s_cmp_eq_u32 s2, 0
	v_lshrrev_b32_e32 v2, 5, v1
	s_cselect_b32 s0, ttmp9, s0
	s_cselect_b32 s1, s3, s33
	s_lshl_b32 s2, s0, 5
	s_delay_alu instid0(SALU_CYCLE_1) | instskip(SKIP_2) | instid1(VALU_DEP_2)
	v_dual_mov_b32 v3, 0 :: v_dual_bitop2_b32 v12, s2, v6 bitop3:0x54
	s_lshl_b32 s0, s1, 5
	v_cmp_neq_f64_e64 s22, s[10:11], 0
	v_dual_mov_b32 v1, v3 :: v_dual_add_nc_u32 v14, s0, v4
	v_add_nc_u32_e32 v16, s0, v11
	v_mul_u64_e32 v[18:19], s[26:27], v[2:3]
	v_lshlrev_b32_e32 v3, 3, v6
	s_delay_alu instid0(VALU_DEP_4)
	v_ashrrev_i32_e32 v15, 31, v14
	v_mul_u64_e32 v[20:21], s[28:29], v[0:1]
	v_dual_add_nc_u32 v22, 16, v16 :: v_dual_ashrrev_i32 v17, 31, v16
	v_lshlrev_b32_e32 v6, 3, v0
	v_lshl_or_b32 v1, v2, 8, v3
	v_cmp_gt_i32_e64 s0, s4, v12
	s_delay_alu instid0(VALU_DEP_4)
	v_ashrrev_i32_e32 v23, 31, v22
	v_cmp_gt_i32_e64 s1, s4, v14
	v_lshl_or_b32 v3, v4, 6, v6
	v_mul_u64_e32 v[6:7], s[30:31], v[16:17]
	v_add_nc_u32_e32 v4, s2, v5
	v_mul_u64_e32 v[8:9], s[30:31], v[22:23]
	v_lshlrev_b32_e32 v32, 3, v5
	v_lshlrev_b64_e32 v[14:15], 3, v[14:15]
	s_cmp_gt_i32 s5, 0
	v_add_nc_u32_e32 v10, 16, v4
	v_ashrrev_i32_e32 v13, 31, v12
	v_cmp_le_i32_e32 vcc_lo, v16, v4
	v_cmp_gt_i32_e64 s2, s4, v4
	s_cselect_b32 s35, -1, 0
	v_ashrrev_i32_e32 v11, 31, v10
	v_lshlrev_b64_e32 v[12:13], 3, v[12:13]
	v_cmp_le_i32_e64 s3, v16, v10
	v_cmp_gt_i32_e64 s4, s4, v10
	s_and_b32 s30, vcc_lo, s2
	v_cmp_le_i32_e32 vcc_lo, v22, v4
	v_add_nc_u32_e32 v3, 0x800, v3
	v_ashrrev_i32_e32 v5, 31, v4
	s_and_b32 s31, s3, s4
	v_lshl_add_u64 v[12:13], v[18:19], 3, v[12:13]
	v_cmp_le_i32_e64 s3, v22, v10
	s_and_b32 s33, vcc_lo, s2
	v_lshl_add_u64 v[14:15], v[20:21], 3, v[14:15]
	s_and_b32 s34, s34, s35
	v_add_nc_u64_e32 v[12:13], s[14:15], v[12:13]
	s_and_b32 s4, s3, s4
	s_lshl_b64 s[2:3], s[16:17], 3
	v_add_nc_u64_e32 v[14:15], s[18:19], v[14:15]
	s_lshl_b64 s[14:15], s[26:27], 6
	s_lshl_b64 s[8:9], s[8:9], 3
	;; [unrolled: 1-line block ×3, first 2 shown]
	s_branch .LBB64_6
.LBB64_5:                               ;   in Loop: Header=BB64_6 Depth=1
	s_wait_xcnt 0x0
	s_or_b32 exec_lo, exec_lo, s18
	s_add_co_i32 s6, s6, 0x10000
	s_delay_alu instid0(SALU_CYCLE_1)
	s_cmp_lt_u32 s6, s23
	s_cbranch_scc0 .LBB64_33
.LBB64_6:                               ; =>This Loop Header: Depth=1
                                        ;     Child Loop BB64_9 Depth 2
	v_mov_b64_e32 v[22:23], 0
	v_mov_b64_e32 v[20:21], 0
	;; [unrolled: 1-line block ×4, first 2 shown]
	s_and_not1_b32 vcc_lo, exec_lo, s34
	s_cbranch_vccnz .LBB64_13
; %bb.7:                                ;   in Loop: Header=BB64_6 Depth=1
	v_mad_nc_u64_u32 v[24:25], s2, s6, v[12:13]
	v_mad_nc_u64_u32 v[26:27], s8, s6, v[14:15]
	v_mov_b64_e32 v[16:17], 0
	v_mov_b64_e32 v[18:19], 0
	;; [unrolled: 1-line block ×4, first 2 shown]
	s_mov_b32 s18, 0
	v_mad_u32 v25, s3, s6, v25
	v_mad_u32 v27, s9, s6, v27
	s_branch .LBB64_9
.LBB64_8:                               ;   in Loop: Header=BB64_9 Depth=2
	s_wait_xcnt 0x0
	s_or_b32 exec_lo, exec_lo, s19
	s_wait_loadcnt 0x0
	ds_store_b64 v3, v[30:31]
	s_wait_dscnt 0x0
	s_barrier_signal -1
	s_barrier_wait -1
	ds_load_b128 v[28:31], v33
	ds_load_2addr_b64 v[34:37], v32 offset1:16
	ds_load_b128 v[38:41], v33 offset:1024
	ds_load_b128 v[42:45], v33 offset:16
	;; [unrolled: 1-line block ×3, first 2 shown]
	v_add_nc_u64_e32 v[24:25], s[14:15], v[24:25]
	v_add_nc_u64_e32 v[26:27], s[16:17], v[26:27]
	s_add_co_i32 s18, s18, 8
	s_delay_alu instid0(SALU_CYCLE_1)
	s_cmp_lt_i32 s18, s5
	s_wait_dscnt 0x3
	v_fmac_f64_e32 v[22:23], v[34:35], v[28:29]
	v_fmac_f64_e32 v[20:21], v[36:37], v[28:29]
	s_wait_dscnt 0x2
	v_fmac_f64_e32 v[18:19], v[34:35], v[38:39]
	v_fmac_f64_e32 v[16:17], v[36:37], v[38:39]
	ds_load_2addr_b64 v[34:37], v32 offset0:32 offset1:48
	s_wait_dscnt 0x0
	v_fmac_f64_e32 v[22:23], v[34:35], v[30:31]
	v_fmac_f64_e32 v[20:21], v[36:37], v[30:31]
	v_fmac_f64_e32 v[18:19], v[34:35], v[40:41]
	v_fmac_f64_e32 v[16:17], v[36:37], v[40:41]
	ds_load_2addr_b64 v[28:31], v32 offset0:64 offset1:80
	s_wait_dscnt 0x0
	v_fmac_f64_e32 v[22:23], v[28:29], v[42:43]
	v_fmac_f64_e32 v[20:21], v[30:31], v[42:43]
	;; [unrolled: 6-line block ×3, first 2 shown]
	v_fmac_f64_e32 v[18:19], v[28:29], v[48:49]
	v_fmac_f64_e32 v[16:17], v[30:31], v[48:49]
	ds_load_b128 v[28:31], v33 offset:32
	ds_load_2addr_b64 v[34:37], v32 offset0:128 offset1:144
	ds_load_b128 v[38:41], v33 offset:1056
	ds_load_b128 v[42:45], v33 offset:48
	;; [unrolled: 1-line block ×3, first 2 shown]
	s_wait_dscnt 0x3
	v_fmac_f64_e32 v[22:23], v[34:35], v[28:29]
	v_fmac_f64_e32 v[20:21], v[36:37], v[28:29]
	s_wait_dscnt 0x2
	v_fmac_f64_e32 v[18:19], v[34:35], v[38:39]
	v_fmac_f64_e32 v[16:17], v[36:37], v[38:39]
	ds_load_2addr_b64 v[34:37], v32 offset0:160 offset1:176
	s_wait_dscnt 0x0
	v_fmac_f64_e32 v[22:23], v[34:35], v[30:31]
	v_fmac_f64_e32 v[20:21], v[36:37], v[30:31]
	;; [unrolled: 1-line block ×4, first 2 shown]
	ds_load_2addr_b64 v[28:31], v32 offset0:192 offset1:208
	s_wait_dscnt 0x0
	v_fmac_f64_e32 v[22:23], v[28:29], v[42:43]
	v_fmac_f64_e32 v[20:21], v[30:31], v[42:43]
	v_fmac_f64_e32 v[18:19], v[28:29], v[46:47]
	v_fmac_f64_e32 v[16:17], v[30:31], v[46:47]
	ds_load_2addr_b64 v[28:31], v32 offset0:224 offset1:240
	s_wait_dscnt 0x0
	s_barrier_signal -1
	s_barrier_wait -1
	v_fmac_f64_e32 v[22:23], v[28:29], v[44:45]
	v_fmac_f64_e32 v[20:21], v[30:31], v[44:45]
	;; [unrolled: 1-line block ×4, first 2 shown]
	s_cbranch_scc0 .LBB64_13
.LBB64_9:                               ;   Parent Loop BB64_6 Depth=1
                                        ; =>  This Inner Loop Header: Depth=2
	v_add_nc_u32_e32 v28, s18, v2
	s_delay_alu instid0(VALU_DEP_1) | instskip(SKIP_2) | instid1(SALU_CYCLE_1)
	v_cmp_gt_i32_e32 vcc_lo, s5, v28
	v_mov_b64_e32 v[28:29], 0
	s_and_b32 s26, s0, vcc_lo
	s_and_saveexec_b32 s19, s26
	s_cbranch_execz .LBB64_11
; %bb.10:                               ;   in Loop: Header=BB64_9 Depth=2
	global_load_b64 v[28:29], v[24:25], off
.LBB64_11:                              ;   in Loop: Header=BB64_9 Depth=2
	s_wait_xcnt 0x0
	s_or_b32 exec_lo, exec_lo, s19
	v_add_nc_u32_e32 v30, s18, v0
	s_wait_loadcnt 0x0
	ds_store_b64 v1, v[28:29]
	v_cmp_gt_i32_e32 vcc_lo, s5, v30
	v_mov_b64_e32 v[30:31], 0
	s_and_b32 s26, vcc_lo, s1
	s_delay_alu instid0(SALU_CYCLE_1)
	s_and_saveexec_b32 s19, s26
	s_cbranch_execz .LBB64_8
; %bb.12:                               ;   in Loop: Header=BB64_9 Depth=2
	global_load_b64 v[30:31], v[26:27], off
	s_branch .LBB64_8
.LBB64_13:                              ;   in Loop: Header=BB64_6 Depth=1
	s_mul_u64 s[18:19], s[24:25], s[6:7]
	s_delay_alu instid0(SALU_CYCLE_1) | instskip(NEXT) | instid1(SALU_CYCLE_1)
	s_lshl_b64 s[18:19], s[18:19], 3
	s_add_nc_u64 s[18:19], s[20:21], s[18:19]
	s_delay_alu instid0(SALU_CYCLE_1)
	v_lshl_add_u64 v[24:25], v[6:7], 3, s[18:19]
	s_and_saveexec_b32 s26, s30
	s_cbranch_execz .LBB64_17
; %bb.14:                               ;   in Loop: Header=BB64_6 Depth=1
	v_mul_f64_e32 v[22:23], s[12:13], v[22:23]
	s_delay_alu instid0(VALU_DEP_2)
	v_lshl_add_u64 v[26:27], v[4:5], 3, v[24:25]
	s_and_b32 vcc_lo, exec_lo, s22
	s_cbranch_vccz .LBB64_28
; %bb.15:                               ;   in Loop: Header=BB64_6 Depth=1
	global_load_b64 v[28:29], v[26:27], off
	s_wait_loadcnt 0x0
	v_fma_f64 v[28:29], s[10:11], v[28:29], v[22:23]
	global_store_b64 v[26:27], v[28:29], off
	s_cbranch_execnz .LBB64_17
.LBB64_16:                              ;   in Loop: Header=BB64_6 Depth=1
	global_store_b64 v[26:27], v[22:23], off
.LBB64_17:                              ;   in Loop: Header=BB64_6 Depth=1
	s_wait_xcnt 0x0
	s_or_b32 exec_lo, exec_lo, s26
	s_and_saveexec_b32 s26, s31
	s_cbranch_execz .LBB64_21
; %bb.18:                               ;   in Loop: Header=BB64_6 Depth=1
	s_delay_alu instid0(VALU_DEP_4)
	v_mul_f64_e32 v[20:21], s[12:13], v[20:21]
	v_lshl_add_u64 v[22:23], v[10:11], 3, v[24:25]
	s_and_not1_b32 vcc_lo, exec_lo, s22
	s_cbranch_vccnz .LBB64_29
; %bb.19:                               ;   in Loop: Header=BB64_6 Depth=1
	global_load_b64 v[24:25], v[22:23], off
	s_wait_loadcnt 0x0
	v_fma_f64 v[24:25], s[10:11], v[24:25], v[20:21]
	global_store_b64 v[22:23], v[24:25], off
	s_cbranch_execnz .LBB64_21
.LBB64_20:                              ;   in Loop: Header=BB64_6 Depth=1
	global_store_b64 v[22:23], v[20:21], off
.LBB64_21:                              ;   in Loop: Header=BB64_6 Depth=1
	s_wait_xcnt 0x0
	s_or_b32 exec_lo, exec_lo, s26
	v_lshl_add_u64 v[20:21], v[8:9], 3, s[18:19]
	s_and_saveexec_b32 s18, s33
	s_cbranch_execz .LBB64_25
; %bb.22:                               ;   in Loop: Header=BB64_6 Depth=1
	s_delay_alu instid0(VALU_DEP_4) | instskip(NEXT) | instid1(VALU_DEP_2)
	v_mul_f64_e32 v[18:19], s[12:13], v[18:19]
	v_lshl_add_u64 v[22:23], v[4:5], 3, v[20:21]
	s_and_not1_b32 vcc_lo, exec_lo, s22
	s_cbranch_vccnz .LBB64_30
; %bb.23:                               ;   in Loop: Header=BB64_6 Depth=1
	global_load_b64 v[24:25], v[22:23], off
	s_wait_loadcnt 0x0
	v_fma_f64 v[24:25], s[10:11], v[24:25], v[18:19]
	global_store_b64 v[22:23], v[24:25], off
	s_cbranch_execnz .LBB64_25
.LBB64_24:                              ;   in Loop: Header=BB64_6 Depth=1
	global_store_b64 v[22:23], v[18:19], off
.LBB64_25:                              ;   in Loop: Header=BB64_6 Depth=1
	s_wait_xcnt 0x0
	s_or_b32 exec_lo, exec_lo, s18
	s_and_saveexec_b32 s18, s4
	s_cbranch_execz .LBB64_5
; %bb.26:                               ;   in Loop: Header=BB64_6 Depth=1
	s_delay_alu instid0(VALU_DEP_3)
	v_mul_f64_e32 v[16:17], s[12:13], v[16:17]
	v_lshl_add_u64 v[18:19], v[10:11], 3, v[20:21]
	s_and_not1_b32 vcc_lo, exec_lo, s22
	s_cbranch_vccnz .LBB64_31
; %bb.27:                               ;   in Loop: Header=BB64_6 Depth=1
	global_load_b64 v[20:21], v[18:19], off
	s_wait_loadcnt 0x0
	v_fma_f64 v[20:21], s[10:11], v[20:21], v[16:17]
	global_store_b64 v[18:19], v[20:21], off
	s_cbranch_execnz .LBB64_5
	s_branch .LBB64_32
.LBB64_28:                              ;   in Loop: Header=BB64_6 Depth=1
	s_branch .LBB64_16
.LBB64_29:                              ;   in Loop: Header=BB64_6 Depth=1
	s_branch .LBB64_20
.LBB64_30:                              ;   in Loop: Header=BB64_6 Depth=1
	s_branch .LBB64_24
.LBB64_31:                              ;   in Loop: Header=BB64_6 Depth=1
.LBB64_32:                              ;   in Loop: Header=BB64_6 Depth=1
	global_store_b64 v[18:19], v[16:17], off
	s_branch .LBB64_5
.LBB64_33:
	s_endpgm
	.section	.rodata,"a",@progbits
	.p2align	6, 0x0
	.amdhsa_kernel _ZL29rocblas_internal_gemmt_kernelIiLi16ELi32ELi8ELc78ELc84ELc76ELb0ELb0EddPKdPdEviT_T9_T10_S3_lS5_S3_lS4_T11_S3_li
		.amdhsa_group_segment_fixed_size 4096
		.amdhsa_private_segment_fixed_size 0
		.amdhsa_kernarg_size 100
		.amdhsa_user_sgpr_count 2
		.amdhsa_user_sgpr_dispatch_ptr 0
		.amdhsa_user_sgpr_queue_ptr 0
		.amdhsa_user_sgpr_kernarg_segment_ptr 1
		.amdhsa_user_sgpr_dispatch_id 0
		.amdhsa_user_sgpr_kernarg_preload_length 0
		.amdhsa_user_sgpr_kernarg_preload_offset 0
		.amdhsa_user_sgpr_private_segment_size 0
		.amdhsa_wavefront_size32 1
		.amdhsa_uses_dynamic_stack 0
		.amdhsa_enable_private_segment 0
		.amdhsa_system_sgpr_workgroup_id_x 1
		.amdhsa_system_sgpr_workgroup_id_y 1
		.amdhsa_system_sgpr_workgroup_id_z 1
		.amdhsa_system_sgpr_workgroup_info 0
		.amdhsa_system_vgpr_workitem_id 1
		.amdhsa_next_free_vgpr 50
		.amdhsa_next_free_sgpr 36
		.amdhsa_named_barrier_count 0
		.amdhsa_reserve_vcc 1
		.amdhsa_float_round_mode_32 0
		.amdhsa_float_round_mode_16_64 0
		.amdhsa_float_denorm_mode_32 3
		.amdhsa_float_denorm_mode_16_64 3
		.amdhsa_fp16_overflow 0
		.amdhsa_memory_ordered 1
		.amdhsa_forward_progress 1
		.amdhsa_inst_pref_size 13
		.amdhsa_round_robin_scheduling 0
		.amdhsa_exception_fp_ieee_invalid_op 0
		.amdhsa_exception_fp_denorm_src 0
		.amdhsa_exception_fp_ieee_div_zero 0
		.amdhsa_exception_fp_ieee_overflow 0
		.amdhsa_exception_fp_ieee_underflow 0
		.amdhsa_exception_fp_ieee_inexact 0
		.amdhsa_exception_int_div_zero 0
	.end_amdhsa_kernel
	.section	.text._ZL29rocblas_internal_gemmt_kernelIiLi16ELi32ELi8ELc78ELc84ELc76ELb0ELb0EddPKdPdEviT_T9_T10_S3_lS5_S3_lS4_T11_S3_li,"axG",@progbits,_ZL29rocblas_internal_gemmt_kernelIiLi16ELi32ELi8ELc78ELc84ELc76ELb0ELb0EddPKdPdEviT_T9_T10_S3_lS5_S3_lS4_T11_S3_li,comdat
.Lfunc_end64:
	.size	_ZL29rocblas_internal_gemmt_kernelIiLi16ELi32ELi8ELc78ELc84ELc76ELb0ELb0EddPKdPdEviT_T9_T10_S3_lS5_S3_lS4_T11_S3_li, .Lfunc_end64-_ZL29rocblas_internal_gemmt_kernelIiLi16ELi32ELi8ELc78ELc84ELc76ELb0ELb0EddPKdPdEviT_T9_T10_S3_lS5_S3_lS4_T11_S3_li
                                        ; -- End function
	.set _ZL29rocblas_internal_gemmt_kernelIiLi16ELi32ELi8ELc78ELc84ELc76ELb0ELb0EddPKdPdEviT_T9_T10_S3_lS5_S3_lS4_T11_S3_li.num_vgpr, 50
	.set _ZL29rocblas_internal_gemmt_kernelIiLi16ELi32ELi8ELc78ELc84ELc76ELb0ELb0EddPKdPdEviT_T9_T10_S3_lS5_S3_lS4_T11_S3_li.num_agpr, 0
	.set _ZL29rocblas_internal_gemmt_kernelIiLi16ELi32ELi8ELc78ELc84ELc76ELb0ELb0EddPKdPdEviT_T9_T10_S3_lS5_S3_lS4_T11_S3_li.numbered_sgpr, 36
	.set _ZL29rocblas_internal_gemmt_kernelIiLi16ELi32ELi8ELc78ELc84ELc76ELb0ELb0EddPKdPdEviT_T9_T10_S3_lS5_S3_lS4_T11_S3_li.num_named_barrier, 0
	.set _ZL29rocblas_internal_gemmt_kernelIiLi16ELi32ELi8ELc78ELc84ELc76ELb0ELb0EddPKdPdEviT_T9_T10_S3_lS5_S3_lS4_T11_S3_li.private_seg_size, 0
	.set _ZL29rocblas_internal_gemmt_kernelIiLi16ELi32ELi8ELc78ELc84ELc76ELb0ELb0EddPKdPdEviT_T9_T10_S3_lS5_S3_lS4_T11_S3_li.uses_vcc, 1
	.set _ZL29rocblas_internal_gemmt_kernelIiLi16ELi32ELi8ELc78ELc84ELc76ELb0ELb0EddPKdPdEviT_T9_T10_S3_lS5_S3_lS4_T11_S3_li.uses_flat_scratch, 0
	.set _ZL29rocblas_internal_gemmt_kernelIiLi16ELi32ELi8ELc78ELc84ELc76ELb0ELb0EddPKdPdEviT_T9_T10_S3_lS5_S3_lS4_T11_S3_li.has_dyn_sized_stack, 0
	.set _ZL29rocblas_internal_gemmt_kernelIiLi16ELi32ELi8ELc78ELc84ELc76ELb0ELb0EddPKdPdEviT_T9_T10_S3_lS5_S3_lS4_T11_S3_li.has_recursion, 0
	.set _ZL29rocblas_internal_gemmt_kernelIiLi16ELi32ELi8ELc78ELc84ELc76ELb0ELb0EddPKdPdEviT_T9_T10_S3_lS5_S3_lS4_T11_S3_li.has_indirect_call, 0
	.section	.AMDGPU.csdata,"",@progbits
; Kernel info:
; codeLenInByte = 1628
; TotalNumSgprs: 38
; NumVgprs: 50
; ScratchSize: 0
; MemoryBound: 0
; FloatMode: 240
; IeeeMode: 1
; LDSByteSize: 4096 bytes/workgroup (compile time only)
; SGPRBlocks: 0
; VGPRBlocks: 3
; NumSGPRsForWavesPerEU: 38
; NumVGPRsForWavesPerEU: 50
; NamedBarCnt: 0
; Occupancy: 16
; WaveLimiterHint : 0
; COMPUTE_PGM_RSRC2:SCRATCH_EN: 0
; COMPUTE_PGM_RSRC2:USER_SGPR: 2
; COMPUTE_PGM_RSRC2:TRAP_HANDLER: 0
; COMPUTE_PGM_RSRC2:TGID_X_EN: 1
; COMPUTE_PGM_RSRC2:TGID_Y_EN: 1
; COMPUTE_PGM_RSRC2:TGID_Z_EN: 1
; COMPUTE_PGM_RSRC2:TIDIG_COMP_CNT: 1
	.section	.text._ZL29rocblas_internal_gemmt_kernelIiLi16ELi32ELi8ELc78ELc67ELc76ELb0ELb0EddPKdPdEviT_T9_T10_S3_lS5_S3_lS4_T11_S3_li,"axG",@progbits,_ZL29rocblas_internal_gemmt_kernelIiLi16ELi32ELi8ELc78ELc67ELc76ELb0ELb0EddPKdPdEviT_T9_T10_S3_lS5_S3_lS4_T11_S3_li,comdat
	.globl	_ZL29rocblas_internal_gemmt_kernelIiLi16ELi32ELi8ELc78ELc67ELc76ELb0ELb0EddPKdPdEviT_T9_T10_S3_lS5_S3_lS4_T11_S3_li ; -- Begin function _ZL29rocblas_internal_gemmt_kernelIiLi16ELi32ELi8ELc78ELc67ELc76ELb0ELb0EddPKdPdEviT_T9_T10_S3_lS5_S3_lS4_T11_S3_li
	.p2align	8
	.type	_ZL29rocblas_internal_gemmt_kernelIiLi16ELi32ELi8ELc78ELc67ELc76ELb0ELb0EddPKdPdEviT_T9_T10_S3_lS5_S3_lS4_T11_S3_li,@function
_ZL29rocblas_internal_gemmt_kernelIiLi16ELi32ELi8ELc78ELc67ELc76ELb0ELb0EddPKdPdEviT_T9_T10_S3_lS5_S3_lS4_T11_S3_li: ; @_ZL29rocblas_internal_gemmt_kernelIiLi16ELi32ELi8ELc78ELc67ELc76ELb0ELb0EddPKdPdEviT_T9_T10_S3_lS5_S3_lS4_T11_S3_li
; %bb.0:
	s_clause 0x2
	s_load_b128 s[8:11], s[0:1], 0x38
	s_load_b64 s[4:5], s[0:1], 0x0
	s_load_b128 s[12:15], s[0:1], 0x8
	s_wait_kmcnt 0x0
	v_cmp_neq_f64_e64 s2, s[10:11], 1.0
	s_and_b32 vcc_lo, exec_lo, s2
	s_cbranch_vccnz .LBB65_2
; %bb.1:
	v_cmp_neq_f64_e64 s2, s[12:13], 0
	s_cmp_lg_u32 s5, 0
	s_cselect_b32 s3, -1, 0
	s_delay_alu instid0(SALU_CYCLE_1)
	s_and_b32 s2, s3, s2
.LBB65_2:
	s_delay_alu instid0(SALU_CYCLE_1)
	s_and_not1_b32 vcc_lo, exec_lo, s2
	s_cbranch_vccnz .LBB65_33
; %bb.3:
	s_load_b32 s23, s[0:1], 0x60
	s_bfe_u32 s2, ttmp6, 0x40014
	s_lshr_b32 s3, ttmp7, 16
	s_add_co_i32 s2, s2, 1
	s_bfe_u32 s7, ttmp6, 0x40008
	s_mul_i32 s6, s3, s2
	s_getreg_b32 s2, hwreg(HW_REG_IB_STS2, 6, 4)
	s_add_co_i32 s7, s7, s6
	s_cmp_eq_u32 s2, 0
	s_cselect_b32 s6, s3, s7
	s_mov_b32 s7, 0
	s_wait_kmcnt 0x0
	s_cmp_ge_u32 s6, s23
	s_cbranch_scc1 .LBB65_33
; %bb.4:
	s_clause 0x4
	s_load_b32 s26, s[0:1], 0x18
	s_load_b32 s28, s[0:1], 0x30
	s_load_b96 s[20:22], s[0:1], 0x48
	s_load_b128 s[16:19], s[0:1], 0x20
	s_load_b64 s[24:25], s[0:1], 0x58
	s_wait_xcnt 0x0
	s_bfe_u32 s1, ttmp6, 0x4000c
	s_bfe_u32 s27, ttmp6, 0x40010
	v_and_b32_e32 v5, 0x3ff, v0
	v_bfe_u32 v11, v0, 10, 10
	s_and_b32 s3, ttmp7, 0xffff
	s_add_co_i32 s1, s1, 1
	s_add_co_i32 s33, s27, 1
	s_and_b32 s0, ttmp6, 15
	s_mul_i32 s1, ttmp9, s1
	v_lshl_add_u32 v1, v11, 4, v5
	s_add_co_i32 s0, s0, s1
	v_and_b32_e32 v0, 7, v0
	v_cmp_neq_f64_e64 s34, s[12:13], 0
	v_lshl_add_u32 v33, v11, 6, 0x800
	v_dual_lshrrev_b32 v4, 3, v1 :: v_dual_bitop2_b32 v6, 31, v1 bitop3:0x40
	s_wait_kmcnt 0x0
	s_ashr_i32 s27, s26, 31
	s_ashr_i32 s31, s22, 31
	s_mov_b32 s30, s22
	s_mul_i32 s22, s3, s33
	s_bfe_u32 s33, ttmp6, 0x40004
	s_ashr_i32 s29, s28, 31
	s_add_co_i32 s33, s33, s22
	s_cmp_eq_u32 s2, 0
	v_lshrrev_b32_e32 v2, 5, v1
	s_cselect_b32 s0, ttmp9, s0
	s_cselect_b32 s1, s3, s33
	s_lshl_b32 s2, s0, 5
	s_delay_alu instid0(SALU_CYCLE_1) | instskip(SKIP_2) | instid1(VALU_DEP_2)
	v_dual_mov_b32 v3, 0 :: v_dual_bitop2_b32 v12, s2, v6 bitop3:0x54
	s_lshl_b32 s0, s1, 5
	v_cmp_neq_f64_e64 s22, s[10:11], 0
	v_dual_mov_b32 v1, v3 :: v_dual_add_nc_u32 v14, s0, v4
	v_add_nc_u32_e32 v16, s0, v11
	v_mul_u64_e32 v[18:19], s[26:27], v[2:3]
	v_lshlrev_b32_e32 v3, 3, v6
	s_delay_alu instid0(VALU_DEP_4)
	v_ashrrev_i32_e32 v15, 31, v14
	v_mul_u64_e32 v[20:21], s[28:29], v[0:1]
	v_dual_add_nc_u32 v22, 16, v16 :: v_dual_ashrrev_i32 v17, 31, v16
	v_lshlrev_b32_e32 v6, 3, v0
	v_lshl_or_b32 v1, v2, 8, v3
	v_cmp_gt_i32_e64 s0, s4, v12
	s_delay_alu instid0(VALU_DEP_4)
	v_ashrrev_i32_e32 v23, 31, v22
	v_cmp_gt_i32_e64 s1, s4, v14
	v_lshl_or_b32 v3, v4, 6, v6
	v_mul_u64_e32 v[6:7], s[30:31], v[16:17]
	v_add_nc_u32_e32 v4, s2, v5
	v_mul_u64_e32 v[8:9], s[30:31], v[22:23]
	v_lshlrev_b32_e32 v32, 3, v5
	v_lshlrev_b64_e32 v[14:15], 3, v[14:15]
	s_cmp_gt_i32 s5, 0
	v_add_nc_u32_e32 v10, 16, v4
	v_ashrrev_i32_e32 v13, 31, v12
	v_cmp_le_i32_e32 vcc_lo, v16, v4
	v_cmp_gt_i32_e64 s2, s4, v4
	s_cselect_b32 s35, -1, 0
	v_ashrrev_i32_e32 v11, 31, v10
	v_lshlrev_b64_e32 v[12:13], 3, v[12:13]
	v_cmp_le_i32_e64 s3, v16, v10
	v_cmp_gt_i32_e64 s4, s4, v10
	s_and_b32 s30, vcc_lo, s2
	v_cmp_le_i32_e32 vcc_lo, v22, v4
	v_add_nc_u32_e32 v3, 0x800, v3
	v_ashrrev_i32_e32 v5, 31, v4
	s_and_b32 s31, s3, s4
	v_lshl_add_u64 v[12:13], v[18:19], 3, v[12:13]
	v_cmp_le_i32_e64 s3, v22, v10
	s_and_b32 s33, vcc_lo, s2
	v_lshl_add_u64 v[14:15], v[20:21], 3, v[14:15]
	s_and_b32 s34, s34, s35
	v_add_nc_u64_e32 v[12:13], s[14:15], v[12:13]
	s_and_b32 s4, s3, s4
	s_lshl_b64 s[2:3], s[16:17], 3
	v_add_nc_u64_e32 v[14:15], s[18:19], v[14:15]
	s_lshl_b64 s[14:15], s[26:27], 6
	s_lshl_b64 s[8:9], s[8:9], 3
	s_lshl_b64 s[16:17], s[28:29], 6
	s_branch .LBB65_6
.LBB65_5:                               ;   in Loop: Header=BB65_6 Depth=1
	s_wait_xcnt 0x0
	s_or_b32 exec_lo, exec_lo, s18
	s_add_co_i32 s6, s6, 0x10000
	s_delay_alu instid0(SALU_CYCLE_1)
	s_cmp_lt_u32 s6, s23
	s_cbranch_scc0 .LBB65_33
.LBB65_6:                               ; =>This Loop Header: Depth=1
                                        ;     Child Loop BB65_9 Depth 2
	v_mov_b64_e32 v[22:23], 0
	v_mov_b64_e32 v[20:21], 0
	;; [unrolled: 1-line block ×4, first 2 shown]
	s_and_not1_b32 vcc_lo, exec_lo, s34
	s_cbranch_vccnz .LBB65_13
; %bb.7:                                ;   in Loop: Header=BB65_6 Depth=1
	v_mad_nc_u64_u32 v[24:25], s2, s6, v[12:13]
	v_mad_nc_u64_u32 v[26:27], s8, s6, v[14:15]
	v_mov_b64_e32 v[16:17], 0
	v_mov_b64_e32 v[18:19], 0
	;; [unrolled: 1-line block ×4, first 2 shown]
	s_mov_b32 s18, 0
	v_mad_u32 v25, s3, s6, v25
	v_mad_u32 v27, s9, s6, v27
	s_branch .LBB65_9
.LBB65_8:                               ;   in Loop: Header=BB65_9 Depth=2
	s_wait_xcnt 0x0
	s_or_b32 exec_lo, exec_lo, s19
	s_wait_loadcnt 0x0
	ds_store_b64 v3, v[30:31]
	s_wait_dscnt 0x0
	s_barrier_signal -1
	s_barrier_wait -1
	ds_load_b128 v[28:31], v33
	ds_load_2addr_b64 v[34:37], v32 offset1:16
	ds_load_b128 v[38:41], v33 offset:1024
	ds_load_b128 v[42:45], v33 offset:16
	ds_load_b128 v[46:49], v33 offset:1040
	v_add_nc_u64_e32 v[24:25], s[14:15], v[24:25]
	v_add_nc_u64_e32 v[26:27], s[16:17], v[26:27]
	s_add_co_i32 s18, s18, 8
	s_delay_alu instid0(SALU_CYCLE_1)
	s_cmp_lt_i32 s18, s5
	s_wait_dscnt 0x3
	v_fmac_f64_e32 v[22:23], v[34:35], v[28:29]
	v_fmac_f64_e32 v[20:21], v[36:37], v[28:29]
	s_wait_dscnt 0x2
	v_fmac_f64_e32 v[18:19], v[34:35], v[38:39]
	v_fmac_f64_e32 v[16:17], v[36:37], v[38:39]
	ds_load_2addr_b64 v[34:37], v32 offset0:32 offset1:48
	s_wait_dscnt 0x0
	v_fmac_f64_e32 v[22:23], v[34:35], v[30:31]
	v_fmac_f64_e32 v[20:21], v[36:37], v[30:31]
	v_fmac_f64_e32 v[18:19], v[34:35], v[40:41]
	v_fmac_f64_e32 v[16:17], v[36:37], v[40:41]
	ds_load_2addr_b64 v[28:31], v32 offset0:64 offset1:80
	s_wait_dscnt 0x0
	v_fmac_f64_e32 v[22:23], v[28:29], v[42:43]
	v_fmac_f64_e32 v[20:21], v[30:31], v[42:43]
	v_fmac_f64_e32 v[18:19], v[28:29], v[46:47]
	v_fmac_f64_e32 v[16:17], v[30:31], v[46:47]
	ds_load_2addr_b64 v[28:31], v32 offset0:96 offset1:112
	s_wait_dscnt 0x0
	v_fmac_f64_e32 v[22:23], v[28:29], v[44:45]
	v_fmac_f64_e32 v[20:21], v[30:31], v[44:45]
	v_fmac_f64_e32 v[18:19], v[28:29], v[48:49]
	v_fmac_f64_e32 v[16:17], v[30:31], v[48:49]
	ds_load_b128 v[28:31], v33 offset:32
	ds_load_2addr_b64 v[34:37], v32 offset0:128 offset1:144
	ds_load_b128 v[38:41], v33 offset:1056
	ds_load_b128 v[42:45], v33 offset:48
	ds_load_b128 v[46:49], v33 offset:1072
	s_wait_dscnt 0x3
	v_fmac_f64_e32 v[22:23], v[34:35], v[28:29]
	v_fmac_f64_e32 v[20:21], v[36:37], v[28:29]
	s_wait_dscnt 0x2
	v_fmac_f64_e32 v[18:19], v[34:35], v[38:39]
	v_fmac_f64_e32 v[16:17], v[36:37], v[38:39]
	ds_load_2addr_b64 v[34:37], v32 offset0:160 offset1:176
	s_wait_dscnt 0x0
	v_fmac_f64_e32 v[22:23], v[34:35], v[30:31]
	v_fmac_f64_e32 v[20:21], v[36:37], v[30:31]
	;; [unrolled: 1-line block ×4, first 2 shown]
	ds_load_2addr_b64 v[28:31], v32 offset0:192 offset1:208
	s_wait_dscnt 0x0
	v_fmac_f64_e32 v[22:23], v[28:29], v[42:43]
	v_fmac_f64_e32 v[20:21], v[30:31], v[42:43]
	;; [unrolled: 1-line block ×4, first 2 shown]
	ds_load_2addr_b64 v[28:31], v32 offset0:224 offset1:240
	s_wait_dscnt 0x0
	s_barrier_signal -1
	s_barrier_wait -1
	v_fmac_f64_e32 v[22:23], v[28:29], v[44:45]
	v_fmac_f64_e32 v[20:21], v[30:31], v[44:45]
	;; [unrolled: 1-line block ×4, first 2 shown]
	s_cbranch_scc0 .LBB65_13
.LBB65_9:                               ;   Parent Loop BB65_6 Depth=1
                                        ; =>  This Inner Loop Header: Depth=2
	v_add_nc_u32_e32 v28, s18, v2
	s_delay_alu instid0(VALU_DEP_1) | instskip(SKIP_2) | instid1(SALU_CYCLE_1)
	v_cmp_gt_i32_e32 vcc_lo, s5, v28
	v_mov_b64_e32 v[28:29], 0
	s_and_b32 s26, s0, vcc_lo
	s_and_saveexec_b32 s19, s26
	s_cbranch_execz .LBB65_11
; %bb.10:                               ;   in Loop: Header=BB65_9 Depth=2
	global_load_b64 v[28:29], v[24:25], off
.LBB65_11:                              ;   in Loop: Header=BB65_9 Depth=2
	s_wait_xcnt 0x0
	s_or_b32 exec_lo, exec_lo, s19
	v_add_nc_u32_e32 v30, s18, v0
	s_wait_loadcnt 0x0
	ds_store_b64 v1, v[28:29]
	v_cmp_gt_i32_e32 vcc_lo, s5, v30
	v_mov_b64_e32 v[30:31], 0
	s_and_b32 s26, vcc_lo, s1
	s_delay_alu instid0(SALU_CYCLE_1)
	s_and_saveexec_b32 s19, s26
	s_cbranch_execz .LBB65_8
; %bb.12:                               ;   in Loop: Header=BB65_9 Depth=2
	global_load_b64 v[30:31], v[26:27], off
	s_branch .LBB65_8
.LBB65_13:                              ;   in Loop: Header=BB65_6 Depth=1
	s_mul_u64 s[18:19], s[24:25], s[6:7]
	s_delay_alu instid0(SALU_CYCLE_1) | instskip(NEXT) | instid1(SALU_CYCLE_1)
	s_lshl_b64 s[18:19], s[18:19], 3
	s_add_nc_u64 s[18:19], s[20:21], s[18:19]
	s_delay_alu instid0(SALU_CYCLE_1)
	v_lshl_add_u64 v[24:25], v[6:7], 3, s[18:19]
	s_and_saveexec_b32 s26, s30
	s_cbranch_execz .LBB65_17
; %bb.14:                               ;   in Loop: Header=BB65_6 Depth=1
	v_mul_f64_e32 v[22:23], s[12:13], v[22:23]
	s_delay_alu instid0(VALU_DEP_2)
	v_lshl_add_u64 v[26:27], v[4:5], 3, v[24:25]
	s_and_b32 vcc_lo, exec_lo, s22
	s_cbranch_vccz .LBB65_28
; %bb.15:                               ;   in Loop: Header=BB65_6 Depth=1
	global_load_b64 v[28:29], v[26:27], off
	s_wait_loadcnt 0x0
	v_fma_f64 v[28:29], s[10:11], v[28:29], v[22:23]
	global_store_b64 v[26:27], v[28:29], off
	s_cbranch_execnz .LBB65_17
.LBB65_16:                              ;   in Loop: Header=BB65_6 Depth=1
	global_store_b64 v[26:27], v[22:23], off
.LBB65_17:                              ;   in Loop: Header=BB65_6 Depth=1
	s_wait_xcnt 0x0
	s_or_b32 exec_lo, exec_lo, s26
	s_and_saveexec_b32 s26, s31
	s_cbranch_execz .LBB65_21
; %bb.18:                               ;   in Loop: Header=BB65_6 Depth=1
	s_delay_alu instid0(VALU_DEP_4)
	v_mul_f64_e32 v[20:21], s[12:13], v[20:21]
	v_lshl_add_u64 v[22:23], v[10:11], 3, v[24:25]
	s_and_not1_b32 vcc_lo, exec_lo, s22
	s_cbranch_vccnz .LBB65_29
; %bb.19:                               ;   in Loop: Header=BB65_6 Depth=1
	global_load_b64 v[24:25], v[22:23], off
	s_wait_loadcnt 0x0
	v_fma_f64 v[24:25], s[10:11], v[24:25], v[20:21]
	global_store_b64 v[22:23], v[24:25], off
	s_cbranch_execnz .LBB65_21
.LBB65_20:                              ;   in Loop: Header=BB65_6 Depth=1
	global_store_b64 v[22:23], v[20:21], off
.LBB65_21:                              ;   in Loop: Header=BB65_6 Depth=1
	s_wait_xcnt 0x0
	s_or_b32 exec_lo, exec_lo, s26
	v_lshl_add_u64 v[20:21], v[8:9], 3, s[18:19]
	s_and_saveexec_b32 s18, s33
	s_cbranch_execz .LBB65_25
; %bb.22:                               ;   in Loop: Header=BB65_6 Depth=1
	s_delay_alu instid0(VALU_DEP_4) | instskip(NEXT) | instid1(VALU_DEP_2)
	v_mul_f64_e32 v[18:19], s[12:13], v[18:19]
	v_lshl_add_u64 v[22:23], v[4:5], 3, v[20:21]
	s_and_not1_b32 vcc_lo, exec_lo, s22
	s_cbranch_vccnz .LBB65_30
; %bb.23:                               ;   in Loop: Header=BB65_6 Depth=1
	global_load_b64 v[24:25], v[22:23], off
	s_wait_loadcnt 0x0
	v_fma_f64 v[24:25], s[10:11], v[24:25], v[18:19]
	global_store_b64 v[22:23], v[24:25], off
	s_cbranch_execnz .LBB65_25
.LBB65_24:                              ;   in Loop: Header=BB65_6 Depth=1
	global_store_b64 v[22:23], v[18:19], off
.LBB65_25:                              ;   in Loop: Header=BB65_6 Depth=1
	s_wait_xcnt 0x0
	s_or_b32 exec_lo, exec_lo, s18
	s_and_saveexec_b32 s18, s4
	s_cbranch_execz .LBB65_5
; %bb.26:                               ;   in Loop: Header=BB65_6 Depth=1
	s_delay_alu instid0(VALU_DEP_3)
	v_mul_f64_e32 v[16:17], s[12:13], v[16:17]
	v_lshl_add_u64 v[18:19], v[10:11], 3, v[20:21]
	s_and_not1_b32 vcc_lo, exec_lo, s22
	s_cbranch_vccnz .LBB65_31
; %bb.27:                               ;   in Loop: Header=BB65_6 Depth=1
	global_load_b64 v[20:21], v[18:19], off
	s_wait_loadcnt 0x0
	v_fma_f64 v[20:21], s[10:11], v[20:21], v[16:17]
	global_store_b64 v[18:19], v[20:21], off
	s_cbranch_execnz .LBB65_5
	s_branch .LBB65_32
.LBB65_28:                              ;   in Loop: Header=BB65_6 Depth=1
	s_branch .LBB65_16
.LBB65_29:                              ;   in Loop: Header=BB65_6 Depth=1
	s_branch .LBB65_20
.LBB65_30:                              ;   in Loop: Header=BB65_6 Depth=1
	s_branch .LBB65_24
.LBB65_31:                              ;   in Loop: Header=BB65_6 Depth=1
.LBB65_32:                              ;   in Loop: Header=BB65_6 Depth=1
	global_store_b64 v[18:19], v[16:17], off
	s_branch .LBB65_5
.LBB65_33:
	s_endpgm
	.section	.rodata,"a",@progbits
	.p2align	6, 0x0
	.amdhsa_kernel _ZL29rocblas_internal_gemmt_kernelIiLi16ELi32ELi8ELc78ELc67ELc76ELb0ELb0EddPKdPdEviT_T9_T10_S3_lS5_S3_lS4_T11_S3_li
		.amdhsa_group_segment_fixed_size 4096
		.amdhsa_private_segment_fixed_size 0
		.amdhsa_kernarg_size 100
		.amdhsa_user_sgpr_count 2
		.amdhsa_user_sgpr_dispatch_ptr 0
		.amdhsa_user_sgpr_queue_ptr 0
		.amdhsa_user_sgpr_kernarg_segment_ptr 1
		.amdhsa_user_sgpr_dispatch_id 0
		.amdhsa_user_sgpr_kernarg_preload_length 0
		.amdhsa_user_sgpr_kernarg_preload_offset 0
		.amdhsa_user_sgpr_private_segment_size 0
		.amdhsa_wavefront_size32 1
		.amdhsa_uses_dynamic_stack 0
		.amdhsa_enable_private_segment 0
		.amdhsa_system_sgpr_workgroup_id_x 1
		.amdhsa_system_sgpr_workgroup_id_y 1
		.amdhsa_system_sgpr_workgroup_id_z 1
		.amdhsa_system_sgpr_workgroup_info 0
		.amdhsa_system_vgpr_workitem_id 1
		.amdhsa_next_free_vgpr 50
		.amdhsa_next_free_sgpr 36
		.amdhsa_named_barrier_count 0
		.amdhsa_reserve_vcc 1
		.amdhsa_float_round_mode_32 0
		.amdhsa_float_round_mode_16_64 0
		.amdhsa_float_denorm_mode_32 3
		.amdhsa_float_denorm_mode_16_64 3
		.amdhsa_fp16_overflow 0
		.amdhsa_memory_ordered 1
		.amdhsa_forward_progress 1
		.amdhsa_inst_pref_size 13
		.amdhsa_round_robin_scheduling 0
		.amdhsa_exception_fp_ieee_invalid_op 0
		.amdhsa_exception_fp_denorm_src 0
		.amdhsa_exception_fp_ieee_div_zero 0
		.amdhsa_exception_fp_ieee_overflow 0
		.amdhsa_exception_fp_ieee_underflow 0
		.amdhsa_exception_fp_ieee_inexact 0
		.amdhsa_exception_int_div_zero 0
	.end_amdhsa_kernel
	.section	.text._ZL29rocblas_internal_gemmt_kernelIiLi16ELi32ELi8ELc78ELc67ELc76ELb0ELb0EddPKdPdEviT_T9_T10_S3_lS5_S3_lS4_T11_S3_li,"axG",@progbits,_ZL29rocblas_internal_gemmt_kernelIiLi16ELi32ELi8ELc78ELc67ELc76ELb0ELb0EddPKdPdEviT_T9_T10_S3_lS5_S3_lS4_T11_S3_li,comdat
.Lfunc_end65:
	.size	_ZL29rocblas_internal_gemmt_kernelIiLi16ELi32ELi8ELc78ELc67ELc76ELb0ELb0EddPKdPdEviT_T9_T10_S3_lS5_S3_lS4_T11_S3_li, .Lfunc_end65-_ZL29rocblas_internal_gemmt_kernelIiLi16ELi32ELi8ELc78ELc67ELc76ELb0ELb0EddPKdPdEviT_T9_T10_S3_lS5_S3_lS4_T11_S3_li
                                        ; -- End function
	.set _ZL29rocblas_internal_gemmt_kernelIiLi16ELi32ELi8ELc78ELc67ELc76ELb0ELb0EddPKdPdEviT_T9_T10_S3_lS5_S3_lS4_T11_S3_li.num_vgpr, 50
	.set _ZL29rocblas_internal_gemmt_kernelIiLi16ELi32ELi8ELc78ELc67ELc76ELb0ELb0EddPKdPdEviT_T9_T10_S3_lS5_S3_lS4_T11_S3_li.num_agpr, 0
	.set _ZL29rocblas_internal_gemmt_kernelIiLi16ELi32ELi8ELc78ELc67ELc76ELb0ELb0EddPKdPdEviT_T9_T10_S3_lS5_S3_lS4_T11_S3_li.numbered_sgpr, 36
	.set _ZL29rocblas_internal_gemmt_kernelIiLi16ELi32ELi8ELc78ELc67ELc76ELb0ELb0EddPKdPdEviT_T9_T10_S3_lS5_S3_lS4_T11_S3_li.num_named_barrier, 0
	.set _ZL29rocblas_internal_gemmt_kernelIiLi16ELi32ELi8ELc78ELc67ELc76ELb0ELb0EddPKdPdEviT_T9_T10_S3_lS5_S3_lS4_T11_S3_li.private_seg_size, 0
	.set _ZL29rocblas_internal_gemmt_kernelIiLi16ELi32ELi8ELc78ELc67ELc76ELb0ELb0EddPKdPdEviT_T9_T10_S3_lS5_S3_lS4_T11_S3_li.uses_vcc, 1
	.set _ZL29rocblas_internal_gemmt_kernelIiLi16ELi32ELi8ELc78ELc67ELc76ELb0ELb0EddPKdPdEviT_T9_T10_S3_lS5_S3_lS4_T11_S3_li.uses_flat_scratch, 0
	.set _ZL29rocblas_internal_gemmt_kernelIiLi16ELi32ELi8ELc78ELc67ELc76ELb0ELb0EddPKdPdEviT_T9_T10_S3_lS5_S3_lS4_T11_S3_li.has_dyn_sized_stack, 0
	.set _ZL29rocblas_internal_gemmt_kernelIiLi16ELi32ELi8ELc78ELc67ELc76ELb0ELb0EddPKdPdEviT_T9_T10_S3_lS5_S3_lS4_T11_S3_li.has_recursion, 0
	.set _ZL29rocblas_internal_gemmt_kernelIiLi16ELi32ELi8ELc78ELc67ELc76ELb0ELb0EddPKdPdEviT_T9_T10_S3_lS5_S3_lS4_T11_S3_li.has_indirect_call, 0
	.section	.AMDGPU.csdata,"",@progbits
; Kernel info:
; codeLenInByte = 1628
; TotalNumSgprs: 38
; NumVgprs: 50
; ScratchSize: 0
; MemoryBound: 0
; FloatMode: 240
; IeeeMode: 1
; LDSByteSize: 4096 bytes/workgroup (compile time only)
; SGPRBlocks: 0
; VGPRBlocks: 3
; NumSGPRsForWavesPerEU: 38
; NumVGPRsForWavesPerEU: 50
; NamedBarCnt: 0
; Occupancy: 16
; WaveLimiterHint : 0
; COMPUTE_PGM_RSRC2:SCRATCH_EN: 0
; COMPUTE_PGM_RSRC2:USER_SGPR: 2
; COMPUTE_PGM_RSRC2:TRAP_HANDLER: 0
; COMPUTE_PGM_RSRC2:TGID_X_EN: 1
; COMPUTE_PGM_RSRC2:TGID_Y_EN: 1
; COMPUTE_PGM_RSRC2:TGID_Z_EN: 1
; COMPUTE_PGM_RSRC2:TIDIG_COMP_CNT: 1
	.section	.text._ZL29rocblas_internal_gemmt_kernelIiLi16ELi32ELi8ELc84ELc78ELc76ELb0ELb0EddPKdPdEviT_T9_T10_S3_lS5_S3_lS4_T11_S3_li,"axG",@progbits,_ZL29rocblas_internal_gemmt_kernelIiLi16ELi32ELi8ELc84ELc78ELc76ELb0ELb0EddPKdPdEviT_T9_T10_S3_lS5_S3_lS4_T11_S3_li,comdat
	.globl	_ZL29rocblas_internal_gemmt_kernelIiLi16ELi32ELi8ELc84ELc78ELc76ELb0ELb0EddPKdPdEviT_T9_T10_S3_lS5_S3_lS4_T11_S3_li ; -- Begin function _ZL29rocblas_internal_gemmt_kernelIiLi16ELi32ELi8ELc84ELc78ELc76ELb0ELb0EddPKdPdEviT_T9_T10_S3_lS5_S3_lS4_T11_S3_li
	.p2align	8
	.type	_ZL29rocblas_internal_gemmt_kernelIiLi16ELi32ELi8ELc84ELc78ELc76ELb0ELb0EddPKdPdEviT_T9_T10_S3_lS5_S3_lS4_T11_S3_li,@function
_ZL29rocblas_internal_gemmt_kernelIiLi16ELi32ELi8ELc84ELc78ELc76ELb0ELb0EddPKdPdEviT_T9_T10_S3_lS5_S3_lS4_T11_S3_li: ; @_ZL29rocblas_internal_gemmt_kernelIiLi16ELi32ELi8ELc84ELc78ELc76ELb0ELb0EddPKdPdEviT_T9_T10_S3_lS5_S3_lS4_T11_S3_li
; %bb.0:
	s_clause 0x2
	s_load_b128 s[8:11], s[0:1], 0x38
	s_load_b64 s[4:5], s[0:1], 0x0
	s_load_b128 s[12:15], s[0:1], 0x8
	s_wait_kmcnt 0x0
	v_cmp_neq_f64_e64 s2, s[10:11], 1.0
	s_and_b32 vcc_lo, exec_lo, s2
	s_cbranch_vccnz .LBB66_2
; %bb.1:
	v_cmp_neq_f64_e64 s2, s[12:13], 0
	s_cmp_lg_u32 s5, 0
	s_cselect_b32 s3, -1, 0
	s_delay_alu instid0(SALU_CYCLE_1)
	s_and_b32 s2, s3, s2
.LBB66_2:
	s_delay_alu instid0(SALU_CYCLE_1)
	s_and_not1_b32 vcc_lo, exec_lo, s2
	s_cbranch_vccnz .LBB66_33
; %bb.3:
	s_load_b32 s23, s[0:1], 0x60
	s_bfe_u32 s2, ttmp6, 0x40014
	s_lshr_b32 s3, ttmp7, 16
	s_add_co_i32 s2, s2, 1
	s_bfe_u32 s6, ttmp6, 0x40008
	s_mul_i32 s2, s3, s2
	s_getreg_b32 s28, hwreg(HW_REG_IB_STS2, 6, 4)
	s_add_co_i32 s6, s6, s2
	s_cmp_eq_u32 s28, 0
	s_mov_b32 s7, 0
	s_cselect_b32 s6, s3, s6
	s_wait_kmcnt 0x0
	s_cmp_ge_u32 s6, s23
	s_cbranch_scc1 .LBB66_33
; %bb.4:
	s_clause 0x3
	s_load_b32 s26, s[0:1], 0x18
	s_load_b32 s2, s[0:1], 0x30
	s_load_b96 s[20:22], s[0:1], 0x48
	s_load_b128 s[16:19], s[0:1], 0x20
	v_and_b32_e32 v1, 0x3ff, v0
	v_bfe_u32 v19, v0, 10, 10
	s_load_b64 s[24:25], s[0:1], 0x58
	s_wait_xcnt 0x0
	s_bfe_u32 s1, ttmp6, 0x4000c
	s_bfe_u32 s3, ttmp6, 0x40010
	s_and_b32 s29, ttmp7, 0xffff
	s_add_co_i32 s1, s1, 1
	s_add_co_i32 s3, s3, 1
	v_lshl_add_u32 v2, v19, 4, v1
	s_and_b32 s0, ttmp6, 15
	s_bfe_u32 s30, ttmp6, 0x40004
	s_mul_i32 s31, ttmp9, s1
	s_mul_i32 s33, s29, s3
	s_add_co_i32 s0, s0, s31
	s_add_co_i32 s30, s30, s33
	v_dual_lshrrev_b32 v3, 3, v2 :: v_dual_bitop2_b32 v4, 31, v2 bitop3:0x40
	s_wait_kmcnt 0x0
	s_ashr_i32 s27, s26, 31
	s_ashr_i32 s3, s2, 31
	;; [unrolled: 1-line block ×3, first 2 shown]
	s_cmp_eq_u32 s28, 0
	v_dual_lshrrev_b32 v28, 5, v2 :: v_dual_bitop2_b32 v29, 7, v0 bitop3:0x40
	s_cselect_b32 s0, ttmp9, s0
	s_cselect_b32 s28, s29, s30
	s_lshl_b32 s29, s0, 5
	s_lshl_b32 s28, s28, 5
	s_delay_alu instid0(SALU_CYCLE_1) | instskip(SKIP_2) | instid1(VALU_DEP_2)
	v_dual_add_nc_u32 v8, s28, v3 :: v_dual_bitop2_b32 v6, s29, v4 bitop3:0x54
	v_dual_add_nc_u32 v10, s28, v19 :: v_dual_lshlrev_b32 v18, 3, v29
	s_mov_b32 s0, s22
	v_dual_ashrrev_i32 v7, 31, v6 :: v_dual_ashrrev_i32 v9, 31, v8
	s_delay_alu instid0(VALU_DEP_2) | instskip(SKIP_2) | instid1(VALU_DEP_4)
	v_add_nc_u32_e32 v16, 16, v10
	v_cmp_neq_f64_e64 s28, s[12:13], 0
	v_cmp_neq_f64_e64 s22, s[10:11], 0
	v_mul_u64_e32 v[12:13], s[26:27], v[6:7]
	v_mul_u64_e32 v[14:15], s[2:3], v[8:9]
	v_dual_lshlrev_b32 v7, 3, v4 :: v_dual_ashrrev_i32 v11, 31, v10
	v_ashrrev_i32_e32 v17, 31, v16
	v_lshl_or_b32 v9, v3, 6, v18
	v_dual_add_nc_u32 v0, s29, v1 :: v_dual_lshlrev_b32 v32, 3, v1
	s_delay_alu instid0(VALU_DEP_4) | instskip(NEXT) | instid1(VALU_DEP_4)
	v_mul_u64_e32 v[2:3], s[0:1], v[10:11]
	v_mul_u64_e32 v[4:5], s[0:1], v[16:17]
	v_cmp_gt_i32_e64 s0, s4, v6
	v_add_nc_u32_e32 v31, 0x800, v9
	v_dual_mov_b32 v9, 0 :: v_dual_add_nc_u32 v6, 16, v0
	v_cmp_gt_i32_e64 s1, s4, v8
	v_cmp_le_i32_e32 vcc_lo, v10, v0
	v_cmp_gt_i32_e64 s2, s4, v0
	v_lshl_add_u32 v33, v19, 6, 0x800
	v_dual_mov_b32 v19, v9 :: v_dual_lshlrev_b32 v8, 3, v28
	s_cmp_gt_i32 s5, 0
	v_cmp_gt_i32_e64 s3, s4, v6
	s_cselect_b32 s30, -1, 0
	s_and_b32 s26, vcc_lo, s2
	v_cmp_le_i32_e32 vcc_lo, v10, v6
	v_cmp_le_i32_e64 s4, v16, v0
	v_lshl_or_b32 v30, v28, 8, v7
	v_dual_ashrrev_i32 v1, 31, v0 :: v_dual_ashrrev_i32 v7, 31, v6
	s_and_b32 s27, vcc_lo, s3
	v_cmp_le_i32_e32 vcc_lo, v16, v6
	s_and_b32 s4, s4, s2
	v_lshl_add_u64 v[8:9], v[12:13], 3, v[8:9]
	v_lshl_add_u64 v[10:11], v[14:15], 3, v[18:19]
	s_lshl_b64 s[8:9], s[8:9], 3
	s_delay_alu instid0(VALU_DEP_2) | instskip(NEXT) | instid1(VALU_DEP_2)
	v_add_nc_u64_e32 v[8:9], s[14:15], v[8:9]
	v_add_nc_u64_e32 v[10:11], s[18:19], v[10:11]
	s_and_b32 s18, s28, s30
	s_and_b32 s19, vcc_lo, s3
	s_lshl_b64 s[2:3], s[16:17], 3
	s_branch .LBB66_6
.LBB66_5:                               ;   in Loop: Header=BB66_6 Depth=1
	s_wait_xcnt 0x0
	s_or_b32 exec_lo, exec_lo, s14
	s_add_co_i32 s6, s6, 0x10000
	s_delay_alu instid0(SALU_CYCLE_1)
	s_cmp_lt_u32 s6, s23
	s_cbranch_scc0 .LBB66_33
.LBB66_6:                               ; =>This Loop Header: Depth=1
                                        ;     Child Loop BB66_9 Depth 2
	v_mov_b64_e32 v[18:19], 0
	v_mov_b64_e32 v[16:17], 0
	;; [unrolled: 1-line block ×4, first 2 shown]
	s_and_not1_b32 vcc_lo, exec_lo, s18
	s_cbranch_vccnz .LBB66_13
; %bb.7:                                ;   in Loop: Header=BB66_6 Depth=1
	v_mad_nc_u64_u32 v[20:21], s2, s6, v[8:9]
	v_mad_nc_u64_u32 v[22:23], s8, s6, v[10:11]
	v_mov_b64_e32 v[12:13], 0
	v_mov_b64_e32 v[14:15], 0
	;; [unrolled: 1-line block ×4, first 2 shown]
	s_mov_b32 s14, 0
	v_mad_u32 v21, s3, s6, v21
	v_mad_u32 v23, s9, s6, v23
	s_branch .LBB66_9
.LBB66_8:                               ;   in Loop: Header=BB66_9 Depth=2
	s_wait_xcnt 0x0
	s_or_b32 exec_lo, exec_lo, s15
	s_wait_loadcnt 0x0
	ds_store_b64 v31, v[26:27]
	s_wait_dscnt 0x0
	s_barrier_signal -1
	s_barrier_wait -1
	ds_load_b128 v[24:27], v33
	ds_load_2addr_b64 v[34:37], v32 offset1:16
	ds_load_b128 v[38:41], v33 offset:1024
	ds_load_b128 v[42:45], v33 offset:16
	;; [unrolled: 1-line block ×3, first 2 shown]
	v_add_nc_u64_e32 v[20:21], 64, v[20:21]
	v_add_nc_u64_e32 v[22:23], 64, v[22:23]
	s_add_co_i32 s14, s14, 8
	s_delay_alu instid0(SALU_CYCLE_1)
	s_cmp_lt_i32 s14, s5
	s_wait_dscnt 0x3
	v_fmac_f64_e32 v[18:19], v[34:35], v[24:25]
	v_fmac_f64_e32 v[16:17], v[36:37], v[24:25]
	s_wait_dscnt 0x2
	v_fmac_f64_e32 v[14:15], v[34:35], v[38:39]
	v_fmac_f64_e32 v[12:13], v[36:37], v[38:39]
	ds_load_2addr_b64 v[34:37], v32 offset0:32 offset1:48
	s_wait_dscnt 0x0
	v_fmac_f64_e32 v[18:19], v[34:35], v[26:27]
	v_fmac_f64_e32 v[16:17], v[36:37], v[26:27]
	v_fmac_f64_e32 v[14:15], v[34:35], v[40:41]
	v_fmac_f64_e32 v[12:13], v[36:37], v[40:41]
	ds_load_2addr_b64 v[24:27], v32 offset0:64 offset1:80
	s_wait_dscnt 0x0
	v_fmac_f64_e32 v[18:19], v[24:25], v[42:43]
	v_fmac_f64_e32 v[16:17], v[26:27], v[42:43]
	;; [unrolled: 6-line block ×3, first 2 shown]
	v_fmac_f64_e32 v[14:15], v[24:25], v[48:49]
	v_fmac_f64_e32 v[12:13], v[26:27], v[48:49]
	ds_load_b128 v[24:27], v33 offset:32
	ds_load_2addr_b64 v[34:37], v32 offset0:128 offset1:144
	ds_load_b128 v[38:41], v33 offset:1056
	ds_load_b128 v[42:45], v33 offset:48
	;; [unrolled: 1-line block ×3, first 2 shown]
	s_wait_dscnt 0x3
	v_fmac_f64_e32 v[18:19], v[34:35], v[24:25]
	v_fmac_f64_e32 v[16:17], v[36:37], v[24:25]
	s_wait_dscnt 0x2
	v_fmac_f64_e32 v[14:15], v[34:35], v[38:39]
	v_fmac_f64_e32 v[12:13], v[36:37], v[38:39]
	ds_load_2addr_b64 v[34:37], v32 offset0:160 offset1:176
	s_wait_dscnt 0x0
	v_fmac_f64_e32 v[18:19], v[34:35], v[26:27]
	v_fmac_f64_e32 v[16:17], v[36:37], v[26:27]
	;; [unrolled: 1-line block ×4, first 2 shown]
	ds_load_2addr_b64 v[24:27], v32 offset0:192 offset1:208
	s_wait_dscnt 0x0
	v_fmac_f64_e32 v[18:19], v[24:25], v[42:43]
	v_fmac_f64_e32 v[16:17], v[26:27], v[42:43]
	;; [unrolled: 1-line block ×4, first 2 shown]
	ds_load_2addr_b64 v[24:27], v32 offset0:224 offset1:240
	s_wait_dscnt 0x0
	s_barrier_signal -1
	s_barrier_wait -1
	v_fmac_f64_e32 v[18:19], v[24:25], v[44:45]
	v_fmac_f64_e32 v[16:17], v[26:27], v[44:45]
	;; [unrolled: 1-line block ×4, first 2 shown]
	s_cbranch_scc0 .LBB66_13
.LBB66_9:                               ;   Parent Loop BB66_6 Depth=1
                                        ; =>  This Inner Loop Header: Depth=2
	v_add_nc_u32_e32 v24, s14, v28
	s_delay_alu instid0(VALU_DEP_1) | instskip(SKIP_2) | instid1(SALU_CYCLE_1)
	v_cmp_gt_i32_e32 vcc_lo, s5, v24
	v_mov_b64_e32 v[24:25], 0
	s_and_b32 s16, s0, vcc_lo
	s_and_saveexec_b32 s15, s16
	s_cbranch_execz .LBB66_11
; %bb.10:                               ;   in Loop: Header=BB66_9 Depth=2
	global_load_b64 v[24:25], v[20:21], off
.LBB66_11:                              ;   in Loop: Header=BB66_9 Depth=2
	s_wait_xcnt 0x0
	s_or_b32 exec_lo, exec_lo, s15
	v_add_nc_u32_e32 v26, s14, v29
	s_wait_loadcnt 0x0
	ds_store_b64 v30, v[24:25]
	v_cmp_gt_i32_e32 vcc_lo, s5, v26
	v_mov_b64_e32 v[26:27], 0
	s_and_b32 s16, vcc_lo, s1
	s_delay_alu instid0(SALU_CYCLE_1)
	s_and_saveexec_b32 s15, s16
	s_cbranch_execz .LBB66_8
; %bb.12:                               ;   in Loop: Header=BB66_9 Depth=2
	global_load_b64 v[26:27], v[22:23], off
	s_branch .LBB66_8
.LBB66_13:                              ;   in Loop: Header=BB66_6 Depth=1
	s_mul_u64 s[14:15], s[24:25], s[6:7]
	s_delay_alu instid0(SALU_CYCLE_1) | instskip(NEXT) | instid1(SALU_CYCLE_1)
	s_lshl_b64 s[14:15], s[14:15], 3
	s_add_nc_u64 s[14:15], s[20:21], s[14:15]
	s_delay_alu instid0(SALU_CYCLE_1)
	v_lshl_add_u64 v[20:21], v[2:3], 3, s[14:15]
	s_and_saveexec_b32 s16, s26
	s_cbranch_execz .LBB66_17
; %bb.14:                               ;   in Loop: Header=BB66_6 Depth=1
	v_mul_f64_e32 v[18:19], s[12:13], v[18:19]
	s_delay_alu instid0(VALU_DEP_2)
	v_lshl_add_u64 v[22:23], v[0:1], 3, v[20:21]
	s_and_b32 vcc_lo, exec_lo, s22
	s_cbranch_vccz .LBB66_28
; %bb.15:                               ;   in Loop: Header=BB66_6 Depth=1
	global_load_b64 v[24:25], v[22:23], off
	s_wait_loadcnt 0x0
	v_fma_f64 v[24:25], s[10:11], v[24:25], v[18:19]
	global_store_b64 v[22:23], v[24:25], off
	s_cbranch_execnz .LBB66_17
.LBB66_16:                              ;   in Loop: Header=BB66_6 Depth=1
	global_store_b64 v[22:23], v[18:19], off
.LBB66_17:                              ;   in Loop: Header=BB66_6 Depth=1
	s_wait_xcnt 0x0
	s_or_b32 exec_lo, exec_lo, s16
	s_and_saveexec_b32 s16, s27
	s_cbranch_execz .LBB66_21
; %bb.18:                               ;   in Loop: Header=BB66_6 Depth=1
	s_delay_alu instid0(VALU_DEP_4)
	v_mul_f64_e32 v[16:17], s[12:13], v[16:17]
	v_lshl_add_u64 v[18:19], v[6:7], 3, v[20:21]
	s_and_not1_b32 vcc_lo, exec_lo, s22
	s_cbranch_vccnz .LBB66_29
; %bb.19:                               ;   in Loop: Header=BB66_6 Depth=1
	global_load_b64 v[20:21], v[18:19], off
	s_wait_loadcnt 0x0
	v_fma_f64 v[20:21], s[10:11], v[20:21], v[16:17]
	global_store_b64 v[18:19], v[20:21], off
	s_cbranch_execnz .LBB66_21
.LBB66_20:                              ;   in Loop: Header=BB66_6 Depth=1
	global_store_b64 v[18:19], v[16:17], off
.LBB66_21:                              ;   in Loop: Header=BB66_6 Depth=1
	s_wait_xcnt 0x0
	s_or_b32 exec_lo, exec_lo, s16
	v_lshl_add_u64 v[16:17], v[4:5], 3, s[14:15]
	s_and_saveexec_b32 s14, s4
	s_cbranch_execz .LBB66_25
; %bb.22:                               ;   in Loop: Header=BB66_6 Depth=1
	s_delay_alu instid0(VALU_DEP_4) | instskip(NEXT) | instid1(VALU_DEP_2)
	v_mul_f64_e32 v[14:15], s[12:13], v[14:15]
	v_lshl_add_u64 v[18:19], v[0:1], 3, v[16:17]
	s_and_not1_b32 vcc_lo, exec_lo, s22
	s_cbranch_vccnz .LBB66_30
; %bb.23:                               ;   in Loop: Header=BB66_6 Depth=1
	global_load_b64 v[20:21], v[18:19], off
	s_wait_loadcnt 0x0
	v_fma_f64 v[20:21], s[10:11], v[20:21], v[14:15]
	global_store_b64 v[18:19], v[20:21], off
	s_cbranch_execnz .LBB66_25
.LBB66_24:                              ;   in Loop: Header=BB66_6 Depth=1
	global_store_b64 v[18:19], v[14:15], off
.LBB66_25:                              ;   in Loop: Header=BB66_6 Depth=1
	s_wait_xcnt 0x0
	s_or_b32 exec_lo, exec_lo, s14
	s_and_saveexec_b32 s14, s19
	s_cbranch_execz .LBB66_5
; %bb.26:                               ;   in Loop: Header=BB66_6 Depth=1
	s_delay_alu instid0(VALU_DEP_3)
	v_mul_f64_e32 v[12:13], s[12:13], v[12:13]
	v_lshl_add_u64 v[14:15], v[6:7], 3, v[16:17]
	s_and_not1_b32 vcc_lo, exec_lo, s22
	s_cbranch_vccnz .LBB66_31
; %bb.27:                               ;   in Loop: Header=BB66_6 Depth=1
	global_load_b64 v[16:17], v[14:15], off
	s_wait_loadcnt 0x0
	v_fma_f64 v[16:17], s[10:11], v[16:17], v[12:13]
	global_store_b64 v[14:15], v[16:17], off
	s_cbranch_execnz .LBB66_5
	s_branch .LBB66_32
.LBB66_28:                              ;   in Loop: Header=BB66_6 Depth=1
	s_branch .LBB66_16
.LBB66_29:                              ;   in Loop: Header=BB66_6 Depth=1
	s_branch .LBB66_20
.LBB66_30:                              ;   in Loop: Header=BB66_6 Depth=1
	s_branch .LBB66_24
.LBB66_31:                              ;   in Loop: Header=BB66_6 Depth=1
.LBB66_32:                              ;   in Loop: Header=BB66_6 Depth=1
	global_store_b64 v[14:15], v[12:13], off
	s_branch .LBB66_5
.LBB66_33:
	s_endpgm
	.section	.rodata,"a",@progbits
	.p2align	6, 0x0
	.amdhsa_kernel _ZL29rocblas_internal_gemmt_kernelIiLi16ELi32ELi8ELc84ELc78ELc76ELb0ELb0EddPKdPdEviT_T9_T10_S3_lS5_S3_lS4_T11_S3_li
		.amdhsa_group_segment_fixed_size 4096
		.amdhsa_private_segment_fixed_size 0
		.amdhsa_kernarg_size 100
		.amdhsa_user_sgpr_count 2
		.amdhsa_user_sgpr_dispatch_ptr 0
		.amdhsa_user_sgpr_queue_ptr 0
		.amdhsa_user_sgpr_kernarg_segment_ptr 1
		.amdhsa_user_sgpr_dispatch_id 0
		.amdhsa_user_sgpr_kernarg_preload_length 0
		.amdhsa_user_sgpr_kernarg_preload_offset 0
		.amdhsa_user_sgpr_private_segment_size 0
		.amdhsa_wavefront_size32 1
		.amdhsa_uses_dynamic_stack 0
		.amdhsa_enable_private_segment 0
		.amdhsa_system_sgpr_workgroup_id_x 1
		.amdhsa_system_sgpr_workgroup_id_y 1
		.amdhsa_system_sgpr_workgroup_id_z 1
		.amdhsa_system_sgpr_workgroup_info 0
		.amdhsa_system_vgpr_workitem_id 1
		.amdhsa_next_free_vgpr 50
		.amdhsa_next_free_sgpr 34
		.amdhsa_named_barrier_count 0
		.amdhsa_reserve_vcc 1
		.amdhsa_float_round_mode_32 0
		.amdhsa_float_round_mode_16_64 0
		.amdhsa_float_denorm_mode_32 3
		.amdhsa_float_denorm_mode_16_64 3
		.amdhsa_fp16_overflow 0
		.amdhsa_memory_ordered 1
		.amdhsa_forward_progress 1
		.amdhsa_inst_pref_size 13
		.amdhsa_round_robin_scheduling 0
		.amdhsa_exception_fp_ieee_invalid_op 0
		.amdhsa_exception_fp_denorm_src 0
		.amdhsa_exception_fp_ieee_div_zero 0
		.amdhsa_exception_fp_ieee_overflow 0
		.amdhsa_exception_fp_ieee_underflow 0
		.amdhsa_exception_fp_ieee_inexact 0
		.amdhsa_exception_int_div_zero 0
	.end_amdhsa_kernel
	.section	.text._ZL29rocblas_internal_gemmt_kernelIiLi16ELi32ELi8ELc84ELc78ELc76ELb0ELb0EddPKdPdEviT_T9_T10_S3_lS5_S3_lS4_T11_S3_li,"axG",@progbits,_ZL29rocblas_internal_gemmt_kernelIiLi16ELi32ELi8ELc84ELc78ELc76ELb0ELb0EddPKdPdEviT_T9_T10_S3_lS5_S3_lS4_T11_S3_li,comdat
.Lfunc_end66:
	.size	_ZL29rocblas_internal_gemmt_kernelIiLi16ELi32ELi8ELc84ELc78ELc76ELb0ELb0EddPKdPdEviT_T9_T10_S3_lS5_S3_lS4_T11_S3_li, .Lfunc_end66-_ZL29rocblas_internal_gemmt_kernelIiLi16ELi32ELi8ELc84ELc78ELc76ELb0ELb0EddPKdPdEviT_T9_T10_S3_lS5_S3_lS4_T11_S3_li
                                        ; -- End function
	.set _ZL29rocblas_internal_gemmt_kernelIiLi16ELi32ELi8ELc84ELc78ELc76ELb0ELb0EddPKdPdEviT_T9_T10_S3_lS5_S3_lS4_T11_S3_li.num_vgpr, 50
	.set _ZL29rocblas_internal_gemmt_kernelIiLi16ELi32ELi8ELc84ELc78ELc76ELb0ELb0EddPKdPdEviT_T9_T10_S3_lS5_S3_lS4_T11_S3_li.num_agpr, 0
	.set _ZL29rocblas_internal_gemmt_kernelIiLi16ELi32ELi8ELc84ELc78ELc76ELb0ELb0EddPKdPdEviT_T9_T10_S3_lS5_S3_lS4_T11_S3_li.numbered_sgpr, 34
	.set _ZL29rocblas_internal_gemmt_kernelIiLi16ELi32ELi8ELc84ELc78ELc76ELb0ELb0EddPKdPdEviT_T9_T10_S3_lS5_S3_lS4_T11_S3_li.num_named_barrier, 0
	.set _ZL29rocblas_internal_gemmt_kernelIiLi16ELi32ELi8ELc84ELc78ELc76ELb0ELb0EddPKdPdEviT_T9_T10_S3_lS5_S3_lS4_T11_S3_li.private_seg_size, 0
	.set _ZL29rocblas_internal_gemmt_kernelIiLi16ELi32ELi8ELc84ELc78ELc76ELb0ELb0EddPKdPdEviT_T9_T10_S3_lS5_S3_lS4_T11_S3_li.uses_vcc, 1
	.set _ZL29rocblas_internal_gemmt_kernelIiLi16ELi32ELi8ELc84ELc78ELc76ELb0ELb0EddPKdPdEviT_T9_T10_S3_lS5_S3_lS4_T11_S3_li.uses_flat_scratch, 0
	.set _ZL29rocblas_internal_gemmt_kernelIiLi16ELi32ELi8ELc84ELc78ELc76ELb0ELb0EddPKdPdEviT_T9_T10_S3_lS5_S3_lS4_T11_S3_li.has_dyn_sized_stack, 0
	.set _ZL29rocblas_internal_gemmt_kernelIiLi16ELi32ELi8ELc84ELc78ELc76ELb0ELb0EddPKdPdEviT_T9_T10_S3_lS5_S3_lS4_T11_S3_li.has_recursion, 0
	.set _ZL29rocblas_internal_gemmt_kernelIiLi16ELi32ELi8ELc84ELc78ELc76ELb0ELb0EddPKdPdEviT_T9_T10_S3_lS5_S3_lS4_T11_S3_li.has_indirect_call, 0
	.section	.AMDGPU.csdata,"",@progbits
; Kernel info:
; codeLenInByte = 1636
; TotalNumSgprs: 36
; NumVgprs: 50
; ScratchSize: 0
; MemoryBound: 0
; FloatMode: 240
; IeeeMode: 1
; LDSByteSize: 4096 bytes/workgroup (compile time only)
; SGPRBlocks: 0
; VGPRBlocks: 3
; NumSGPRsForWavesPerEU: 36
; NumVGPRsForWavesPerEU: 50
; NamedBarCnt: 0
; Occupancy: 16
; WaveLimiterHint : 0
; COMPUTE_PGM_RSRC2:SCRATCH_EN: 0
; COMPUTE_PGM_RSRC2:USER_SGPR: 2
; COMPUTE_PGM_RSRC2:TRAP_HANDLER: 0
; COMPUTE_PGM_RSRC2:TGID_X_EN: 1
; COMPUTE_PGM_RSRC2:TGID_Y_EN: 1
; COMPUTE_PGM_RSRC2:TGID_Z_EN: 1
; COMPUTE_PGM_RSRC2:TIDIG_COMP_CNT: 1
	.section	.text._ZL29rocblas_internal_gemmt_kernelIiLi16ELi32ELi8ELc84ELc84ELc76ELb0ELb0EddPKdPdEviT_T9_T10_S3_lS5_S3_lS4_T11_S3_li,"axG",@progbits,_ZL29rocblas_internal_gemmt_kernelIiLi16ELi32ELi8ELc84ELc84ELc76ELb0ELb0EddPKdPdEviT_T9_T10_S3_lS5_S3_lS4_T11_S3_li,comdat
	.globl	_ZL29rocblas_internal_gemmt_kernelIiLi16ELi32ELi8ELc84ELc84ELc76ELb0ELb0EddPKdPdEviT_T9_T10_S3_lS5_S3_lS4_T11_S3_li ; -- Begin function _ZL29rocblas_internal_gemmt_kernelIiLi16ELi32ELi8ELc84ELc84ELc76ELb0ELb0EddPKdPdEviT_T9_T10_S3_lS5_S3_lS4_T11_S3_li
	.p2align	8
	.type	_ZL29rocblas_internal_gemmt_kernelIiLi16ELi32ELi8ELc84ELc84ELc76ELb0ELb0EddPKdPdEviT_T9_T10_S3_lS5_S3_lS4_T11_S3_li,@function
_ZL29rocblas_internal_gemmt_kernelIiLi16ELi32ELi8ELc84ELc84ELc76ELb0ELb0EddPKdPdEviT_T9_T10_S3_lS5_S3_lS4_T11_S3_li: ; @_ZL29rocblas_internal_gemmt_kernelIiLi16ELi32ELi8ELc84ELc84ELc76ELb0ELb0EddPKdPdEviT_T9_T10_S3_lS5_S3_lS4_T11_S3_li
; %bb.0:
	s_clause 0x2
	s_load_b128 s[8:11], s[0:1], 0x38
	s_load_b64 s[4:5], s[0:1], 0x0
	s_load_b128 s[12:15], s[0:1], 0x8
	s_wait_kmcnt 0x0
	v_cmp_neq_f64_e64 s2, s[10:11], 1.0
	s_and_b32 vcc_lo, exec_lo, s2
	s_cbranch_vccnz .LBB67_2
; %bb.1:
	v_cmp_neq_f64_e64 s2, s[12:13], 0
	s_cmp_lg_u32 s5, 0
	s_cselect_b32 s3, -1, 0
	s_delay_alu instid0(SALU_CYCLE_1)
	s_and_b32 s2, s3, s2
.LBB67_2:
	s_delay_alu instid0(SALU_CYCLE_1)
	s_and_not1_b32 vcc_lo, exec_lo, s2
	s_cbranch_vccnz .LBB67_33
; %bb.3:
	s_load_b32 s23, s[0:1], 0x60
	s_bfe_u32 s2, ttmp6, 0x40014
	s_lshr_b32 s3, ttmp7, 16
	s_add_co_i32 s2, s2, 1
	s_bfe_u32 s6, ttmp6, 0x40008
	s_mul_i32 s2, s3, s2
	s_getreg_b32 s28, hwreg(HW_REG_IB_STS2, 6, 4)
	s_add_co_i32 s6, s6, s2
	s_cmp_eq_u32 s28, 0
	s_mov_b32 s7, 0
	s_cselect_b32 s6, s3, s6
	s_wait_kmcnt 0x0
	s_cmp_ge_u32 s6, s23
	s_cbranch_scc1 .LBB67_33
; %bb.4:
	s_clause 0x3
	s_load_b32 s2, s[0:1], 0x18
	s_load_b32 s26, s[0:1], 0x30
	s_load_b96 s[20:22], s[0:1], 0x48
	s_load_b128 s[16:19], s[0:1], 0x20
	v_and_b32_e32 v9, 0x3ff, v0
	v_bfe_u32 v10, v0, 10, 10
	s_load_b64 s[24:25], s[0:1], 0x58
	s_wait_xcnt 0x0
	s_bfe_u32 s1, ttmp6, 0x4000c
	s_bfe_u32 s3, ttmp6, 0x40010
	s_and_b32 s30, ttmp7, 0xffff
	s_add_co_i32 s1, s1, 1
	s_add_co_i32 s3, s3, 1
	v_lshl_add_u32 v1, v10, 4, v9
	s_and_b32 s0, ttmp6, 15
	s_mul_i32 s1, ttmp9, s1
	s_mul_i32 s31, s30, s3
	s_bfe_u32 s33, ttmp6, 0x40004
	s_add_co_i32 s0, s0, s1
	s_add_co_i32 s33, s33, s31
	v_dual_lshrrev_b32 v5, 3, v1 :: v_dual_bitop2_b32 v4, 31, v1 bitop3:0x40
	s_wait_kmcnt 0x0
	s_ashr_i32 s3, s2, 31
	s_ashr_i32 s27, s26, 31
	;; [unrolled: 1-line block ×3, first 2 shown]
	s_cmp_eq_u32 s28, 0
	v_dual_lshrrev_b32 v30, 5, v1 :: v_dual_bitop2_b32 v0, 7, v0 bitop3:0x40
	s_cselect_b32 s0, ttmp9, s0
	s_cselect_b32 s1, s30, s33
	s_lshl_b32 s30, s0, 5
	s_delay_alu instid0(SALU_CYCLE_1) | instskip(SKIP_2) | instid1(VALU_DEP_1)
	v_dual_mov_b32 v11, 0 :: v_dual_bitop2_b32 v2, s30, v4 bitop3:0x54
	s_lshl_b32 s0, s1, 5
	s_mov_b32 s28, s22
	v_dual_mov_b32 v1, v11 :: v_dual_add_nc_u32 v12, s0, v5
	v_add_nc_u32_e32 v14, s0, v10
	v_ashrrev_i32_e32 v3, 31, v2
	v_cmp_neq_f64_e64 s31, s[12:13], 0
	v_cmp_gt_i32_e64 s0, s4, v2
	v_mul_u64_e32 v[18:19], s[26:27], v[0:1]
	v_dual_add_nc_u32 v20, 16, v14 :: v_dual_lshlrev_b32 v1, 3, v0
	v_mul_u64_e32 v[16:17], s[2:3], v[2:3]
	v_dual_lshlrev_b32 v3, 3, v4 :: v_dual_ashrrev_i32 v15, 31, v14
	s_delay_alu instid0(VALU_DEP_3) | instskip(NEXT) | instid1(VALU_DEP_4)
	v_dual_ashrrev_i32 v21, 31, v20 :: v_dual_add_nc_u32 v2, s30, v9
	v_lshl_or_b32 v8, v5, 6, v1
	v_cmp_neq_f64_e64 s22, s[10:11], 0
	s_delay_alu instid0(VALU_DEP_4) | instskip(NEXT) | instid1(VALU_DEP_4)
	v_mul_u64_e32 v[4:5], s[28:29], v[14:15]
	v_mul_u64_e32 v[6:7], s[28:29], v[20:21]
	v_ashrrev_i32_e32 v13, 31, v12
	v_cmp_gt_i32_e64 s1, s4, v12
	v_add_nc_u32_e32 v31, 0x800, v8
	v_dual_add_nc_u32 v8, 16, v2 :: v_dual_lshlrev_b32 v32, 3, v9
	s_delay_alu instid0(VALU_DEP_4)
	v_lshlrev_b64_e32 v[12:13], 3, v[12:13]
	v_lshl_add_u32 v33, v10, 6, 0x800
	v_lshlrev_b32_e32 v10, 3, v30
	v_cmp_le_i32_e32 vcc_lo, v14, v2
	v_cmp_gt_i32_e64 s2, s4, v2
	v_cmp_le_i32_e64 s3, v14, v8
	v_cmp_gt_i32_e64 s4, s4, v8
	s_cmp_gt_i32 s5, 0
	v_lshl_or_b32 v1, v30, 8, v3
	s_cselect_b32 s33, -1, 0
	s_and_b32 s28, vcc_lo, s2
	s_and_b32 s29, s3, s4
	v_cmp_le_i32_e32 vcc_lo, v20, v2
	v_cmp_le_i32_e64 s3, v20, v8
	v_dual_ashrrev_i32 v3, 31, v2 :: v_dual_ashrrev_i32 v9, 31, v8
	v_lshl_add_u64 v[12:13], v[18:19], 3, v[12:13]
	s_and_b32 s30, vcc_lo, s2
	v_lshl_add_u64 v[10:11], v[16:17], 3, v[10:11]
	s_and_b32 s4, s3, s4
	s_lshl_b64 s[2:3], s[16:17], 3
	v_add_nc_u64_e32 v[12:13], s[18:19], v[12:13]
	s_and_b32 s18, s31, s33
	v_add_nc_u64_e32 v[10:11], s[14:15], v[10:11]
	s_lshl_b64 s[8:9], s[8:9], 3
	s_lshl_b64 s[14:15], s[26:27], 6
	s_branch .LBB67_6
.LBB67_5:                               ;   in Loop: Header=BB67_6 Depth=1
	s_wait_xcnt 0x0
	s_or_b32 exec_lo, exec_lo, s16
	s_add_co_i32 s6, s6, 0x10000
	s_delay_alu instid0(SALU_CYCLE_1)
	s_cmp_lt_u32 s6, s23
	s_cbranch_scc0 .LBB67_33
.LBB67_6:                               ; =>This Loop Header: Depth=1
                                        ;     Child Loop BB67_9 Depth 2
	v_mov_b64_e32 v[20:21], 0
	v_mov_b64_e32 v[18:19], 0
	;; [unrolled: 1-line block ×4, first 2 shown]
	s_and_not1_b32 vcc_lo, exec_lo, s18
	s_cbranch_vccnz .LBB67_13
; %bb.7:                                ;   in Loop: Header=BB67_6 Depth=1
	v_mad_nc_u64_u32 v[22:23], s2, s6, v[10:11]
	v_mad_nc_u64_u32 v[24:25], s8, s6, v[12:13]
	v_mov_b64_e32 v[14:15], 0
	v_mov_b64_e32 v[16:17], 0
	;; [unrolled: 1-line block ×4, first 2 shown]
	s_mov_b32 s16, 0
	v_mad_u32 v23, s3, s6, v23
	v_mad_u32 v25, s9, s6, v25
	s_branch .LBB67_9
.LBB67_8:                               ;   in Loop: Header=BB67_9 Depth=2
	s_wait_xcnt 0x0
	s_or_b32 exec_lo, exec_lo, s17
	s_wait_loadcnt 0x0
	ds_store_b64 v31, v[28:29]
	s_wait_dscnt 0x0
	s_barrier_signal -1
	s_barrier_wait -1
	ds_load_b128 v[26:29], v33
	ds_load_2addr_b64 v[34:37], v32 offset1:16
	ds_load_b128 v[38:41], v33 offset:1024
	ds_load_b128 v[42:45], v33 offset:16
	;; [unrolled: 1-line block ×3, first 2 shown]
	v_add_nc_u64_e32 v[22:23], 64, v[22:23]
	v_add_nc_u64_e32 v[24:25], s[14:15], v[24:25]
	s_add_co_i32 s16, s16, 8
	s_delay_alu instid0(SALU_CYCLE_1)
	s_cmp_lt_i32 s16, s5
	s_wait_dscnt 0x3
	v_fmac_f64_e32 v[20:21], v[34:35], v[26:27]
	v_fmac_f64_e32 v[18:19], v[36:37], v[26:27]
	s_wait_dscnt 0x2
	v_fmac_f64_e32 v[16:17], v[34:35], v[38:39]
	v_fmac_f64_e32 v[14:15], v[36:37], v[38:39]
	ds_load_2addr_b64 v[34:37], v32 offset0:32 offset1:48
	s_wait_dscnt 0x0
	v_fmac_f64_e32 v[20:21], v[34:35], v[28:29]
	v_fmac_f64_e32 v[18:19], v[36:37], v[28:29]
	v_fmac_f64_e32 v[16:17], v[34:35], v[40:41]
	v_fmac_f64_e32 v[14:15], v[36:37], v[40:41]
	ds_load_2addr_b64 v[26:29], v32 offset0:64 offset1:80
	s_wait_dscnt 0x0
	v_fmac_f64_e32 v[20:21], v[26:27], v[42:43]
	v_fmac_f64_e32 v[18:19], v[28:29], v[42:43]
	;; [unrolled: 6-line block ×3, first 2 shown]
	v_fmac_f64_e32 v[16:17], v[26:27], v[48:49]
	v_fmac_f64_e32 v[14:15], v[28:29], v[48:49]
	ds_load_b128 v[26:29], v33 offset:32
	ds_load_2addr_b64 v[34:37], v32 offset0:128 offset1:144
	ds_load_b128 v[38:41], v33 offset:1056
	ds_load_b128 v[42:45], v33 offset:48
	;; [unrolled: 1-line block ×3, first 2 shown]
	s_wait_dscnt 0x3
	v_fmac_f64_e32 v[20:21], v[34:35], v[26:27]
	v_fmac_f64_e32 v[18:19], v[36:37], v[26:27]
	s_wait_dscnt 0x2
	v_fmac_f64_e32 v[16:17], v[34:35], v[38:39]
	v_fmac_f64_e32 v[14:15], v[36:37], v[38:39]
	ds_load_2addr_b64 v[34:37], v32 offset0:160 offset1:176
	s_wait_dscnt 0x0
	v_fmac_f64_e32 v[20:21], v[34:35], v[28:29]
	v_fmac_f64_e32 v[18:19], v[36:37], v[28:29]
	;; [unrolled: 1-line block ×4, first 2 shown]
	ds_load_2addr_b64 v[26:29], v32 offset0:192 offset1:208
	s_wait_dscnt 0x0
	v_fmac_f64_e32 v[20:21], v[26:27], v[42:43]
	v_fmac_f64_e32 v[18:19], v[28:29], v[42:43]
	;; [unrolled: 1-line block ×4, first 2 shown]
	ds_load_2addr_b64 v[26:29], v32 offset0:224 offset1:240
	s_wait_dscnt 0x0
	s_barrier_signal -1
	s_barrier_wait -1
	v_fmac_f64_e32 v[20:21], v[26:27], v[44:45]
	v_fmac_f64_e32 v[18:19], v[28:29], v[44:45]
	v_fmac_f64_e32 v[16:17], v[26:27], v[48:49]
	v_fmac_f64_e32 v[14:15], v[28:29], v[48:49]
	s_cbranch_scc0 .LBB67_13
.LBB67_9:                               ;   Parent Loop BB67_6 Depth=1
                                        ; =>  This Inner Loop Header: Depth=2
	v_add_nc_u32_e32 v26, s16, v30
	s_delay_alu instid0(VALU_DEP_1) | instskip(SKIP_2) | instid1(SALU_CYCLE_1)
	v_cmp_gt_i32_e32 vcc_lo, s5, v26
	v_mov_b64_e32 v[26:27], 0
	s_and_b32 s19, s0, vcc_lo
	s_and_saveexec_b32 s17, s19
	s_cbranch_execz .LBB67_11
; %bb.10:                               ;   in Loop: Header=BB67_9 Depth=2
	global_load_b64 v[26:27], v[22:23], off
.LBB67_11:                              ;   in Loop: Header=BB67_9 Depth=2
	s_wait_xcnt 0x0
	s_or_b32 exec_lo, exec_lo, s17
	v_add_nc_u32_e32 v28, s16, v0
	s_wait_loadcnt 0x0
	ds_store_b64 v1, v[26:27]
	v_cmp_gt_i32_e32 vcc_lo, s5, v28
	v_mov_b64_e32 v[28:29], 0
	s_and_b32 s19, vcc_lo, s1
	s_delay_alu instid0(SALU_CYCLE_1)
	s_and_saveexec_b32 s17, s19
	s_cbranch_execz .LBB67_8
; %bb.12:                               ;   in Loop: Header=BB67_9 Depth=2
	global_load_b64 v[28:29], v[24:25], off
	s_branch .LBB67_8
.LBB67_13:                              ;   in Loop: Header=BB67_6 Depth=1
	s_mul_u64 s[16:17], s[24:25], s[6:7]
	s_delay_alu instid0(SALU_CYCLE_1) | instskip(NEXT) | instid1(SALU_CYCLE_1)
	s_lshl_b64 s[16:17], s[16:17], 3
	s_add_nc_u64 s[16:17], s[20:21], s[16:17]
	s_delay_alu instid0(SALU_CYCLE_1)
	v_lshl_add_u64 v[22:23], v[4:5], 3, s[16:17]
	s_and_saveexec_b32 s19, s28
	s_cbranch_execz .LBB67_17
; %bb.14:                               ;   in Loop: Header=BB67_6 Depth=1
	v_mul_f64_e32 v[20:21], s[12:13], v[20:21]
	s_delay_alu instid0(VALU_DEP_2)
	v_lshl_add_u64 v[24:25], v[2:3], 3, v[22:23]
	s_and_b32 vcc_lo, exec_lo, s22
	s_cbranch_vccz .LBB67_28
; %bb.15:                               ;   in Loop: Header=BB67_6 Depth=1
	global_load_b64 v[26:27], v[24:25], off
	s_wait_loadcnt 0x0
	v_fma_f64 v[26:27], s[10:11], v[26:27], v[20:21]
	global_store_b64 v[24:25], v[26:27], off
	s_cbranch_execnz .LBB67_17
.LBB67_16:                              ;   in Loop: Header=BB67_6 Depth=1
	global_store_b64 v[24:25], v[20:21], off
.LBB67_17:                              ;   in Loop: Header=BB67_6 Depth=1
	s_wait_xcnt 0x0
	s_or_b32 exec_lo, exec_lo, s19
	s_and_saveexec_b32 s19, s29
	s_cbranch_execz .LBB67_21
; %bb.18:                               ;   in Loop: Header=BB67_6 Depth=1
	s_delay_alu instid0(VALU_DEP_4)
	v_mul_f64_e32 v[18:19], s[12:13], v[18:19]
	v_lshl_add_u64 v[20:21], v[8:9], 3, v[22:23]
	s_and_not1_b32 vcc_lo, exec_lo, s22
	s_cbranch_vccnz .LBB67_29
; %bb.19:                               ;   in Loop: Header=BB67_6 Depth=1
	global_load_b64 v[22:23], v[20:21], off
	s_wait_loadcnt 0x0
	v_fma_f64 v[22:23], s[10:11], v[22:23], v[18:19]
	global_store_b64 v[20:21], v[22:23], off
	s_cbranch_execnz .LBB67_21
.LBB67_20:                              ;   in Loop: Header=BB67_6 Depth=1
	global_store_b64 v[20:21], v[18:19], off
.LBB67_21:                              ;   in Loop: Header=BB67_6 Depth=1
	s_wait_xcnt 0x0
	s_or_b32 exec_lo, exec_lo, s19
	v_lshl_add_u64 v[18:19], v[6:7], 3, s[16:17]
	s_and_saveexec_b32 s16, s30
	s_cbranch_execz .LBB67_25
; %bb.22:                               ;   in Loop: Header=BB67_6 Depth=1
	s_delay_alu instid0(VALU_DEP_4) | instskip(NEXT) | instid1(VALU_DEP_2)
	v_mul_f64_e32 v[16:17], s[12:13], v[16:17]
	v_lshl_add_u64 v[20:21], v[2:3], 3, v[18:19]
	s_and_not1_b32 vcc_lo, exec_lo, s22
	s_cbranch_vccnz .LBB67_30
; %bb.23:                               ;   in Loop: Header=BB67_6 Depth=1
	global_load_b64 v[22:23], v[20:21], off
	s_wait_loadcnt 0x0
	v_fma_f64 v[22:23], s[10:11], v[22:23], v[16:17]
	global_store_b64 v[20:21], v[22:23], off
	s_cbranch_execnz .LBB67_25
.LBB67_24:                              ;   in Loop: Header=BB67_6 Depth=1
	global_store_b64 v[20:21], v[16:17], off
.LBB67_25:                              ;   in Loop: Header=BB67_6 Depth=1
	s_wait_xcnt 0x0
	s_or_b32 exec_lo, exec_lo, s16
	s_and_saveexec_b32 s16, s4
	s_cbranch_execz .LBB67_5
; %bb.26:                               ;   in Loop: Header=BB67_6 Depth=1
	s_delay_alu instid0(VALU_DEP_3)
	v_mul_f64_e32 v[14:15], s[12:13], v[14:15]
	v_lshl_add_u64 v[16:17], v[8:9], 3, v[18:19]
	s_and_not1_b32 vcc_lo, exec_lo, s22
	s_cbranch_vccnz .LBB67_31
; %bb.27:                               ;   in Loop: Header=BB67_6 Depth=1
	global_load_b64 v[18:19], v[16:17], off
	s_wait_loadcnt 0x0
	v_fma_f64 v[18:19], s[10:11], v[18:19], v[14:15]
	global_store_b64 v[16:17], v[18:19], off
	s_cbranch_execnz .LBB67_5
	s_branch .LBB67_32
.LBB67_28:                              ;   in Loop: Header=BB67_6 Depth=1
	s_branch .LBB67_16
.LBB67_29:                              ;   in Loop: Header=BB67_6 Depth=1
	s_branch .LBB67_20
.LBB67_30:                              ;   in Loop: Header=BB67_6 Depth=1
	s_branch .LBB67_24
.LBB67_31:                              ;   in Loop: Header=BB67_6 Depth=1
.LBB67_32:                              ;   in Loop: Header=BB67_6 Depth=1
	global_store_b64 v[16:17], v[14:15], off
	s_branch .LBB67_5
.LBB67_33:
	s_endpgm
	.section	.rodata,"a",@progbits
	.p2align	6, 0x0
	.amdhsa_kernel _ZL29rocblas_internal_gemmt_kernelIiLi16ELi32ELi8ELc84ELc84ELc76ELb0ELb0EddPKdPdEviT_T9_T10_S3_lS5_S3_lS4_T11_S3_li
		.amdhsa_group_segment_fixed_size 4096
		.amdhsa_private_segment_fixed_size 0
		.amdhsa_kernarg_size 100
		.amdhsa_user_sgpr_count 2
		.amdhsa_user_sgpr_dispatch_ptr 0
		.amdhsa_user_sgpr_queue_ptr 0
		.amdhsa_user_sgpr_kernarg_segment_ptr 1
		.amdhsa_user_sgpr_dispatch_id 0
		.amdhsa_user_sgpr_kernarg_preload_length 0
		.amdhsa_user_sgpr_kernarg_preload_offset 0
		.amdhsa_user_sgpr_private_segment_size 0
		.amdhsa_wavefront_size32 1
		.amdhsa_uses_dynamic_stack 0
		.amdhsa_enable_private_segment 0
		.amdhsa_system_sgpr_workgroup_id_x 1
		.amdhsa_system_sgpr_workgroup_id_y 1
		.amdhsa_system_sgpr_workgroup_id_z 1
		.amdhsa_system_sgpr_workgroup_info 0
		.amdhsa_system_vgpr_workitem_id 1
		.amdhsa_next_free_vgpr 50
		.amdhsa_next_free_sgpr 34
		.amdhsa_named_barrier_count 0
		.amdhsa_reserve_vcc 1
		.amdhsa_float_round_mode_32 0
		.amdhsa_float_round_mode_16_64 0
		.amdhsa_float_denorm_mode_32 3
		.amdhsa_float_denorm_mode_16_64 3
		.amdhsa_fp16_overflow 0
		.amdhsa_memory_ordered 1
		.amdhsa_forward_progress 1
		.amdhsa_inst_pref_size 13
		.amdhsa_round_robin_scheduling 0
		.amdhsa_exception_fp_ieee_invalid_op 0
		.amdhsa_exception_fp_denorm_src 0
		.amdhsa_exception_fp_ieee_div_zero 0
		.amdhsa_exception_fp_ieee_overflow 0
		.amdhsa_exception_fp_ieee_underflow 0
		.amdhsa_exception_fp_ieee_inexact 0
		.amdhsa_exception_int_div_zero 0
	.end_amdhsa_kernel
	.section	.text._ZL29rocblas_internal_gemmt_kernelIiLi16ELi32ELi8ELc84ELc84ELc76ELb0ELb0EddPKdPdEviT_T9_T10_S3_lS5_S3_lS4_T11_S3_li,"axG",@progbits,_ZL29rocblas_internal_gemmt_kernelIiLi16ELi32ELi8ELc84ELc84ELc76ELb0ELb0EddPKdPdEviT_T9_T10_S3_lS5_S3_lS4_T11_S3_li,comdat
.Lfunc_end67:
	.size	_ZL29rocblas_internal_gemmt_kernelIiLi16ELi32ELi8ELc84ELc84ELc76ELb0ELb0EddPKdPdEviT_T9_T10_S3_lS5_S3_lS4_T11_S3_li, .Lfunc_end67-_ZL29rocblas_internal_gemmt_kernelIiLi16ELi32ELi8ELc84ELc84ELc76ELb0ELb0EddPKdPdEviT_T9_T10_S3_lS5_S3_lS4_T11_S3_li
                                        ; -- End function
	.set _ZL29rocblas_internal_gemmt_kernelIiLi16ELi32ELi8ELc84ELc84ELc76ELb0ELb0EddPKdPdEviT_T9_T10_S3_lS5_S3_lS4_T11_S3_li.num_vgpr, 50
	.set _ZL29rocblas_internal_gemmt_kernelIiLi16ELi32ELi8ELc84ELc84ELc76ELb0ELb0EddPKdPdEviT_T9_T10_S3_lS5_S3_lS4_T11_S3_li.num_agpr, 0
	.set _ZL29rocblas_internal_gemmt_kernelIiLi16ELi32ELi8ELc84ELc84ELc76ELb0ELb0EddPKdPdEviT_T9_T10_S3_lS5_S3_lS4_T11_S3_li.numbered_sgpr, 34
	.set _ZL29rocblas_internal_gemmt_kernelIiLi16ELi32ELi8ELc84ELc84ELc76ELb0ELb0EddPKdPdEviT_T9_T10_S3_lS5_S3_lS4_T11_S3_li.num_named_barrier, 0
	.set _ZL29rocblas_internal_gemmt_kernelIiLi16ELi32ELi8ELc84ELc84ELc76ELb0ELb0EddPKdPdEviT_T9_T10_S3_lS5_S3_lS4_T11_S3_li.private_seg_size, 0
	.set _ZL29rocblas_internal_gemmt_kernelIiLi16ELi32ELi8ELc84ELc84ELc76ELb0ELb0EddPKdPdEviT_T9_T10_S3_lS5_S3_lS4_T11_S3_li.uses_vcc, 1
	.set _ZL29rocblas_internal_gemmt_kernelIiLi16ELi32ELi8ELc84ELc84ELc76ELb0ELb0EddPKdPdEviT_T9_T10_S3_lS5_S3_lS4_T11_S3_li.uses_flat_scratch, 0
	.set _ZL29rocblas_internal_gemmt_kernelIiLi16ELi32ELi8ELc84ELc84ELc76ELb0ELb0EddPKdPdEviT_T9_T10_S3_lS5_S3_lS4_T11_S3_li.has_dyn_sized_stack, 0
	.set _ZL29rocblas_internal_gemmt_kernelIiLi16ELi32ELi8ELc84ELc84ELc76ELb0ELb0EddPKdPdEviT_T9_T10_S3_lS5_S3_lS4_T11_S3_li.has_recursion, 0
	.set _ZL29rocblas_internal_gemmt_kernelIiLi16ELi32ELi8ELc84ELc84ELc76ELb0ELb0EddPKdPdEviT_T9_T10_S3_lS5_S3_lS4_T11_S3_li.has_indirect_call, 0
	.section	.AMDGPU.csdata,"",@progbits
; Kernel info:
; codeLenInByte = 1648
; TotalNumSgprs: 36
; NumVgprs: 50
; ScratchSize: 0
; MemoryBound: 0
; FloatMode: 240
; IeeeMode: 1
; LDSByteSize: 4096 bytes/workgroup (compile time only)
; SGPRBlocks: 0
; VGPRBlocks: 3
; NumSGPRsForWavesPerEU: 36
; NumVGPRsForWavesPerEU: 50
; NamedBarCnt: 0
; Occupancy: 16
; WaveLimiterHint : 0
; COMPUTE_PGM_RSRC2:SCRATCH_EN: 0
; COMPUTE_PGM_RSRC2:USER_SGPR: 2
; COMPUTE_PGM_RSRC2:TRAP_HANDLER: 0
; COMPUTE_PGM_RSRC2:TGID_X_EN: 1
; COMPUTE_PGM_RSRC2:TGID_Y_EN: 1
; COMPUTE_PGM_RSRC2:TGID_Z_EN: 1
; COMPUTE_PGM_RSRC2:TIDIG_COMP_CNT: 1
	.section	.text._ZL29rocblas_internal_gemmt_kernelIiLi16ELi32ELi8ELc84ELc67ELc76ELb0ELb0EddPKdPdEviT_T9_T10_S3_lS5_S3_lS4_T11_S3_li,"axG",@progbits,_ZL29rocblas_internal_gemmt_kernelIiLi16ELi32ELi8ELc84ELc67ELc76ELb0ELb0EddPKdPdEviT_T9_T10_S3_lS5_S3_lS4_T11_S3_li,comdat
	.globl	_ZL29rocblas_internal_gemmt_kernelIiLi16ELi32ELi8ELc84ELc67ELc76ELb0ELb0EddPKdPdEviT_T9_T10_S3_lS5_S3_lS4_T11_S3_li ; -- Begin function _ZL29rocblas_internal_gemmt_kernelIiLi16ELi32ELi8ELc84ELc67ELc76ELb0ELb0EddPKdPdEviT_T9_T10_S3_lS5_S3_lS4_T11_S3_li
	.p2align	8
	.type	_ZL29rocblas_internal_gemmt_kernelIiLi16ELi32ELi8ELc84ELc67ELc76ELb0ELb0EddPKdPdEviT_T9_T10_S3_lS5_S3_lS4_T11_S3_li,@function
_ZL29rocblas_internal_gemmt_kernelIiLi16ELi32ELi8ELc84ELc67ELc76ELb0ELb0EddPKdPdEviT_T9_T10_S3_lS5_S3_lS4_T11_S3_li: ; @_ZL29rocblas_internal_gemmt_kernelIiLi16ELi32ELi8ELc84ELc67ELc76ELb0ELb0EddPKdPdEviT_T9_T10_S3_lS5_S3_lS4_T11_S3_li
; %bb.0:
	s_clause 0x2
	s_load_b128 s[8:11], s[0:1], 0x38
	s_load_b64 s[4:5], s[0:1], 0x0
	s_load_b128 s[12:15], s[0:1], 0x8
	s_wait_kmcnt 0x0
	v_cmp_neq_f64_e64 s2, s[10:11], 1.0
	s_and_b32 vcc_lo, exec_lo, s2
	s_cbranch_vccnz .LBB68_2
; %bb.1:
	v_cmp_neq_f64_e64 s2, s[12:13], 0
	s_cmp_lg_u32 s5, 0
	s_cselect_b32 s3, -1, 0
	s_delay_alu instid0(SALU_CYCLE_1)
	s_and_b32 s2, s3, s2
.LBB68_2:
	s_delay_alu instid0(SALU_CYCLE_1)
	s_and_not1_b32 vcc_lo, exec_lo, s2
	s_cbranch_vccnz .LBB68_33
; %bb.3:
	s_load_b32 s23, s[0:1], 0x60
	s_bfe_u32 s2, ttmp6, 0x40014
	s_lshr_b32 s3, ttmp7, 16
	s_add_co_i32 s2, s2, 1
	s_bfe_u32 s6, ttmp6, 0x40008
	s_mul_i32 s2, s3, s2
	s_getreg_b32 s28, hwreg(HW_REG_IB_STS2, 6, 4)
	s_add_co_i32 s6, s6, s2
	s_cmp_eq_u32 s28, 0
	s_mov_b32 s7, 0
	s_cselect_b32 s6, s3, s6
	s_wait_kmcnt 0x0
	s_cmp_ge_u32 s6, s23
	s_cbranch_scc1 .LBB68_33
; %bb.4:
	s_clause 0x3
	s_load_b32 s2, s[0:1], 0x18
	s_load_b32 s26, s[0:1], 0x30
	s_load_b96 s[20:22], s[0:1], 0x48
	s_load_b128 s[16:19], s[0:1], 0x20
	v_and_b32_e32 v9, 0x3ff, v0
	v_bfe_u32 v10, v0, 10, 10
	s_load_b64 s[24:25], s[0:1], 0x58
	s_wait_xcnt 0x0
	s_bfe_u32 s1, ttmp6, 0x4000c
	s_bfe_u32 s3, ttmp6, 0x40010
	s_and_b32 s30, ttmp7, 0xffff
	s_add_co_i32 s1, s1, 1
	s_add_co_i32 s3, s3, 1
	v_lshl_add_u32 v1, v10, 4, v9
	s_and_b32 s0, ttmp6, 15
	s_mul_i32 s1, ttmp9, s1
	s_mul_i32 s31, s30, s3
	s_bfe_u32 s33, ttmp6, 0x40004
	s_add_co_i32 s0, s0, s1
	s_add_co_i32 s33, s33, s31
	v_dual_lshrrev_b32 v5, 3, v1 :: v_dual_bitop2_b32 v4, 31, v1 bitop3:0x40
	s_wait_kmcnt 0x0
	s_ashr_i32 s3, s2, 31
	s_ashr_i32 s27, s26, 31
	;; [unrolled: 1-line block ×3, first 2 shown]
	s_cmp_eq_u32 s28, 0
	v_dual_lshrrev_b32 v30, 5, v1 :: v_dual_bitop2_b32 v0, 7, v0 bitop3:0x40
	s_cselect_b32 s0, ttmp9, s0
	s_cselect_b32 s1, s30, s33
	s_lshl_b32 s30, s0, 5
	s_delay_alu instid0(SALU_CYCLE_1) | instskip(SKIP_2) | instid1(VALU_DEP_1)
	v_dual_mov_b32 v11, 0 :: v_dual_bitop2_b32 v2, s30, v4 bitop3:0x54
	s_lshl_b32 s0, s1, 5
	s_mov_b32 s28, s22
	v_dual_mov_b32 v1, v11 :: v_dual_add_nc_u32 v12, s0, v5
	v_add_nc_u32_e32 v14, s0, v10
	v_ashrrev_i32_e32 v3, 31, v2
	v_cmp_neq_f64_e64 s31, s[12:13], 0
	v_cmp_gt_i32_e64 s0, s4, v2
	v_mul_u64_e32 v[18:19], s[26:27], v[0:1]
	v_dual_add_nc_u32 v20, 16, v14 :: v_dual_lshlrev_b32 v1, 3, v0
	v_mul_u64_e32 v[16:17], s[2:3], v[2:3]
	v_dual_lshlrev_b32 v3, 3, v4 :: v_dual_ashrrev_i32 v15, 31, v14
	s_delay_alu instid0(VALU_DEP_3) | instskip(NEXT) | instid1(VALU_DEP_4)
	v_dual_ashrrev_i32 v21, 31, v20 :: v_dual_add_nc_u32 v2, s30, v9
	v_lshl_or_b32 v8, v5, 6, v1
	v_cmp_neq_f64_e64 s22, s[10:11], 0
	s_delay_alu instid0(VALU_DEP_4) | instskip(NEXT) | instid1(VALU_DEP_4)
	v_mul_u64_e32 v[4:5], s[28:29], v[14:15]
	v_mul_u64_e32 v[6:7], s[28:29], v[20:21]
	v_ashrrev_i32_e32 v13, 31, v12
	v_cmp_gt_i32_e64 s1, s4, v12
	v_add_nc_u32_e32 v31, 0x800, v8
	v_dual_add_nc_u32 v8, 16, v2 :: v_dual_lshlrev_b32 v32, 3, v9
	s_delay_alu instid0(VALU_DEP_4)
	v_lshlrev_b64_e32 v[12:13], 3, v[12:13]
	v_lshl_add_u32 v33, v10, 6, 0x800
	v_lshlrev_b32_e32 v10, 3, v30
	v_cmp_le_i32_e32 vcc_lo, v14, v2
	v_cmp_gt_i32_e64 s2, s4, v2
	v_cmp_le_i32_e64 s3, v14, v8
	v_cmp_gt_i32_e64 s4, s4, v8
	s_cmp_gt_i32 s5, 0
	v_lshl_or_b32 v1, v30, 8, v3
	s_cselect_b32 s33, -1, 0
	s_and_b32 s28, vcc_lo, s2
	s_and_b32 s29, s3, s4
	v_cmp_le_i32_e32 vcc_lo, v20, v2
	v_cmp_le_i32_e64 s3, v20, v8
	v_dual_ashrrev_i32 v3, 31, v2 :: v_dual_ashrrev_i32 v9, 31, v8
	v_lshl_add_u64 v[12:13], v[18:19], 3, v[12:13]
	s_and_b32 s30, vcc_lo, s2
	v_lshl_add_u64 v[10:11], v[16:17], 3, v[10:11]
	s_and_b32 s4, s3, s4
	s_lshl_b64 s[2:3], s[16:17], 3
	v_add_nc_u64_e32 v[12:13], s[18:19], v[12:13]
	s_and_b32 s18, s31, s33
	v_add_nc_u64_e32 v[10:11], s[14:15], v[10:11]
	s_lshl_b64 s[8:9], s[8:9], 3
	s_lshl_b64 s[14:15], s[26:27], 6
	s_branch .LBB68_6
.LBB68_5:                               ;   in Loop: Header=BB68_6 Depth=1
	s_wait_xcnt 0x0
	s_or_b32 exec_lo, exec_lo, s16
	s_add_co_i32 s6, s6, 0x10000
	s_delay_alu instid0(SALU_CYCLE_1)
	s_cmp_lt_u32 s6, s23
	s_cbranch_scc0 .LBB68_33
.LBB68_6:                               ; =>This Loop Header: Depth=1
                                        ;     Child Loop BB68_9 Depth 2
	v_mov_b64_e32 v[20:21], 0
	v_mov_b64_e32 v[18:19], 0
	;; [unrolled: 1-line block ×4, first 2 shown]
	s_and_not1_b32 vcc_lo, exec_lo, s18
	s_cbranch_vccnz .LBB68_13
; %bb.7:                                ;   in Loop: Header=BB68_6 Depth=1
	v_mad_nc_u64_u32 v[22:23], s2, s6, v[10:11]
	v_mad_nc_u64_u32 v[24:25], s8, s6, v[12:13]
	v_mov_b64_e32 v[14:15], 0
	v_mov_b64_e32 v[16:17], 0
	;; [unrolled: 1-line block ×4, first 2 shown]
	s_mov_b32 s16, 0
	v_mad_u32 v23, s3, s6, v23
	v_mad_u32 v25, s9, s6, v25
	s_branch .LBB68_9
.LBB68_8:                               ;   in Loop: Header=BB68_9 Depth=2
	s_wait_xcnt 0x0
	s_or_b32 exec_lo, exec_lo, s17
	s_wait_loadcnt 0x0
	ds_store_b64 v31, v[28:29]
	s_wait_dscnt 0x0
	s_barrier_signal -1
	s_barrier_wait -1
	ds_load_b128 v[26:29], v33
	ds_load_2addr_b64 v[34:37], v32 offset1:16
	ds_load_b128 v[38:41], v33 offset:1024
	ds_load_b128 v[42:45], v33 offset:16
	;; [unrolled: 1-line block ×3, first 2 shown]
	v_add_nc_u64_e32 v[22:23], 64, v[22:23]
	v_add_nc_u64_e32 v[24:25], s[14:15], v[24:25]
	s_add_co_i32 s16, s16, 8
	s_delay_alu instid0(SALU_CYCLE_1)
	s_cmp_lt_i32 s16, s5
	s_wait_dscnt 0x3
	v_fmac_f64_e32 v[20:21], v[34:35], v[26:27]
	v_fmac_f64_e32 v[18:19], v[36:37], v[26:27]
	s_wait_dscnt 0x2
	v_fmac_f64_e32 v[16:17], v[34:35], v[38:39]
	v_fmac_f64_e32 v[14:15], v[36:37], v[38:39]
	ds_load_2addr_b64 v[34:37], v32 offset0:32 offset1:48
	s_wait_dscnt 0x0
	v_fmac_f64_e32 v[20:21], v[34:35], v[28:29]
	v_fmac_f64_e32 v[18:19], v[36:37], v[28:29]
	v_fmac_f64_e32 v[16:17], v[34:35], v[40:41]
	v_fmac_f64_e32 v[14:15], v[36:37], v[40:41]
	ds_load_2addr_b64 v[26:29], v32 offset0:64 offset1:80
	s_wait_dscnt 0x0
	v_fmac_f64_e32 v[20:21], v[26:27], v[42:43]
	v_fmac_f64_e32 v[18:19], v[28:29], v[42:43]
	;; [unrolled: 6-line block ×3, first 2 shown]
	v_fmac_f64_e32 v[16:17], v[26:27], v[48:49]
	v_fmac_f64_e32 v[14:15], v[28:29], v[48:49]
	ds_load_b128 v[26:29], v33 offset:32
	ds_load_2addr_b64 v[34:37], v32 offset0:128 offset1:144
	ds_load_b128 v[38:41], v33 offset:1056
	ds_load_b128 v[42:45], v33 offset:48
	;; [unrolled: 1-line block ×3, first 2 shown]
	s_wait_dscnt 0x3
	v_fmac_f64_e32 v[20:21], v[34:35], v[26:27]
	v_fmac_f64_e32 v[18:19], v[36:37], v[26:27]
	s_wait_dscnt 0x2
	v_fmac_f64_e32 v[16:17], v[34:35], v[38:39]
	v_fmac_f64_e32 v[14:15], v[36:37], v[38:39]
	ds_load_2addr_b64 v[34:37], v32 offset0:160 offset1:176
	s_wait_dscnt 0x0
	v_fmac_f64_e32 v[20:21], v[34:35], v[28:29]
	v_fmac_f64_e32 v[18:19], v[36:37], v[28:29]
	;; [unrolled: 1-line block ×4, first 2 shown]
	ds_load_2addr_b64 v[26:29], v32 offset0:192 offset1:208
	s_wait_dscnt 0x0
	v_fmac_f64_e32 v[20:21], v[26:27], v[42:43]
	v_fmac_f64_e32 v[18:19], v[28:29], v[42:43]
	;; [unrolled: 1-line block ×4, first 2 shown]
	ds_load_2addr_b64 v[26:29], v32 offset0:224 offset1:240
	s_wait_dscnt 0x0
	s_barrier_signal -1
	s_barrier_wait -1
	v_fmac_f64_e32 v[20:21], v[26:27], v[44:45]
	v_fmac_f64_e32 v[18:19], v[28:29], v[44:45]
	;; [unrolled: 1-line block ×4, first 2 shown]
	s_cbranch_scc0 .LBB68_13
.LBB68_9:                               ;   Parent Loop BB68_6 Depth=1
                                        ; =>  This Inner Loop Header: Depth=2
	v_add_nc_u32_e32 v26, s16, v30
	s_delay_alu instid0(VALU_DEP_1) | instskip(SKIP_2) | instid1(SALU_CYCLE_1)
	v_cmp_gt_i32_e32 vcc_lo, s5, v26
	v_mov_b64_e32 v[26:27], 0
	s_and_b32 s19, s0, vcc_lo
	s_and_saveexec_b32 s17, s19
	s_cbranch_execz .LBB68_11
; %bb.10:                               ;   in Loop: Header=BB68_9 Depth=2
	global_load_b64 v[26:27], v[22:23], off
.LBB68_11:                              ;   in Loop: Header=BB68_9 Depth=2
	s_wait_xcnt 0x0
	s_or_b32 exec_lo, exec_lo, s17
	v_add_nc_u32_e32 v28, s16, v0
	s_wait_loadcnt 0x0
	ds_store_b64 v1, v[26:27]
	v_cmp_gt_i32_e32 vcc_lo, s5, v28
	v_mov_b64_e32 v[28:29], 0
	s_and_b32 s19, vcc_lo, s1
	s_delay_alu instid0(SALU_CYCLE_1)
	s_and_saveexec_b32 s17, s19
	s_cbranch_execz .LBB68_8
; %bb.12:                               ;   in Loop: Header=BB68_9 Depth=2
	global_load_b64 v[28:29], v[24:25], off
	s_branch .LBB68_8
.LBB68_13:                              ;   in Loop: Header=BB68_6 Depth=1
	s_mul_u64 s[16:17], s[24:25], s[6:7]
	s_delay_alu instid0(SALU_CYCLE_1) | instskip(NEXT) | instid1(SALU_CYCLE_1)
	s_lshl_b64 s[16:17], s[16:17], 3
	s_add_nc_u64 s[16:17], s[20:21], s[16:17]
	s_delay_alu instid0(SALU_CYCLE_1)
	v_lshl_add_u64 v[22:23], v[4:5], 3, s[16:17]
	s_and_saveexec_b32 s19, s28
	s_cbranch_execz .LBB68_17
; %bb.14:                               ;   in Loop: Header=BB68_6 Depth=1
	v_mul_f64_e32 v[20:21], s[12:13], v[20:21]
	s_delay_alu instid0(VALU_DEP_2)
	v_lshl_add_u64 v[24:25], v[2:3], 3, v[22:23]
	s_and_b32 vcc_lo, exec_lo, s22
	s_cbranch_vccz .LBB68_28
; %bb.15:                               ;   in Loop: Header=BB68_6 Depth=1
	global_load_b64 v[26:27], v[24:25], off
	s_wait_loadcnt 0x0
	v_fma_f64 v[26:27], s[10:11], v[26:27], v[20:21]
	global_store_b64 v[24:25], v[26:27], off
	s_cbranch_execnz .LBB68_17
.LBB68_16:                              ;   in Loop: Header=BB68_6 Depth=1
	global_store_b64 v[24:25], v[20:21], off
.LBB68_17:                              ;   in Loop: Header=BB68_6 Depth=1
	s_wait_xcnt 0x0
	s_or_b32 exec_lo, exec_lo, s19
	s_and_saveexec_b32 s19, s29
	s_cbranch_execz .LBB68_21
; %bb.18:                               ;   in Loop: Header=BB68_6 Depth=1
	s_delay_alu instid0(VALU_DEP_4)
	v_mul_f64_e32 v[18:19], s[12:13], v[18:19]
	v_lshl_add_u64 v[20:21], v[8:9], 3, v[22:23]
	s_and_not1_b32 vcc_lo, exec_lo, s22
	s_cbranch_vccnz .LBB68_29
; %bb.19:                               ;   in Loop: Header=BB68_6 Depth=1
	global_load_b64 v[22:23], v[20:21], off
	s_wait_loadcnt 0x0
	v_fma_f64 v[22:23], s[10:11], v[22:23], v[18:19]
	global_store_b64 v[20:21], v[22:23], off
	s_cbranch_execnz .LBB68_21
.LBB68_20:                              ;   in Loop: Header=BB68_6 Depth=1
	global_store_b64 v[20:21], v[18:19], off
.LBB68_21:                              ;   in Loop: Header=BB68_6 Depth=1
	s_wait_xcnt 0x0
	s_or_b32 exec_lo, exec_lo, s19
	v_lshl_add_u64 v[18:19], v[6:7], 3, s[16:17]
	s_and_saveexec_b32 s16, s30
	s_cbranch_execz .LBB68_25
; %bb.22:                               ;   in Loop: Header=BB68_6 Depth=1
	s_delay_alu instid0(VALU_DEP_4) | instskip(NEXT) | instid1(VALU_DEP_2)
	v_mul_f64_e32 v[16:17], s[12:13], v[16:17]
	v_lshl_add_u64 v[20:21], v[2:3], 3, v[18:19]
	s_and_not1_b32 vcc_lo, exec_lo, s22
	s_cbranch_vccnz .LBB68_30
; %bb.23:                               ;   in Loop: Header=BB68_6 Depth=1
	global_load_b64 v[22:23], v[20:21], off
	s_wait_loadcnt 0x0
	v_fma_f64 v[22:23], s[10:11], v[22:23], v[16:17]
	global_store_b64 v[20:21], v[22:23], off
	s_cbranch_execnz .LBB68_25
.LBB68_24:                              ;   in Loop: Header=BB68_6 Depth=1
	global_store_b64 v[20:21], v[16:17], off
.LBB68_25:                              ;   in Loop: Header=BB68_6 Depth=1
	s_wait_xcnt 0x0
	s_or_b32 exec_lo, exec_lo, s16
	s_and_saveexec_b32 s16, s4
	s_cbranch_execz .LBB68_5
; %bb.26:                               ;   in Loop: Header=BB68_6 Depth=1
	s_delay_alu instid0(VALU_DEP_3)
	v_mul_f64_e32 v[14:15], s[12:13], v[14:15]
	v_lshl_add_u64 v[16:17], v[8:9], 3, v[18:19]
	s_and_not1_b32 vcc_lo, exec_lo, s22
	s_cbranch_vccnz .LBB68_31
; %bb.27:                               ;   in Loop: Header=BB68_6 Depth=1
	global_load_b64 v[18:19], v[16:17], off
	s_wait_loadcnt 0x0
	v_fma_f64 v[18:19], s[10:11], v[18:19], v[14:15]
	global_store_b64 v[16:17], v[18:19], off
	s_cbranch_execnz .LBB68_5
	s_branch .LBB68_32
.LBB68_28:                              ;   in Loop: Header=BB68_6 Depth=1
	s_branch .LBB68_16
.LBB68_29:                              ;   in Loop: Header=BB68_6 Depth=1
	s_branch .LBB68_20
.LBB68_30:                              ;   in Loop: Header=BB68_6 Depth=1
	s_branch .LBB68_24
.LBB68_31:                              ;   in Loop: Header=BB68_6 Depth=1
.LBB68_32:                              ;   in Loop: Header=BB68_6 Depth=1
	global_store_b64 v[16:17], v[14:15], off
	s_branch .LBB68_5
.LBB68_33:
	s_endpgm
	.section	.rodata,"a",@progbits
	.p2align	6, 0x0
	.amdhsa_kernel _ZL29rocblas_internal_gemmt_kernelIiLi16ELi32ELi8ELc84ELc67ELc76ELb0ELb0EddPKdPdEviT_T9_T10_S3_lS5_S3_lS4_T11_S3_li
		.amdhsa_group_segment_fixed_size 4096
		.amdhsa_private_segment_fixed_size 0
		.amdhsa_kernarg_size 100
		.amdhsa_user_sgpr_count 2
		.amdhsa_user_sgpr_dispatch_ptr 0
		.amdhsa_user_sgpr_queue_ptr 0
		.amdhsa_user_sgpr_kernarg_segment_ptr 1
		.amdhsa_user_sgpr_dispatch_id 0
		.amdhsa_user_sgpr_kernarg_preload_length 0
		.amdhsa_user_sgpr_kernarg_preload_offset 0
		.amdhsa_user_sgpr_private_segment_size 0
		.amdhsa_wavefront_size32 1
		.amdhsa_uses_dynamic_stack 0
		.amdhsa_enable_private_segment 0
		.amdhsa_system_sgpr_workgroup_id_x 1
		.amdhsa_system_sgpr_workgroup_id_y 1
		.amdhsa_system_sgpr_workgroup_id_z 1
		.amdhsa_system_sgpr_workgroup_info 0
		.amdhsa_system_vgpr_workitem_id 1
		.amdhsa_next_free_vgpr 50
		.amdhsa_next_free_sgpr 34
		.amdhsa_named_barrier_count 0
		.amdhsa_reserve_vcc 1
		.amdhsa_float_round_mode_32 0
		.amdhsa_float_round_mode_16_64 0
		.amdhsa_float_denorm_mode_32 3
		.amdhsa_float_denorm_mode_16_64 3
		.amdhsa_fp16_overflow 0
		.amdhsa_memory_ordered 1
		.amdhsa_forward_progress 1
		.amdhsa_inst_pref_size 13
		.amdhsa_round_robin_scheduling 0
		.amdhsa_exception_fp_ieee_invalid_op 0
		.amdhsa_exception_fp_denorm_src 0
		.amdhsa_exception_fp_ieee_div_zero 0
		.amdhsa_exception_fp_ieee_overflow 0
		.amdhsa_exception_fp_ieee_underflow 0
		.amdhsa_exception_fp_ieee_inexact 0
		.amdhsa_exception_int_div_zero 0
	.end_amdhsa_kernel
	.section	.text._ZL29rocblas_internal_gemmt_kernelIiLi16ELi32ELi8ELc84ELc67ELc76ELb0ELb0EddPKdPdEviT_T9_T10_S3_lS5_S3_lS4_T11_S3_li,"axG",@progbits,_ZL29rocblas_internal_gemmt_kernelIiLi16ELi32ELi8ELc84ELc67ELc76ELb0ELb0EddPKdPdEviT_T9_T10_S3_lS5_S3_lS4_T11_S3_li,comdat
.Lfunc_end68:
	.size	_ZL29rocblas_internal_gemmt_kernelIiLi16ELi32ELi8ELc84ELc67ELc76ELb0ELb0EddPKdPdEviT_T9_T10_S3_lS5_S3_lS4_T11_S3_li, .Lfunc_end68-_ZL29rocblas_internal_gemmt_kernelIiLi16ELi32ELi8ELc84ELc67ELc76ELb0ELb0EddPKdPdEviT_T9_T10_S3_lS5_S3_lS4_T11_S3_li
                                        ; -- End function
	.set _ZL29rocblas_internal_gemmt_kernelIiLi16ELi32ELi8ELc84ELc67ELc76ELb0ELb0EddPKdPdEviT_T9_T10_S3_lS5_S3_lS4_T11_S3_li.num_vgpr, 50
	.set _ZL29rocblas_internal_gemmt_kernelIiLi16ELi32ELi8ELc84ELc67ELc76ELb0ELb0EddPKdPdEviT_T9_T10_S3_lS5_S3_lS4_T11_S3_li.num_agpr, 0
	.set _ZL29rocblas_internal_gemmt_kernelIiLi16ELi32ELi8ELc84ELc67ELc76ELb0ELb0EddPKdPdEviT_T9_T10_S3_lS5_S3_lS4_T11_S3_li.numbered_sgpr, 34
	.set _ZL29rocblas_internal_gemmt_kernelIiLi16ELi32ELi8ELc84ELc67ELc76ELb0ELb0EddPKdPdEviT_T9_T10_S3_lS5_S3_lS4_T11_S3_li.num_named_barrier, 0
	.set _ZL29rocblas_internal_gemmt_kernelIiLi16ELi32ELi8ELc84ELc67ELc76ELb0ELb0EddPKdPdEviT_T9_T10_S3_lS5_S3_lS4_T11_S3_li.private_seg_size, 0
	.set _ZL29rocblas_internal_gemmt_kernelIiLi16ELi32ELi8ELc84ELc67ELc76ELb0ELb0EddPKdPdEviT_T9_T10_S3_lS5_S3_lS4_T11_S3_li.uses_vcc, 1
	.set _ZL29rocblas_internal_gemmt_kernelIiLi16ELi32ELi8ELc84ELc67ELc76ELb0ELb0EddPKdPdEviT_T9_T10_S3_lS5_S3_lS4_T11_S3_li.uses_flat_scratch, 0
	.set _ZL29rocblas_internal_gemmt_kernelIiLi16ELi32ELi8ELc84ELc67ELc76ELb0ELb0EddPKdPdEviT_T9_T10_S3_lS5_S3_lS4_T11_S3_li.has_dyn_sized_stack, 0
	.set _ZL29rocblas_internal_gemmt_kernelIiLi16ELi32ELi8ELc84ELc67ELc76ELb0ELb0EddPKdPdEviT_T9_T10_S3_lS5_S3_lS4_T11_S3_li.has_recursion, 0
	.set _ZL29rocblas_internal_gemmt_kernelIiLi16ELi32ELi8ELc84ELc67ELc76ELb0ELb0EddPKdPdEviT_T9_T10_S3_lS5_S3_lS4_T11_S3_li.has_indirect_call, 0
	.section	.AMDGPU.csdata,"",@progbits
; Kernel info:
; codeLenInByte = 1648
; TotalNumSgprs: 36
; NumVgprs: 50
; ScratchSize: 0
; MemoryBound: 0
; FloatMode: 240
; IeeeMode: 1
; LDSByteSize: 4096 bytes/workgroup (compile time only)
; SGPRBlocks: 0
; VGPRBlocks: 3
; NumSGPRsForWavesPerEU: 36
; NumVGPRsForWavesPerEU: 50
; NamedBarCnt: 0
; Occupancy: 16
; WaveLimiterHint : 0
; COMPUTE_PGM_RSRC2:SCRATCH_EN: 0
; COMPUTE_PGM_RSRC2:USER_SGPR: 2
; COMPUTE_PGM_RSRC2:TRAP_HANDLER: 0
; COMPUTE_PGM_RSRC2:TGID_X_EN: 1
; COMPUTE_PGM_RSRC2:TGID_Y_EN: 1
; COMPUTE_PGM_RSRC2:TGID_Z_EN: 1
; COMPUTE_PGM_RSRC2:TIDIG_COMP_CNT: 1
	.section	.text._ZL29rocblas_internal_gemmt_kernelIiLi16ELi32ELi8ELc67ELc78ELc76ELb0ELb0EddPKdPdEviT_T9_T10_S3_lS5_S3_lS4_T11_S3_li,"axG",@progbits,_ZL29rocblas_internal_gemmt_kernelIiLi16ELi32ELi8ELc67ELc78ELc76ELb0ELb0EddPKdPdEviT_T9_T10_S3_lS5_S3_lS4_T11_S3_li,comdat
	.globl	_ZL29rocblas_internal_gemmt_kernelIiLi16ELi32ELi8ELc67ELc78ELc76ELb0ELb0EddPKdPdEviT_T9_T10_S3_lS5_S3_lS4_T11_S3_li ; -- Begin function _ZL29rocblas_internal_gemmt_kernelIiLi16ELi32ELi8ELc67ELc78ELc76ELb0ELb0EddPKdPdEviT_T9_T10_S3_lS5_S3_lS4_T11_S3_li
	.p2align	8
	.type	_ZL29rocblas_internal_gemmt_kernelIiLi16ELi32ELi8ELc67ELc78ELc76ELb0ELb0EddPKdPdEviT_T9_T10_S3_lS5_S3_lS4_T11_S3_li,@function
_ZL29rocblas_internal_gemmt_kernelIiLi16ELi32ELi8ELc67ELc78ELc76ELb0ELb0EddPKdPdEviT_T9_T10_S3_lS5_S3_lS4_T11_S3_li: ; @_ZL29rocblas_internal_gemmt_kernelIiLi16ELi32ELi8ELc67ELc78ELc76ELb0ELb0EddPKdPdEviT_T9_T10_S3_lS5_S3_lS4_T11_S3_li
; %bb.0:
	s_clause 0x2
	s_load_b128 s[8:11], s[0:1], 0x38
	s_load_b64 s[4:5], s[0:1], 0x0
	s_load_b128 s[12:15], s[0:1], 0x8
	s_wait_kmcnt 0x0
	v_cmp_neq_f64_e64 s2, s[10:11], 1.0
	s_and_b32 vcc_lo, exec_lo, s2
	s_cbranch_vccnz .LBB69_2
; %bb.1:
	v_cmp_neq_f64_e64 s2, s[12:13], 0
	s_cmp_lg_u32 s5, 0
	s_cselect_b32 s3, -1, 0
	s_delay_alu instid0(SALU_CYCLE_1)
	s_and_b32 s2, s3, s2
.LBB69_2:
	s_delay_alu instid0(SALU_CYCLE_1)
	s_and_not1_b32 vcc_lo, exec_lo, s2
	s_cbranch_vccnz .LBB69_33
; %bb.3:
	s_load_b32 s23, s[0:1], 0x60
	s_bfe_u32 s2, ttmp6, 0x40014
	s_lshr_b32 s3, ttmp7, 16
	s_add_co_i32 s2, s2, 1
	s_bfe_u32 s6, ttmp6, 0x40008
	s_mul_i32 s2, s3, s2
	s_getreg_b32 s28, hwreg(HW_REG_IB_STS2, 6, 4)
	s_add_co_i32 s6, s6, s2
	s_cmp_eq_u32 s28, 0
	s_mov_b32 s7, 0
	s_cselect_b32 s6, s3, s6
	s_wait_kmcnt 0x0
	s_cmp_ge_u32 s6, s23
	s_cbranch_scc1 .LBB69_33
; %bb.4:
	s_clause 0x3
	s_load_b32 s26, s[0:1], 0x18
	s_load_b32 s2, s[0:1], 0x30
	s_load_b96 s[20:22], s[0:1], 0x48
	s_load_b128 s[16:19], s[0:1], 0x20
	v_and_b32_e32 v1, 0x3ff, v0
	v_bfe_u32 v19, v0, 10, 10
	s_load_b64 s[24:25], s[0:1], 0x58
	s_wait_xcnt 0x0
	s_bfe_u32 s1, ttmp6, 0x4000c
	s_bfe_u32 s3, ttmp6, 0x40010
	s_and_b32 s29, ttmp7, 0xffff
	s_add_co_i32 s1, s1, 1
	s_add_co_i32 s3, s3, 1
	v_lshl_add_u32 v2, v19, 4, v1
	s_and_b32 s0, ttmp6, 15
	s_bfe_u32 s30, ttmp6, 0x40004
	s_mul_i32 s31, ttmp9, s1
	s_mul_i32 s33, s29, s3
	s_add_co_i32 s0, s0, s31
	s_add_co_i32 s30, s30, s33
	v_dual_lshrrev_b32 v3, 3, v2 :: v_dual_bitop2_b32 v4, 31, v2 bitop3:0x40
	s_wait_kmcnt 0x0
	s_ashr_i32 s27, s26, 31
	s_ashr_i32 s3, s2, 31
	s_ashr_i32 s1, s22, 31
	s_cmp_eq_u32 s28, 0
	v_dual_lshrrev_b32 v28, 5, v2 :: v_dual_bitop2_b32 v29, 7, v0 bitop3:0x40
	s_cselect_b32 s0, ttmp9, s0
	s_cselect_b32 s28, s29, s30
	s_lshl_b32 s29, s0, 5
	s_lshl_b32 s28, s28, 5
	s_delay_alu instid0(SALU_CYCLE_1) | instskip(SKIP_2) | instid1(VALU_DEP_2)
	v_dual_add_nc_u32 v8, s28, v3 :: v_dual_bitop2_b32 v6, s29, v4 bitop3:0x54
	v_dual_add_nc_u32 v10, s28, v19 :: v_dual_lshlrev_b32 v18, 3, v29
	s_mov_b32 s0, s22
	v_dual_ashrrev_i32 v7, 31, v6 :: v_dual_ashrrev_i32 v9, 31, v8
	s_delay_alu instid0(VALU_DEP_2) | instskip(SKIP_2) | instid1(VALU_DEP_4)
	v_add_nc_u32_e32 v16, 16, v10
	v_cmp_neq_f64_e64 s28, s[12:13], 0
	v_cmp_neq_f64_e64 s22, s[10:11], 0
	v_mul_u64_e32 v[12:13], s[26:27], v[6:7]
	v_mul_u64_e32 v[14:15], s[2:3], v[8:9]
	v_dual_lshlrev_b32 v7, 3, v4 :: v_dual_ashrrev_i32 v11, 31, v10
	v_ashrrev_i32_e32 v17, 31, v16
	v_lshl_or_b32 v9, v3, 6, v18
	v_dual_add_nc_u32 v0, s29, v1 :: v_dual_lshlrev_b32 v32, 3, v1
	s_delay_alu instid0(VALU_DEP_4) | instskip(NEXT) | instid1(VALU_DEP_4)
	v_mul_u64_e32 v[2:3], s[0:1], v[10:11]
	v_mul_u64_e32 v[4:5], s[0:1], v[16:17]
	v_cmp_gt_i32_e64 s0, s4, v6
	v_add_nc_u32_e32 v31, 0x800, v9
	v_dual_mov_b32 v9, 0 :: v_dual_add_nc_u32 v6, 16, v0
	v_cmp_gt_i32_e64 s1, s4, v8
	v_cmp_le_i32_e32 vcc_lo, v10, v0
	v_cmp_gt_i32_e64 s2, s4, v0
	v_lshl_add_u32 v33, v19, 6, 0x800
	v_dual_mov_b32 v19, v9 :: v_dual_lshlrev_b32 v8, 3, v28
	s_cmp_gt_i32 s5, 0
	v_cmp_gt_i32_e64 s3, s4, v6
	s_cselect_b32 s30, -1, 0
	s_and_b32 s26, vcc_lo, s2
	v_cmp_le_i32_e32 vcc_lo, v10, v6
	v_cmp_le_i32_e64 s4, v16, v0
	v_lshl_or_b32 v30, v28, 8, v7
	v_dual_ashrrev_i32 v1, 31, v0 :: v_dual_ashrrev_i32 v7, 31, v6
	s_and_b32 s27, vcc_lo, s3
	v_cmp_le_i32_e32 vcc_lo, v16, v6
	s_and_b32 s4, s4, s2
	v_lshl_add_u64 v[8:9], v[12:13], 3, v[8:9]
	v_lshl_add_u64 v[10:11], v[14:15], 3, v[18:19]
	s_lshl_b64 s[8:9], s[8:9], 3
	s_delay_alu instid0(VALU_DEP_2) | instskip(NEXT) | instid1(VALU_DEP_2)
	v_add_nc_u64_e32 v[8:9], s[14:15], v[8:9]
	v_add_nc_u64_e32 v[10:11], s[18:19], v[10:11]
	s_and_b32 s18, s28, s30
	s_and_b32 s19, vcc_lo, s3
	s_lshl_b64 s[2:3], s[16:17], 3
	s_branch .LBB69_6
.LBB69_5:                               ;   in Loop: Header=BB69_6 Depth=1
	s_wait_xcnt 0x0
	s_or_b32 exec_lo, exec_lo, s14
	s_add_co_i32 s6, s6, 0x10000
	s_delay_alu instid0(SALU_CYCLE_1)
	s_cmp_lt_u32 s6, s23
	s_cbranch_scc0 .LBB69_33
.LBB69_6:                               ; =>This Loop Header: Depth=1
                                        ;     Child Loop BB69_9 Depth 2
	v_mov_b64_e32 v[18:19], 0
	v_mov_b64_e32 v[16:17], 0
	;; [unrolled: 1-line block ×4, first 2 shown]
	s_and_not1_b32 vcc_lo, exec_lo, s18
	s_cbranch_vccnz .LBB69_13
; %bb.7:                                ;   in Loop: Header=BB69_6 Depth=1
	v_mad_nc_u64_u32 v[20:21], s2, s6, v[8:9]
	v_mad_nc_u64_u32 v[22:23], s8, s6, v[10:11]
	v_mov_b64_e32 v[12:13], 0
	v_mov_b64_e32 v[14:15], 0
	;; [unrolled: 1-line block ×4, first 2 shown]
	s_mov_b32 s14, 0
	v_mad_u32 v21, s3, s6, v21
	v_mad_u32 v23, s9, s6, v23
	s_branch .LBB69_9
.LBB69_8:                               ;   in Loop: Header=BB69_9 Depth=2
	s_wait_xcnt 0x0
	s_or_b32 exec_lo, exec_lo, s15
	s_wait_loadcnt 0x0
	ds_store_b64 v31, v[26:27]
	s_wait_dscnt 0x0
	s_barrier_signal -1
	s_barrier_wait -1
	ds_load_b128 v[24:27], v33
	ds_load_2addr_b64 v[34:37], v32 offset1:16
	ds_load_b128 v[38:41], v33 offset:1024
	ds_load_b128 v[42:45], v33 offset:16
	;; [unrolled: 1-line block ×3, first 2 shown]
	v_add_nc_u64_e32 v[20:21], 64, v[20:21]
	v_add_nc_u64_e32 v[22:23], 64, v[22:23]
	s_add_co_i32 s14, s14, 8
	s_delay_alu instid0(SALU_CYCLE_1)
	s_cmp_lt_i32 s14, s5
	s_wait_dscnt 0x3
	v_fmac_f64_e32 v[18:19], v[34:35], v[24:25]
	v_fmac_f64_e32 v[16:17], v[36:37], v[24:25]
	s_wait_dscnt 0x2
	v_fmac_f64_e32 v[14:15], v[34:35], v[38:39]
	v_fmac_f64_e32 v[12:13], v[36:37], v[38:39]
	ds_load_2addr_b64 v[34:37], v32 offset0:32 offset1:48
	s_wait_dscnt 0x0
	v_fmac_f64_e32 v[18:19], v[34:35], v[26:27]
	v_fmac_f64_e32 v[16:17], v[36:37], v[26:27]
	v_fmac_f64_e32 v[14:15], v[34:35], v[40:41]
	v_fmac_f64_e32 v[12:13], v[36:37], v[40:41]
	ds_load_2addr_b64 v[24:27], v32 offset0:64 offset1:80
	s_wait_dscnt 0x0
	v_fmac_f64_e32 v[18:19], v[24:25], v[42:43]
	v_fmac_f64_e32 v[16:17], v[26:27], v[42:43]
	;; [unrolled: 6-line block ×3, first 2 shown]
	v_fmac_f64_e32 v[14:15], v[24:25], v[48:49]
	v_fmac_f64_e32 v[12:13], v[26:27], v[48:49]
	ds_load_b128 v[24:27], v33 offset:32
	ds_load_2addr_b64 v[34:37], v32 offset0:128 offset1:144
	ds_load_b128 v[38:41], v33 offset:1056
	ds_load_b128 v[42:45], v33 offset:48
	;; [unrolled: 1-line block ×3, first 2 shown]
	s_wait_dscnt 0x3
	v_fmac_f64_e32 v[18:19], v[34:35], v[24:25]
	v_fmac_f64_e32 v[16:17], v[36:37], v[24:25]
	s_wait_dscnt 0x2
	v_fmac_f64_e32 v[14:15], v[34:35], v[38:39]
	v_fmac_f64_e32 v[12:13], v[36:37], v[38:39]
	ds_load_2addr_b64 v[34:37], v32 offset0:160 offset1:176
	s_wait_dscnt 0x0
	v_fmac_f64_e32 v[18:19], v[34:35], v[26:27]
	v_fmac_f64_e32 v[16:17], v[36:37], v[26:27]
	;; [unrolled: 1-line block ×4, first 2 shown]
	ds_load_2addr_b64 v[24:27], v32 offset0:192 offset1:208
	s_wait_dscnt 0x0
	v_fmac_f64_e32 v[18:19], v[24:25], v[42:43]
	v_fmac_f64_e32 v[16:17], v[26:27], v[42:43]
	;; [unrolled: 1-line block ×4, first 2 shown]
	ds_load_2addr_b64 v[24:27], v32 offset0:224 offset1:240
	s_wait_dscnt 0x0
	s_barrier_signal -1
	s_barrier_wait -1
	v_fmac_f64_e32 v[18:19], v[24:25], v[44:45]
	v_fmac_f64_e32 v[16:17], v[26:27], v[44:45]
	;; [unrolled: 1-line block ×4, first 2 shown]
	s_cbranch_scc0 .LBB69_13
.LBB69_9:                               ;   Parent Loop BB69_6 Depth=1
                                        ; =>  This Inner Loop Header: Depth=2
	v_add_nc_u32_e32 v24, s14, v28
	s_delay_alu instid0(VALU_DEP_1) | instskip(SKIP_2) | instid1(SALU_CYCLE_1)
	v_cmp_gt_i32_e32 vcc_lo, s5, v24
	v_mov_b64_e32 v[24:25], 0
	s_and_b32 s16, s0, vcc_lo
	s_and_saveexec_b32 s15, s16
	s_cbranch_execz .LBB69_11
; %bb.10:                               ;   in Loop: Header=BB69_9 Depth=2
	global_load_b64 v[24:25], v[20:21], off
.LBB69_11:                              ;   in Loop: Header=BB69_9 Depth=2
	s_wait_xcnt 0x0
	s_or_b32 exec_lo, exec_lo, s15
	v_add_nc_u32_e32 v26, s14, v29
	s_wait_loadcnt 0x0
	ds_store_b64 v30, v[24:25]
	v_cmp_gt_i32_e32 vcc_lo, s5, v26
	v_mov_b64_e32 v[26:27], 0
	s_and_b32 s16, vcc_lo, s1
	s_delay_alu instid0(SALU_CYCLE_1)
	s_and_saveexec_b32 s15, s16
	s_cbranch_execz .LBB69_8
; %bb.12:                               ;   in Loop: Header=BB69_9 Depth=2
	global_load_b64 v[26:27], v[22:23], off
	s_branch .LBB69_8
.LBB69_13:                              ;   in Loop: Header=BB69_6 Depth=1
	s_mul_u64 s[14:15], s[24:25], s[6:7]
	s_delay_alu instid0(SALU_CYCLE_1) | instskip(NEXT) | instid1(SALU_CYCLE_1)
	s_lshl_b64 s[14:15], s[14:15], 3
	s_add_nc_u64 s[14:15], s[20:21], s[14:15]
	s_delay_alu instid0(SALU_CYCLE_1)
	v_lshl_add_u64 v[20:21], v[2:3], 3, s[14:15]
	s_and_saveexec_b32 s16, s26
	s_cbranch_execz .LBB69_17
; %bb.14:                               ;   in Loop: Header=BB69_6 Depth=1
	v_mul_f64_e32 v[18:19], s[12:13], v[18:19]
	s_delay_alu instid0(VALU_DEP_2)
	v_lshl_add_u64 v[22:23], v[0:1], 3, v[20:21]
	s_and_b32 vcc_lo, exec_lo, s22
	s_cbranch_vccz .LBB69_28
; %bb.15:                               ;   in Loop: Header=BB69_6 Depth=1
	global_load_b64 v[24:25], v[22:23], off
	s_wait_loadcnt 0x0
	v_fma_f64 v[24:25], s[10:11], v[24:25], v[18:19]
	global_store_b64 v[22:23], v[24:25], off
	s_cbranch_execnz .LBB69_17
.LBB69_16:                              ;   in Loop: Header=BB69_6 Depth=1
	global_store_b64 v[22:23], v[18:19], off
.LBB69_17:                              ;   in Loop: Header=BB69_6 Depth=1
	s_wait_xcnt 0x0
	s_or_b32 exec_lo, exec_lo, s16
	s_and_saveexec_b32 s16, s27
	s_cbranch_execz .LBB69_21
; %bb.18:                               ;   in Loop: Header=BB69_6 Depth=1
	s_delay_alu instid0(VALU_DEP_4)
	v_mul_f64_e32 v[16:17], s[12:13], v[16:17]
	v_lshl_add_u64 v[18:19], v[6:7], 3, v[20:21]
	s_and_not1_b32 vcc_lo, exec_lo, s22
	s_cbranch_vccnz .LBB69_29
; %bb.19:                               ;   in Loop: Header=BB69_6 Depth=1
	global_load_b64 v[20:21], v[18:19], off
	s_wait_loadcnt 0x0
	v_fma_f64 v[20:21], s[10:11], v[20:21], v[16:17]
	global_store_b64 v[18:19], v[20:21], off
	s_cbranch_execnz .LBB69_21
.LBB69_20:                              ;   in Loop: Header=BB69_6 Depth=1
	global_store_b64 v[18:19], v[16:17], off
.LBB69_21:                              ;   in Loop: Header=BB69_6 Depth=1
	s_wait_xcnt 0x0
	s_or_b32 exec_lo, exec_lo, s16
	v_lshl_add_u64 v[16:17], v[4:5], 3, s[14:15]
	s_and_saveexec_b32 s14, s4
	s_cbranch_execz .LBB69_25
; %bb.22:                               ;   in Loop: Header=BB69_6 Depth=1
	s_delay_alu instid0(VALU_DEP_4) | instskip(NEXT) | instid1(VALU_DEP_2)
	v_mul_f64_e32 v[14:15], s[12:13], v[14:15]
	v_lshl_add_u64 v[18:19], v[0:1], 3, v[16:17]
	s_and_not1_b32 vcc_lo, exec_lo, s22
	s_cbranch_vccnz .LBB69_30
; %bb.23:                               ;   in Loop: Header=BB69_6 Depth=1
	global_load_b64 v[20:21], v[18:19], off
	s_wait_loadcnt 0x0
	v_fma_f64 v[20:21], s[10:11], v[20:21], v[14:15]
	global_store_b64 v[18:19], v[20:21], off
	s_cbranch_execnz .LBB69_25
.LBB69_24:                              ;   in Loop: Header=BB69_6 Depth=1
	global_store_b64 v[18:19], v[14:15], off
.LBB69_25:                              ;   in Loop: Header=BB69_6 Depth=1
	s_wait_xcnt 0x0
	s_or_b32 exec_lo, exec_lo, s14
	s_and_saveexec_b32 s14, s19
	s_cbranch_execz .LBB69_5
; %bb.26:                               ;   in Loop: Header=BB69_6 Depth=1
	s_delay_alu instid0(VALU_DEP_3)
	v_mul_f64_e32 v[12:13], s[12:13], v[12:13]
	v_lshl_add_u64 v[14:15], v[6:7], 3, v[16:17]
	s_and_not1_b32 vcc_lo, exec_lo, s22
	s_cbranch_vccnz .LBB69_31
; %bb.27:                               ;   in Loop: Header=BB69_6 Depth=1
	global_load_b64 v[16:17], v[14:15], off
	s_wait_loadcnt 0x0
	v_fma_f64 v[16:17], s[10:11], v[16:17], v[12:13]
	global_store_b64 v[14:15], v[16:17], off
	s_cbranch_execnz .LBB69_5
	s_branch .LBB69_32
.LBB69_28:                              ;   in Loop: Header=BB69_6 Depth=1
	s_branch .LBB69_16
.LBB69_29:                              ;   in Loop: Header=BB69_6 Depth=1
	s_branch .LBB69_20
.LBB69_30:                              ;   in Loop: Header=BB69_6 Depth=1
	s_branch .LBB69_24
.LBB69_31:                              ;   in Loop: Header=BB69_6 Depth=1
.LBB69_32:                              ;   in Loop: Header=BB69_6 Depth=1
	global_store_b64 v[14:15], v[12:13], off
	s_branch .LBB69_5
.LBB69_33:
	s_endpgm
	.section	.rodata,"a",@progbits
	.p2align	6, 0x0
	.amdhsa_kernel _ZL29rocblas_internal_gemmt_kernelIiLi16ELi32ELi8ELc67ELc78ELc76ELb0ELb0EddPKdPdEviT_T9_T10_S3_lS5_S3_lS4_T11_S3_li
		.amdhsa_group_segment_fixed_size 4096
		.amdhsa_private_segment_fixed_size 0
		.amdhsa_kernarg_size 100
		.amdhsa_user_sgpr_count 2
		.amdhsa_user_sgpr_dispatch_ptr 0
		.amdhsa_user_sgpr_queue_ptr 0
		.amdhsa_user_sgpr_kernarg_segment_ptr 1
		.amdhsa_user_sgpr_dispatch_id 0
		.amdhsa_user_sgpr_kernarg_preload_length 0
		.amdhsa_user_sgpr_kernarg_preload_offset 0
		.amdhsa_user_sgpr_private_segment_size 0
		.amdhsa_wavefront_size32 1
		.amdhsa_uses_dynamic_stack 0
		.amdhsa_enable_private_segment 0
		.amdhsa_system_sgpr_workgroup_id_x 1
		.amdhsa_system_sgpr_workgroup_id_y 1
		.amdhsa_system_sgpr_workgroup_id_z 1
		.amdhsa_system_sgpr_workgroup_info 0
		.amdhsa_system_vgpr_workitem_id 1
		.amdhsa_next_free_vgpr 50
		.amdhsa_next_free_sgpr 34
		.amdhsa_named_barrier_count 0
		.amdhsa_reserve_vcc 1
		.amdhsa_float_round_mode_32 0
		.amdhsa_float_round_mode_16_64 0
		.amdhsa_float_denorm_mode_32 3
		.amdhsa_float_denorm_mode_16_64 3
		.amdhsa_fp16_overflow 0
		.amdhsa_memory_ordered 1
		.amdhsa_forward_progress 1
		.amdhsa_inst_pref_size 13
		.amdhsa_round_robin_scheduling 0
		.amdhsa_exception_fp_ieee_invalid_op 0
		.amdhsa_exception_fp_denorm_src 0
		.amdhsa_exception_fp_ieee_div_zero 0
		.amdhsa_exception_fp_ieee_overflow 0
		.amdhsa_exception_fp_ieee_underflow 0
		.amdhsa_exception_fp_ieee_inexact 0
		.amdhsa_exception_int_div_zero 0
	.end_amdhsa_kernel
	.section	.text._ZL29rocblas_internal_gemmt_kernelIiLi16ELi32ELi8ELc67ELc78ELc76ELb0ELb0EddPKdPdEviT_T9_T10_S3_lS5_S3_lS4_T11_S3_li,"axG",@progbits,_ZL29rocblas_internal_gemmt_kernelIiLi16ELi32ELi8ELc67ELc78ELc76ELb0ELb0EddPKdPdEviT_T9_T10_S3_lS5_S3_lS4_T11_S3_li,comdat
.Lfunc_end69:
	.size	_ZL29rocblas_internal_gemmt_kernelIiLi16ELi32ELi8ELc67ELc78ELc76ELb0ELb0EddPKdPdEviT_T9_T10_S3_lS5_S3_lS4_T11_S3_li, .Lfunc_end69-_ZL29rocblas_internal_gemmt_kernelIiLi16ELi32ELi8ELc67ELc78ELc76ELb0ELb0EddPKdPdEviT_T9_T10_S3_lS5_S3_lS4_T11_S3_li
                                        ; -- End function
	.set _ZL29rocblas_internal_gemmt_kernelIiLi16ELi32ELi8ELc67ELc78ELc76ELb0ELb0EddPKdPdEviT_T9_T10_S3_lS5_S3_lS4_T11_S3_li.num_vgpr, 50
	.set _ZL29rocblas_internal_gemmt_kernelIiLi16ELi32ELi8ELc67ELc78ELc76ELb0ELb0EddPKdPdEviT_T9_T10_S3_lS5_S3_lS4_T11_S3_li.num_agpr, 0
	.set _ZL29rocblas_internal_gemmt_kernelIiLi16ELi32ELi8ELc67ELc78ELc76ELb0ELb0EddPKdPdEviT_T9_T10_S3_lS5_S3_lS4_T11_S3_li.numbered_sgpr, 34
	.set _ZL29rocblas_internal_gemmt_kernelIiLi16ELi32ELi8ELc67ELc78ELc76ELb0ELb0EddPKdPdEviT_T9_T10_S3_lS5_S3_lS4_T11_S3_li.num_named_barrier, 0
	.set _ZL29rocblas_internal_gemmt_kernelIiLi16ELi32ELi8ELc67ELc78ELc76ELb0ELb0EddPKdPdEviT_T9_T10_S3_lS5_S3_lS4_T11_S3_li.private_seg_size, 0
	.set _ZL29rocblas_internal_gemmt_kernelIiLi16ELi32ELi8ELc67ELc78ELc76ELb0ELb0EddPKdPdEviT_T9_T10_S3_lS5_S3_lS4_T11_S3_li.uses_vcc, 1
	.set _ZL29rocblas_internal_gemmt_kernelIiLi16ELi32ELi8ELc67ELc78ELc76ELb0ELb0EddPKdPdEviT_T9_T10_S3_lS5_S3_lS4_T11_S3_li.uses_flat_scratch, 0
	.set _ZL29rocblas_internal_gemmt_kernelIiLi16ELi32ELi8ELc67ELc78ELc76ELb0ELb0EddPKdPdEviT_T9_T10_S3_lS5_S3_lS4_T11_S3_li.has_dyn_sized_stack, 0
	.set _ZL29rocblas_internal_gemmt_kernelIiLi16ELi32ELi8ELc67ELc78ELc76ELb0ELb0EddPKdPdEviT_T9_T10_S3_lS5_S3_lS4_T11_S3_li.has_recursion, 0
	.set _ZL29rocblas_internal_gemmt_kernelIiLi16ELi32ELi8ELc67ELc78ELc76ELb0ELb0EddPKdPdEviT_T9_T10_S3_lS5_S3_lS4_T11_S3_li.has_indirect_call, 0
	.section	.AMDGPU.csdata,"",@progbits
; Kernel info:
; codeLenInByte = 1636
; TotalNumSgprs: 36
; NumVgprs: 50
; ScratchSize: 0
; MemoryBound: 0
; FloatMode: 240
; IeeeMode: 1
; LDSByteSize: 4096 bytes/workgroup (compile time only)
; SGPRBlocks: 0
; VGPRBlocks: 3
; NumSGPRsForWavesPerEU: 36
; NumVGPRsForWavesPerEU: 50
; NamedBarCnt: 0
; Occupancy: 16
; WaveLimiterHint : 0
; COMPUTE_PGM_RSRC2:SCRATCH_EN: 0
; COMPUTE_PGM_RSRC2:USER_SGPR: 2
; COMPUTE_PGM_RSRC2:TRAP_HANDLER: 0
; COMPUTE_PGM_RSRC2:TGID_X_EN: 1
; COMPUTE_PGM_RSRC2:TGID_Y_EN: 1
; COMPUTE_PGM_RSRC2:TGID_Z_EN: 1
; COMPUTE_PGM_RSRC2:TIDIG_COMP_CNT: 1
	.section	.text._ZL29rocblas_internal_gemmt_kernelIiLi16ELi32ELi8ELc67ELc84ELc76ELb0ELb0EddPKdPdEviT_T9_T10_S3_lS5_S3_lS4_T11_S3_li,"axG",@progbits,_ZL29rocblas_internal_gemmt_kernelIiLi16ELi32ELi8ELc67ELc84ELc76ELb0ELb0EddPKdPdEviT_T9_T10_S3_lS5_S3_lS4_T11_S3_li,comdat
	.globl	_ZL29rocblas_internal_gemmt_kernelIiLi16ELi32ELi8ELc67ELc84ELc76ELb0ELb0EddPKdPdEviT_T9_T10_S3_lS5_S3_lS4_T11_S3_li ; -- Begin function _ZL29rocblas_internal_gemmt_kernelIiLi16ELi32ELi8ELc67ELc84ELc76ELb0ELb0EddPKdPdEviT_T9_T10_S3_lS5_S3_lS4_T11_S3_li
	.p2align	8
	.type	_ZL29rocblas_internal_gemmt_kernelIiLi16ELi32ELi8ELc67ELc84ELc76ELb0ELb0EddPKdPdEviT_T9_T10_S3_lS5_S3_lS4_T11_S3_li,@function
_ZL29rocblas_internal_gemmt_kernelIiLi16ELi32ELi8ELc67ELc84ELc76ELb0ELb0EddPKdPdEviT_T9_T10_S3_lS5_S3_lS4_T11_S3_li: ; @_ZL29rocblas_internal_gemmt_kernelIiLi16ELi32ELi8ELc67ELc84ELc76ELb0ELb0EddPKdPdEviT_T9_T10_S3_lS5_S3_lS4_T11_S3_li
; %bb.0:
	s_clause 0x2
	s_load_b128 s[8:11], s[0:1], 0x38
	s_load_b64 s[4:5], s[0:1], 0x0
	s_load_b128 s[12:15], s[0:1], 0x8
	s_wait_kmcnt 0x0
	v_cmp_neq_f64_e64 s2, s[10:11], 1.0
	s_and_b32 vcc_lo, exec_lo, s2
	s_cbranch_vccnz .LBB70_2
; %bb.1:
	v_cmp_neq_f64_e64 s2, s[12:13], 0
	s_cmp_lg_u32 s5, 0
	s_cselect_b32 s3, -1, 0
	s_delay_alu instid0(SALU_CYCLE_1)
	s_and_b32 s2, s3, s2
.LBB70_2:
	s_delay_alu instid0(SALU_CYCLE_1)
	s_and_not1_b32 vcc_lo, exec_lo, s2
	s_cbranch_vccnz .LBB70_33
; %bb.3:
	s_load_b32 s23, s[0:1], 0x60
	s_bfe_u32 s2, ttmp6, 0x40014
	s_lshr_b32 s3, ttmp7, 16
	s_add_co_i32 s2, s2, 1
	s_bfe_u32 s6, ttmp6, 0x40008
	s_mul_i32 s2, s3, s2
	s_getreg_b32 s28, hwreg(HW_REG_IB_STS2, 6, 4)
	s_add_co_i32 s6, s6, s2
	s_cmp_eq_u32 s28, 0
	s_mov_b32 s7, 0
	s_cselect_b32 s6, s3, s6
	s_wait_kmcnt 0x0
	s_cmp_ge_u32 s6, s23
	s_cbranch_scc1 .LBB70_33
; %bb.4:
	s_clause 0x3
	s_load_b32 s2, s[0:1], 0x18
	s_load_b32 s26, s[0:1], 0x30
	s_load_b96 s[20:22], s[0:1], 0x48
	s_load_b128 s[16:19], s[0:1], 0x20
	v_and_b32_e32 v9, 0x3ff, v0
	v_bfe_u32 v10, v0, 10, 10
	s_load_b64 s[24:25], s[0:1], 0x58
	s_wait_xcnt 0x0
	s_bfe_u32 s1, ttmp6, 0x4000c
	s_bfe_u32 s3, ttmp6, 0x40010
	s_and_b32 s30, ttmp7, 0xffff
	s_add_co_i32 s1, s1, 1
	s_add_co_i32 s3, s3, 1
	v_lshl_add_u32 v1, v10, 4, v9
	s_and_b32 s0, ttmp6, 15
	s_mul_i32 s1, ttmp9, s1
	s_mul_i32 s31, s30, s3
	s_bfe_u32 s33, ttmp6, 0x40004
	s_add_co_i32 s0, s0, s1
	s_add_co_i32 s33, s33, s31
	v_dual_lshrrev_b32 v5, 3, v1 :: v_dual_bitop2_b32 v4, 31, v1 bitop3:0x40
	s_wait_kmcnt 0x0
	s_ashr_i32 s3, s2, 31
	s_ashr_i32 s27, s26, 31
	;; [unrolled: 1-line block ×3, first 2 shown]
	s_cmp_eq_u32 s28, 0
	v_dual_lshrrev_b32 v30, 5, v1 :: v_dual_bitop2_b32 v0, 7, v0 bitop3:0x40
	s_cselect_b32 s0, ttmp9, s0
	s_cselect_b32 s1, s30, s33
	s_lshl_b32 s30, s0, 5
	s_delay_alu instid0(SALU_CYCLE_1) | instskip(SKIP_2) | instid1(VALU_DEP_1)
	v_dual_mov_b32 v11, 0 :: v_dual_bitop2_b32 v2, s30, v4 bitop3:0x54
	s_lshl_b32 s0, s1, 5
	s_mov_b32 s28, s22
	v_dual_mov_b32 v1, v11 :: v_dual_add_nc_u32 v12, s0, v5
	v_add_nc_u32_e32 v14, s0, v10
	v_ashrrev_i32_e32 v3, 31, v2
	v_cmp_neq_f64_e64 s31, s[12:13], 0
	v_cmp_gt_i32_e64 s0, s4, v2
	v_mul_u64_e32 v[18:19], s[26:27], v[0:1]
	v_dual_add_nc_u32 v20, 16, v14 :: v_dual_lshlrev_b32 v1, 3, v0
	v_mul_u64_e32 v[16:17], s[2:3], v[2:3]
	v_dual_lshlrev_b32 v3, 3, v4 :: v_dual_ashrrev_i32 v15, 31, v14
	s_delay_alu instid0(VALU_DEP_3) | instskip(NEXT) | instid1(VALU_DEP_4)
	v_dual_ashrrev_i32 v21, 31, v20 :: v_dual_add_nc_u32 v2, s30, v9
	v_lshl_or_b32 v8, v5, 6, v1
	v_cmp_neq_f64_e64 s22, s[10:11], 0
	s_delay_alu instid0(VALU_DEP_4) | instskip(NEXT) | instid1(VALU_DEP_4)
	v_mul_u64_e32 v[4:5], s[28:29], v[14:15]
	v_mul_u64_e32 v[6:7], s[28:29], v[20:21]
	v_ashrrev_i32_e32 v13, 31, v12
	v_cmp_gt_i32_e64 s1, s4, v12
	v_add_nc_u32_e32 v31, 0x800, v8
	v_dual_add_nc_u32 v8, 16, v2 :: v_dual_lshlrev_b32 v32, 3, v9
	s_delay_alu instid0(VALU_DEP_4)
	v_lshlrev_b64_e32 v[12:13], 3, v[12:13]
	v_lshl_add_u32 v33, v10, 6, 0x800
	v_lshlrev_b32_e32 v10, 3, v30
	v_cmp_le_i32_e32 vcc_lo, v14, v2
	v_cmp_gt_i32_e64 s2, s4, v2
	v_cmp_le_i32_e64 s3, v14, v8
	v_cmp_gt_i32_e64 s4, s4, v8
	s_cmp_gt_i32 s5, 0
	v_lshl_or_b32 v1, v30, 8, v3
	s_cselect_b32 s33, -1, 0
	s_and_b32 s28, vcc_lo, s2
	s_and_b32 s29, s3, s4
	v_cmp_le_i32_e32 vcc_lo, v20, v2
	v_cmp_le_i32_e64 s3, v20, v8
	v_dual_ashrrev_i32 v3, 31, v2 :: v_dual_ashrrev_i32 v9, 31, v8
	v_lshl_add_u64 v[12:13], v[18:19], 3, v[12:13]
	s_and_b32 s30, vcc_lo, s2
	v_lshl_add_u64 v[10:11], v[16:17], 3, v[10:11]
	s_and_b32 s4, s3, s4
	s_lshl_b64 s[2:3], s[16:17], 3
	v_add_nc_u64_e32 v[12:13], s[18:19], v[12:13]
	s_and_b32 s18, s31, s33
	v_add_nc_u64_e32 v[10:11], s[14:15], v[10:11]
	s_lshl_b64 s[8:9], s[8:9], 3
	s_lshl_b64 s[14:15], s[26:27], 6
	s_branch .LBB70_6
.LBB70_5:                               ;   in Loop: Header=BB70_6 Depth=1
	s_wait_xcnt 0x0
	s_or_b32 exec_lo, exec_lo, s16
	s_add_co_i32 s6, s6, 0x10000
	s_delay_alu instid0(SALU_CYCLE_1)
	s_cmp_lt_u32 s6, s23
	s_cbranch_scc0 .LBB70_33
.LBB70_6:                               ; =>This Loop Header: Depth=1
                                        ;     Child Loop BB70_9 Depth 2
	v_mov_b64_e32 v[20:21], 0
	v_mov_b64_e32 v[18:19], 0
	;; [unrolled: 1-line block ×4, first 2 shown]
	s_and_not1_b32 vcc_lo, exec_lo, s18
	s_cbranch_vccnz .LBB70_13
; %bb.7:                                ;   in Loop: Header=BB70_6 Depth=1
	v_mad_nc_u64_u32 v[22:23], s2, s6, v[10:11]
	v_mad_nc_u64_u32 v[24:25], s8, s6, v[12:13]
	v_mov_b64_e32 v[14:15], 0
	v_mov_b64_e32 v[16:17], 0
	;; [unrolled: 1-line block ×4, first 2 shown]
	s_mov_b32 s16, 0
	v_mad_u32 v23, s3, s6, v23
	v_mad_u32 v25, s9, s6, v25
	s_branch .LBB70_9
.LBB70_8:                               ;   in Loop: Header=BB70_9 Depth=2
	s_wait_xcnt 0x0
	s_or_b32 exec_lo, exec_lo, s17
	s_wait_loadcnt 0x0
	ds_store_b64 v31, v[28:29]
	s_wait_dscnt 0x0
	s_barrier_signal -1
	s_barrier_wait -1
	ds_load_b128 v[26:29], v33
	ds_load_2addr_b64 v[34:37], v32 offset1:16
	ds_load_b128 v[38:41], v33 offset:1024
	ds_load_b128 v[42:45], v33 offset:16
	;; [unrolled: 1-line block ×3, first 2 shown]
	v_add_nc_u64_e32 v[22:23], 64, v[22:23]
	v_add_nc_u64_e32 v[24:25], s[14:15], v[24:25]
	s_add_co_i32 s16, s16, 8
	s_delay_alu instid0(SALU_CYCLE_1)
	s_cmp_lt_i32 s16, s5
	s_wait_dscnt 0x3
	v_fmac_f64_e32 v[20:21], v[34:35], v[26:27]
	v_fmac_f64_e32 v[18:19], v[36:37], v[26:27]
	s_wait_dscnt 0x2
	v_fmac_f64_e32 v[16:17], v[34:35], v[38:39]
	v_fmac_f64_e32 v[14:15], v[36:37], v[38:39]
	ds_load_2addr_b64 v[34:37], v32 offset0:32 offset1:48
	s_wait_dscnt 0x0
	v_fmac_f64_e32 v[20:21], v[34:35], v[28:29]
	v_fmac_f64_e32 v[18:19], v[36:37], v[28:29]
	v_fmac_f64_e32 v[16:17], v[34:35], v[40:41]
	v_fmac_f64_e32 v[14:15], v[36:37], v[40:41]
	ds_load_2addr_b64 v[26:29], v32 offset0:64 offset1:80
	s_wait_dscnt 0x0
	v_fmac_f64_e32 v[20:21], v[26:27], v[42:43]
	v_fmac_f64_e32 v[18:19], v[28:29], v[42:43]
	;; [unrolled: 6-line block ×3, first 2 shown]
	v_fmac_f64_e32 v[16:17], v[26:27], v[48:49]
	v_fmac_f64_e32 v[14:15], v[28:29], v[48:49]
	ds_load_b128 v[26:29], v33 offset:32
	ds_load_2addr_b64 v[34:37], v32 offset0:128 offset1:144
	ds_load_b128 v[38:41], v33 offset:1056
	ds_load_b128 v[42:45], v33 offset:48
	ds_load_b128 v[46:49], v33 offset:1072
	s_wait_dscnt 0x3
	v_fmac_f64_e32 v[20:21], v[34:35], v[26:27]
	v_fmac_f64_e32 v[18:19], v[36:37], v[26:27]
	s_wait_dscnt 0x2
	v_fmac_f64_e32 v[16:17], v[34:35], v[38:39]
	v_fmac_f64_e32 v[14:15], v[36:37], v[38:39]
	ds_load_2addr_b64 v[34:37], v32 offset0:160 offset1:176
	s_wait_dscnt 0x0
	v_fmac_f64_e32 v[20:21], v[34:35], v[28:29]
	v_fmac_f64_e32 v[18:19], v[36:37], v[28:29]
	;; [unrolled: 1-line block ×4, first 2 shown]
	ds_load_2addr_b64 v[26:29], v32 offset0:192 offset1:208
	s_wait_dscnt 0x0
	v_fmac_f64_e32 v[20:21], v[26:27], v[42:43]
	v_fmac_f64_e32 v[18:19], v[28:29], v[42:43]
	;; [unrolled: 1-line block ×4, first 2 shown]
	ds_load_2addr_b64 v[26:29], v32 offset0:224 offset1:240
	s_wait_dscnt 0x0
	s_barrier_signal -1
	s_barrier_wait -1
	v_fmac_f64_e32 v[20:21], v[26:27], v[44:45]
	v_fmac_f64_e32 v[18:19], v[28:29], v[44:45]
	;; [unrolled: 1-line block ×4, first 2 shown]
	s_cbranch_scc0 .LBB70_13
.LBB70_9:                               ;   Parent Loop BB70_6 Depth=1
                                        ; =>  This Inner Loop Header: Depth=2
	v_add_nc_u32_e32 v26, s16, v30
	s_delay_alu instid0(VALU_DEP_1) | instskip(SKIP_2) | instid1(SALU_CYCLE_1)
	v_cmp_gt_i32_e32 vcc_lo, s5, v26
	v_mov_b64_e32 v[26:27], 0
	s_and_b32 s19, s0, vcc_lo
	s_and_saveexec_b32 s17, s19
	s_cbranch_execz .LBB70_11
; %bb.10:                               ;   in Loop: Header=BB70_9 Depth=2
	global_load_b64 v[26:27], v[22:23], off
.LBB70_11:                              ;   in Loop: Header=BB70_9 Depth=2
	s_wait_xcnt 0x0
	s_or_b32 exec_lo, exec_lo, s17
	v_add_nc_u32_e32 v28, s16, v0
	s_wait_loadcnt 0x0
	ds_store_b64 v1, v[26:27]
	v_cmp_gt_i32_e32 vcc_lo, s5, v28
	v_mov_b64_e32 v[28:29], 0
	s_and_b32 s19, vcc_lo, s1
	s_delay_alu instid0(SALU_CYCLE_1)
	s_and_saveexec_b32 s17, s19
	s_cbranch_execz .LBB70_8
; %bb.12:                               ;   in Loop: Header=BB70_9 Depth=2
	global_load_b64 v[28:29], v[24:25], off
	s_branch .LBB70_8
.LBB70_13:                              ;   in Loop: Header=BB70_6 Depth=1
	s_mul_u64 s[16:17], s[24:25], s[6:7]
	s_delay_alu instid0(SALU_CYCLE_1) | instskip(NEXT) | instid1(SALU_CYCLE_1)
	s_lshl_b64 s[16:17], s[16:17], 3
	s_add_nc_u64 s[16:17], s[20:21], s[16:17]
	s_delay_alu instid0(SALU_CYCLE_1)
	v_lshl_add_u64 v[22:23], v[4:5], 3, s[16:17]
	s_and_saveexec_b32 s19, s28
	s_cbranch_execz .LBB70_17
; %bb.14:                               ;   in Loop: Header=BB70_6 Depth=1
	v_mul_f64_e32 v[20:21], s[12:13], v[20:21]
	s_delay_alu instid0(VALU_DEP_2)
	v_lshl_add_u64 v[24:25], v[2:3], 3, v[22:23]
	s_and_b32 vcc_lo, exec_lo, s22
	s_cbranch_vccz .LBB70_28
; %bb.15:                               ;   in Loop: Header=BB70_6 Depth=1
	global_load_b64 v[26:27], v[24:25], off
	s_wait_loadcnt 0x0
	v_fma_f64 v[26:27], s[10:11], v[26:27], v[20:21]
	global_store_b64 v[24:25], v[26:27], off
	s_cbranch_execnz .LBB70_17
.LBB70_16:                              ;   in Loop: Header=BB70_6 Depth=1
	global_store_b64 v[24:25], v[20:21], off
.LBB70_17:                              ;   in Loop: Header=BB70_6 Depth=1
	s_wait_xcnt 0x0
	s_or_b32 exec_lo, exec_lo, s19
	s_and_saveexec_b32 s19, s29
	s_cbranch_execz .LBB70_21
; %bb.18:                               ;   in Loop: Header=BB70_6 Depth=1
	s_delay_alu instid0(VALU_DEP_4)
	v_mul_f64_e32 v[18:19], s[12:13], v[18:19]
	v_lshl_add_u64 v[20:21], v[8:9], 3, v[22:23]
	s_and_not1_b32 vcc_lo, exec_lo, s22
	s_cbranch_vccnz .LBB70_29
; %bb.19:                               ;   in Loop: Header=BB70_6 Depth=1
	global_load_b64 v[22:23], v[20:21], off
	s_wait_loadcnt 0x0
	v_fma_f64 v[22:23], s[10:11], v[22:23], v[18:19]
	global_store_b64 v[20:21], v[22:23], off
	s_cbranch_execnz .LBB70_21
.LBB70_20:                              ;   in Loop: Header=BB70_6 Depth=1
	global_store_b64 v[20:21], v[18:19], off
.LBB70_21:                              ;   in Loop: Header=BB70_6 Depth=1
	s_wait_xcnt 0x0
	s_or_b32 exec_lo, exec_lo, s19
	v_lshl_add_u64 v[18:19], v[6:7], 3, s[16:17]
	s_and_saveexec_b32 s16, s30
	s_cbranch_execz .LBB70_25
; %bb.22:                               ;   in Loop: Header=BB70_6 Depth=1
	s_delay_alu instid0(VALU_DEP_4) | instskip(NEXT) | instid1(VALU_DEP_2)
	v_mul_f64_e32 v[16:17], s[12:13], v[16:17]
	v_lshl_add_u64 v[20:21], v[2:3], 3, v[18:19]
	s_and_not1_b32 vcc_lo, exec_lo, s22
	s_cbranch_vccnz .LBB70_30
; %bb.23:                               ;   in Loop: Header=BB70_6 Depth=1
	global_load_b64 v[22:23], v[20:21], off
	s_wait_loadcnt 0x0
	v_fma_f64 v[22:23], s[10:11], v[22:23], v[16:17]
	global_store_b64 v[20:21], v[22:23], off
	s_cbranch_execnz .LBB70_25
.LBB70_24:                              ;   in Loop: Header=BB70_6 Depth=1
	global_store_b64 v[20:21], v[16:17], off
.LBB70_25:                              ;   in Loop: Header=BB70_6 Depth=1
	s_wait_xcnt 0x0
	s_or_b32 exec_lo, exec_lo, s16
	s_and_saveexec_b32 s16, s4
	s_cbranch_execz .LBB70_5
; %bb.26:                               ;   in Loop: Header=BB70_6 Depth=1
	s_delay_alu instid0(VALU_DEP_3)
	v_mul_f64_e32 v[14:15], s[12:13], v[14:15]
	v_lshl_add_u64 v[16:17], v[8:9], 3, v[18:19]
	s_and_not1_b32 vcc_lo, exec_lo, s22
	s_cbranch_vccnz .LBB70_31
; %bb.27:                               ;   in Loop: Header=BB70_6 Depth=1
	global_load_b64 v[18:19], v[16:17], off
	s_wait_loadcnt 0x0
	v_fma_f64 v[18:19], s[10:11], v[18:19], v[14:15]
	global_store_b64 v[16:17], v[18:19], off
	s_cbranch_execnz .LBB70_5
	s_branch .LBB70_32
.LBB70_28:                              ;   in Loop: Header=BB70_6 Depth=1
	s_branch .LBB70_16
.LBB70_29:                              ;   in Loop: Header=BB70_6 Depth=1
	s_branch .LBB70_20
.LBB70_30:                              ;   in Loop: Header=BB70_6 Depth=1
	s_branch .LBB70_24
.LBB70_31:                              ;   in Loop: Header=BB70_6 Depth=1
.LBB70_32:                              ;   in Loop: Header=BB70_6 Depth=1
	global_store_b64 v[16:17], v[14:15], off
	s_branch .LBB70_5
.LBB70_33:
	s_endpgm
	.section	.rodata,"a",@progbits
	.p2align	6, 0x0
	.amdhsa_kernel _ZL29rocblas_internal_gemmt_kernelIiLi16ELi32ELi8ELc67ELc84ELc76ELb0ELb0EddPKdPdEviT_T9_T10_S3_lS5_S3_lS4_T11_S3_li
		.amdhsa_group_segment_fixed_size 4096
		.amdhsa_private_segment_fixed_size 0
		.amdhsa_kernarg_size 100
		.amdhsa_user_sgpr_count 2
		.amdhsa_user_sgpr_dispatch_ptr 0
		.amdhsa_user_sgpr_queue_ptr 0
		.amdhsa_user_sgpr_kernarg_segment_ptr 1
		.amdhsa_user_sgpr_dispatch_id 0
		.amdhsa_user_sgpr_kernarg_preload_length 0
		.amdhsa_user_sgpr_kernarg_preload_offset 0
		.amdhsa_user_sgpr_private_segment_size 0
		.amdhsa_wavefront_size32 1
		.amdhsa_uses_dynamic_stack 0
		.amdhsa_enable_private_segment 0
		.amdhsa_system_sgpr_workgroup_id_x 1
		.amdhsa_system_sgpr_workgroup_id_y 1
		.amdhsa_system_sgpr_workgroup_id_z 1
		.amdhsa_system_sgpr_workgroup_info 0
		.amdhsa_system_vgpr_workitem_id 1
		.amdhsa_next_free_vgpr 50
		.amdhsa_next_free_sgpr 34
		.amdhsa_named_barrier_count 0
		.amdhsa_reserve_vcc 1
		.amdhsa_float_round_mode_32 0
		.amdhsa_float_round_mode_16_64 0
		.amdhsa_float_denorm_mode_32 3
		.amdhsa_float_denorm_mode_16_64 3
		.amdhsa_fp16_overflow 0
		.amdhsa_memory_ordered 1
		.amdhsa_forward_progress 1
		.amdhsa_inst_pref_size 13
		.amdhsa_round_robin_scheduling 0
		.amdhsa_exception_fp_ieee_invalid_op 0
		.amdhsa_exception_fp_denorm_src 0
		.amdhsa_exception_fp_ieee_div_zero 0
		.amdhsa_exception_fp_ieee_overflow 0
		.amdhsa_exception_fp_ieee_underflow 0
		.amdhsa_exception_fp_ieee_inexact 0
		.amdhsa_exception_int_div_zero 0
	.end_amdhsa_kernel
	.section	.text._ZL29rocblas_internal_gemmt_kernelIiLi16ELi32ELi8ELc67ELc84ELc76ELb0ELb0EddPKdPdEviT_T9_T10_S3_lS5_S3_lS4_T11_S3_li,"axG",@progbits,_ZL29rocblas_internal_gemmt_kernelIiLi16ELi32ELi8ELc67ELc84ELc76ELb0ELb0EddPKdPdEviT_T9_T10_S3_lS5_S3_lS4_T11_S3_li,comdat
.Lfunc_end70:
	.size	_ZL29rocblas_internal_gemmt_kernelIiLi16ELi32ELi8ELc67ELc84ELc76ELb0ELb0EddPKdPdEviT_T9_T10_S3_lS5_S3_lS4_T11_S3_li, .Lfunc_end70-_ZL29rocblas_internal_gemmt_kernelIiLi16ELi32ELi8ELc67ELc84ELc76ELb0ELb0EddPKdPdEviT_T9_T10_S3_lS5_S3_lS4_T11_S3_li
                                        ; -- End function
	.set _ZL29rocblas_internal_gemmt_kernelIiLi16ELi32ELi8ELc67ELc84ELc76ELb0ELb0EddPKdPdEviT_T9_T10_S3_lS5_S3_lS4_T11_S3_li.num_vgpr, 50
	.set _ZL29rocblas_internal_gemmt_kernelIiLi16ELi32ELi8ELc67ELc84ELc76ELb0ELb0EddPKdPdEviT_T9_T10_S3_lS5_S3_lS4_T11_S3_li.num_agpr, 0
	.set _ZL29rocblas_internal_gemmt_kernelIiLi16ELi32ELi8ELc67ELc84ELc76ELb0ELb0EddPKdPdEviT_T9_T10_S3_lS5_S3_lS4_T11_S3_li.numbered_sgpr, 34
	.set _ZL29rocblas_internal_gemmt_kernelIiLi16ELi32ELi8ELc67ELc84ELc76ELb0ELb0EddPKdPdEviT_T9_T10_S3_lS5_S3_lS4_T11_S3_li.num_named_barrier, 0
	.set _ZL29rocblas_internal_gemmt_kernelIiLi16ELi32ELi8ELc67ELc84ELc76ELb0ELb0EddPKdPdEviT_T9_T10_S3_lS5_S3_lS4_T11_S3_li.private_seg_size, 0
	.set _ZL29rocblas_internal_gemmt_kernelIiLi16ELi32ELi8ELc67ELc84ELc76ELb0ELb0EddPKdPdEviT_T9_T10_S3_lS5_S3_lS4_T11_S3_li.uses_vcc, 1
	.set _ZL29rocblas_internal_gemmt_kernelIiLi16ELi32ELi8ELc67ELc84ELc76ELb0ELb0EddPKdPdEviT_T9_T10_S3_lS5_S3_lS4_T11_S3_li.uses_flat_scratch, 0
	.set _ZL29rocblas_internal_gemmt_kernelIiLi16ELi32ELi8ELc67ELc84ELc76ELb0ELb0EddPKdPdEviT_T9_T10_S3_lS5_S3_lS4_T11_S3_li.has_dyn_sized_stack, 0
	.set _ZL29rocblas_internal_gemmt_kernelIiLi16ELi32ELi8ELc67ELc84ELc76ELb0ELb0EddPKdPdEviT_T9_T10_S3_lS5_S3_lS4_T11_S3_li.has_recursion, 0
	.set _ZL29rocblas_internal_gemmt_kernelIiLi16ELi32ELi8ELc67ELc84ELc76ELb0ELb0EddPKdPdEviT_T9_T10_S3_lS5_S3_lS4_T11_S3_li.has_indirect_call, 0
	.section	.AMDGPU.csdata,"",@progbits
; Kernel info:
; codeLenInByte = 1648
; TotalNumSgprs: 36
; NumVgprs: 50
; ScratchSize: 0
; MemoryBound: 0
; FloatMode: 240
; IeeeMode: 1
; LDSByteSize: 4096 bytes/workgroup (compile time only)
; SGPRBlocks: 0
; VGPRBlocks: 3
; NumSGPRsForWavesPerEU: 36
; NumVGPRsForWavesPerEU: 50
; NamedBarCnt: 0
; Occupancy: 16
; WaveLimiterHint : 0
; COMPUTE_PGM_RSRC2:SCRATCH_EN: 0
; COMPUTE_PGM_RSRC2:USER_SGPR: 2
; COMPUTE_PGM_RSRC2:TRAP_HANDLER: 0
; COMPUTE_PGM_RSRC2:TGID_X_EN: 1
; COMPUTE_PGM_RSRC2:TGID_Y_EN: 1
; COMPUTE_PGM_RSRC2:TGID_Z_EN: 1
; COMPUTE_PGM_RSRC2:TIDIG_COMP_CNT: 1
	.section	.text._ZL29rocblas_internal_gemmt_kernelIiLi16ELi32ELi8ELc67ELc67ELc76ELb0ELb0EddPKdPdEviT_T9_T10_S3_lS5_S3_lS4_T11_S3_li,"axG",@progbits,_ZL29rocblas_internal_gemmt_kernelIiLi16ELi32ELi8ELc67ELc67ELc76ELb0ELb0EddPKdPdEviT_T9_T10_S3_lS5_S3_lS4_T11_S3_li,comdat
	.globl	_ZL29rocblas_internal_gemmt_kernelIiLi16ELi32ELi8ELc67ELc67ELc76ELb0ELb0EddPKdPdEviT_T9_T10_S3_lS5_S3_lS4_T11_S3_li ; -- Begin function _ZL29rocblas_internal_gemmt_kernelIiLi16ELi32ELi8ELc67ELc67ELc76ELb0ELb0EddPKdPdEviT_T9_T10_S3_lS5_S3_lS4_T11_S3_li
	.p2align	8
	.type	_ZL29rocblas_internal_gemmt_kernelIiLi16ELi32ELi8ELc67ELc67ELc76ELb0ELb0EddPKdPdEviT_T9_T10_S3_lS5_S3_lS4_T11_S3_li,@function
_ZL29rocblas_internal_gemmt_kernelIiLi16ELi32ELi8ELc67ELc67ELc76ELb0ELb0EddPKdPdEviT_T9_T10_S3_lS5_S3_lS4_T11_S3_li: ; @_ZL29rocblas_internal_gemmt_kernelIiLi16ELi32ELi8ELc67ELc67ELc76ELb0ELb0EddPKdPdEviT_T9_T10_S3_lS5_S3_lS4_T11_S3_li
; %bb.0:
	s_clause 0x2
	s_load_b128 s[8:11], s[0:1], 0x38
	s_load_b64 s[4:5], s[0:1], 0x0
	s_load_b128 s[12:15], s[0:1], 0x8
	s_wait_kmcnt 0x0
	v_cmp_neq_f64_e64 s2, s[10:11], 1.0
	s_and_b32 vcc_lo, exec_lo, s2
	s_cbranch_vccnz .LBB71_2
; %bb.1:
	v_cmp_neq_f64_e64 s2, s[12:13], 0
	s_cmp_lg_u32 s5, 0
	s_cselect_b32 s3, -1, 0
	s_delay_alu instid0(SALU_CYCLE_1)
	s_and_b32 s2, s3, s2
.LBB71_2:
	s_delay_alu instid0(SALU_CYCLE_1)
	s_and_not1_b32 vcc_lo, exec_lo, s2
	s_cbranch_vccnz .LBB71_33
; %bb.3:
	s_load_b32 s23, s[0:1], 0x60
	s_bfe_u32 s2, ttmp6, 0x40014
	s_lshr_b32 s3, ttmp7, 16
	s_add_co_i32 s2, s2, 1
	s_bfe_u32 s6, ttmp6, 0x40008
	s_mul_i32 s2, s3, s2
	s_getreg_b32 s28, hwreg(HW_REG_IB_STS2, 6, 4)
	s_add_co_i32 s6, s6, s2
	s_cmp_eq_u32 s28, 0
	s_mov_b32 s7, 0
	s_cselect_b32 s6, s3, s6
	s_wait_kmcnt 0x0
	s_cmp_ge_u32 s6, s23
	s_cbranch_scc1 .LBB71_33
; %bb.4:
	s_clause 0x3
	s_load_b32 s2, s[0:1], 0x18
	s_load_b32 s26, s[0:1], 0x30
	s_load_b96 s[20:22], s[0:1], 0x48
	s_load_b128 s[16:19], s[0:1], 0x20
	v_and_b32_e32 v9, 0x3ff, v0
	v_bfe_u32 v10, v0, 10, 10
	s_load_b64 s[24:25], s[0:1], 0x58
	s_wait_xcnt 0x0
	s_bfe_u32 s1, ttmp6, 0x4000c
	s_bfe_u32 s3, ttmp6, 0x40010
	s_and_b32 s30, ttmp7, 0xffff
	s_add_co_i32 s1, s1, 1
	s_add_co_i32 s3, s3, 1
	v_lshl_add_u32 v1, v10, 4, v9
	s_and_b32 s0, ttmp6, 15
	s_mul_i32 s1, ttmp9, s1
	s_mul_i32 s31, s30, s3
	s_bfe_u32 s33, ttmp6, 0x40004
	s_add_co_i32 s0, s0, s1
	s_add_co_i32 s33, s33, s31
	v_dual_lshrrev_b32 v5, 3, v1 :: v_dual_bitop2_b32 v4, 31, v1 bitop3:0x40
	s_wait_kmcnt 0x0
	s_ashr_i32 s3, s2, 31
	s_ashr_i32 s27, s26, 31
	;; [unrolled: 1-line block ×3, first 2 shown]
	s_cmp_eq_u32 s28, 0
	v_dual_lshrrev_b32 v30, 5, v1 :: v_dual_bitop2_b32 v0, 7, v0 bitop3:0x40
	s_cselect_b32 s0, ttmp9, s0
	s_cselect_b32 s1, s30, s33
	s_lshl_b32 s30, s0, 5
	s_delay_alu instid0(SALU_CYCLE_1) | instskip(SKIP_2) | instid1(VALU_DEP_1)
	v_dual_mov_b32 v11, 0 :: v_dual_bitop2_b32 v2, s30, v4 bitop3:0x54
	s_lshl_b32 s0, s1, 5
	s_mov_b32 s28, s22
	v_dual_mov_b32 v1, v11 :: v_dual_add_nc_u32 v12, s0, v5
	v_add_nc_u32_e32 v14, s0, v10
	v_ashrrev_i32_e32 v3, 31, v2
	v_cmp_neq_f64_e64 s31, s[12:13], 0
	v_cmp_gt_i32_e64 s0, s4, v2
	v_mul_u64_e32 v[18:19], s[26:27], v[0:1]
	v_dual_add_nc_u32 v20, 16, v14 :: v_dual_lshlrev_b32 v1, 3, v0
	v_mul_u64_e32 v[16:17], s[2:3], v[2:3]
	v_dual_lshlrev_b32 v3, 3, v4 :: v_dual_ashrrev_i32 v15, 31, v14
	s_delay_alu instid0(VALU_DEP_3) | instskip(NEXT) | instid1(VALU_DEP_4)
	v_dual_ashrrev_i32 v21, 31, v20 :: v_dual_add_nc_u32 v2, s30, v9
	v_lshl_or_b32 v8, v5, 6, v1
	v_cmp_neq_f64_e64 s22, s[10:11], 0
	s_delay_alu instid0(VALU_DEP_4) | instskip(NEXT) | instid1(VALU_DEP_4)
	v_mul_u64_e32 v[4:5], s[28:29], v[14:15]
	v_mul_u64_e32 v[6:7], s[28:29], v[20:21]
	v_ashrrev_i32_e32 v13, 31, v12
	v_cmp_gt_i32_e64 s1, s4, v12
	v_add_nc_u32_e32 v31, 0x800, v8
	v_dual_add_nc_u32 v8, 16, v2 :: v_dual_lshlrev_b32 v32, 3, v9
	s_delay_alu instid0(VALU_DEP_4)
	v_lshlrev_b64_e32 v[12:13], 3, v[12:13]
	v_lshl_add_u32 v33, v10, 6, 0x800
	v_lshlrev_b32_e32 v10, 3, v30
	v_cmp_le_i32_e32 vcc_lo, v14, v2
	v_cmp_gt_i32_e64 s2, s4, v2
	v_cmp_le_i32_e64 s3, v14, v8
	v_cmp_gt_i32_e64 s4, s4, v8
	s_cmp_gt_i32 s5, 0
	v_lshl_or_b32 v1, v30, 8, v3
	s_cselect_b32 s33, -1, 0
	s_and_b32 s28, vcc_lo, s2
	s_and_b32 s29, s3, s4
	v_cmp_le_i32_e32 vcc_lo, v20, v2
	v_cmp_le_i32_e64 s3, v20, v8
	v_dual_ashrrev_i32 v3, 31, v2 :: v_dual_ashrrev_i32 v9, 31, v8
	v_lshl_add_u64 v[12:13], v[18:19], 3, v[12:13]
	s_and_b32 s30, vcc_lo, s2
	v_lshl_add_u64 v[10:11], v[16:17], 3, v[10:11]
	s_and_b32 s4, s3, s4
	s_lshl_b64 s[2:3], s[16:17], 3
	v_add_nc_u64_e32 v[12:13], s[18:19], v[12:13]
	s_and_b32 s18, s31, s33
	v_add_nc_u64_e32 v[10:11], s[14:15], v[10:11]
	s_lshl_b64 s[8:9], s[8:9], 3
	s_lshl_b64 s[14:15], s[26:27], 6
	s_branch .LBB71_6
.LBB71_5:                               ;   in Loop: Header=BB71_6 Depth=1
	s_wait_xcnt 0x0
	s_or_b32 exec_lo, exec_lo, s16
	s_add_co_i32 s6, s6, 0x10000
	s_delay_alu instid0(SALU_CYCLE_1)
	s_cmp_lt_u32 s6, s23
	s_cbranch_scc0 .LBB71_33
.LBB71_6:                               ; =>This Loop Header: Depth=1
                                        ;     Child Loop BB71_9 Depth 2
	v_mov_b64_e32 v[20:21], 0
	v_mov_b64_e32 v[18:19], 0
	;; [unrolled: 1-line block ×4, first 2 shown]
	s_and_not1_b32 vcc_lo, exec_lo, s18
	s_cbranch_vccnz .LBB71_13
; %bb.7:                                ;   in Loop: Header=BB71_6 Depth=1
	v_mad_nc_u64_u32 v[22:23], s2, s6, v[10:11]
	v_mad_nc_u64_u32 v[24:25], s8, s6, v[12:13]
	v_mov_b64_e32 v[14:15], 0
	v_mov_b64_e32 v[16:17], 0
	;; [unrolled: 1-line block ×4, first 2 shown]
	s_mov_b32 s16, 0
	v_mad_u32 v23, s3, s6, v23
	v_mad_u32 v25, s9, s6, v25
	s_branch .LBB71_9
.LBB71_8:                               ;   in Loop: Header=BB71_9 Depth=2
	s_wait_xcnt 0x0
	s_or_b32 exec_lo, exec_lo, s17
	s_wait_loadcnt 0x0
	ds_store_b64 v31, v[28:29]
	s_wait_dscnt 0x0
	s_barrier_signal -1
	s_barrier_wait -1
	ds_load_b128 v[26:29], v33
	ds_load_2addr_b64 v[34:37], v32 offset1:16
	ds_load_b128 v[38:41], v33 offset:1024
	ds_load_b128 v[42:45], v33 offset:16
	;; [unrolled: 1-line block ×3, first 2 shown]
	v_add_nc_u64_e32 v[22:23], 64, v[22:23]
	v_add_nc_u64_e32 v[24:25], s[14:15], v[24:25]
	s_add_co_i32 s16, s16, 8
	s_delay_alu instid0(SALU_CYCLE_1)
	s_cmp_lt_i32 s16, s5
	s_wait_dscnt 0x3
	v_fmac_f64_e32 v[20:21], v[34:35], v[26:27]
	v_fmac_f64_e32 v[18:19], v[36:37], v[26:27]
	s_wait_dscnt 0x2
	v_fmac_f64_e32 v[16:17], v[34:35], v[38:39]
	v_fmac_f64_e32 v[14:15], v[36:37], v[38:39]
	ds_load_2addr_b64 v[34:37], v32 offset0:32 offset1:48
	s_wait_dscnt 0x0
	v_fmac_f64_e32 v[20:21], v[34:35], v[28:29]
	v_fmac_f64_e32 v[18:19], v[36:37], v[28:29]
	v_fmac_f64_e32 v[16:17], v[34:35], v[40:41]
	v_fmac_f64_e32 v[14:15], v[36:37], v[40:41]
	ds_load_2addr_b64 v[26:29], v32 offset0:64 offset1:80
	s_wait_dscnt 0x0
	v_fmac_f64_e32 v[20:21], v[26:27], v[42:43]
	v_fmac_f64_e32 v[18:19], v[28:29], v[42:43]
	;; [unrolled: 6-line block ×3, first 2 shown]
	v_fmac_f64_e32 v[16:17], v[26:27], v[48:49]
	v_fmac_f64_e32 v[14:15], v[28:29], v[48:49]
	ds_load_b128 v[26:29], v33 offset:32
	ds_load_2addr_b64 v[34:37], v32 offset0:128 offset1:144
	ds_load_b128 v[38:41], v33 offset:1056
	ds_load_b128 v[42:45], v33 offset:48
	;; [unrolled: 1-line block ×3, first 2 shown]
	s_wait_dscnt 0x3
	v_fmac_f64_e32 v[20:21], v[34:35], v[26:27]
	v_fmac_f64_e32 v[18:19], v[36:37], v[26:27]
	s_wait_dscnt 0x2
	v_fmac_f64_e32 v[16:17], v[34:35], v[38:39]
	v_fmac_f64_e32 v[14:15], v[36:37], v[38:39]
	ds_load_2addr_b64 v[34:37], v32 offset0:160 offset1:176
	s_wait_dscnt 0x0
	v_fmac_f64_e32 v[20:21], v[34:35], v[28:29]
	v_fmac_f64_e32 v[18:19], v[36:37], v[28:29]
	;; [unrolled: 1-line block ×4, first 2 shown]
	ds_load_2addr_b64 v[26:29], v32 offset0:192 offset1:208
	s_wait_dscnt 0x0
	v_fmac_f64_e32 v[20:21], v[26:27], v[42:43]
	v_fmac_f64_e32 v[18:19], v[28:29], v[42:43]
	;; [unrolled: 1-line block ×4, first 2 shown]
	ds_load_2addr_b64 v[26:29], v32 offset0:224 offset1:240
	s_wait_dscnt 0x0
	s_barrier_signal -1
	s_barrier_wait -1
	v_fmac_f64_e32 v[20:21], v[26:27], v[44:45]
	v_fmac_f64_e32 v[18:19], v[28:29], v[44:45]
	;; [unrolled: 1-line block ×4, first 2 shown]
	s_cbranch_scc0 .LBB71_13
.LBB71_9:                               ;   Parent Loop BB71_6 Depth=1
                                        ; =>  This Inner Loop Header: Depth=2
	v_add_nc_u32_e32 v26, s16, v30
	s_delay_alu instid0(VALU_DEP_1) | instskip(SKIP_2) | instid1(SALU_CYCLE_1)
	v_cmp_gt_i32_e32 vcc_lo, s5, v26
	v_mov_b64_e32 v[26:27], 0
	s_and_b32 s19, s0, vcc_lo
	s_and_saveexec_b32 s17, s19
	s_cbranch_execz .LBB71_11
; %bb.10:                               ;   in Loop: Header=BB71_9 Depth=2
	global_load_b64 v[26:27], v[22:23], off
.LBB71_11:                              ;   in Loop: Header=BB71_9 Depth=2
	s_wait_xcnt 0x0
	s_or_b32 exec_lo, exec_lo, s17
	v_add_nc_u32_e32 v28, s16, v0
	s_wait_loadcnt 0x0
	ds_store_b64 v1, v[26:27]
	v_cmp_gt_i32_e32 vcc_lo, s5, v28
	v_mov_b64_e32 v[28:29], 0
	s_and_b32 s19, vcc_lo, s1
	s_delay_alu instid0(SALU_CYCLE_1)
	s_and_saveexec_b32 s17, s19
	s_cbranch_execz .LBB71_8
; %bb.12:                               ;   in Loop: Header=BB71_9 Depth=2
	global_load_b64 v[28:29], v[24:25], off
	s_branch .LBB71_8
.LBB71_13:                              ;   in Loop: Header=BB71_6 Depth=1
	s_mul_u64 s[16:17], s[24:25], s[6:7]
	s_delay_alu instid0(SALU_CYCLE_1) | instskip(NEXT) | instid1(SALU_CYCLE_1)
	s_lshl_b64 s[16:17], s[16:17], 3
	s_add_nc_u64 s[16:17], s[20:21], s[16:17]
	s_delay_alu instid0(SALU_CYCLE_1)
	v_lshl_add_u64 v[22:23], v[4:5], 3, s[16:17]
	s_and_saveexec_b32 s19, s28
	s_cbranch_execz .LBB71_17
; %bb.14:                               ;   in Loop: Header=BB71_6 Depth=1
	v_mul_f64_e32 v[20:21], s[12:13], v[20:21]
	s_delay_alu instid0(VALU_DEP_2)
	v_lshl_add_u64 v[24:25], v[2:3], 3, v[22:23]
	s_and_b32 vcc_lo, exec_lo, s22
	s_cbranch_vccz .LBB71_28
; %bb.15:                               ;   in Loop: Header=BB71_6 Depth=1
	global_load_b64 v[26:27], v[24:25], off
	s_wait_loadcnt 0x0
	v_fma_f64 v[26:27], s[10:11], v[26:27], v[20:21]
	global_store_b64 v[24:25], v[26:27], off
	s_cbranch_execnz .LBB71_17
.LBB71_16:                              ;   in Loop: Header=BB71_6 Depth=1
	global_store_b64 v[24:25], v[20:21], off
.LBB71_17:                              ;   in Loop: Header=BB71_6 Depth=1
	s_wait_xcnt 0x0
	s_or_b32 exec_lo, exec_lo, s19
	s_and_saveexec_b32 s19, s29
	s_cbranch_execz .LBB71_21
; %bb.18:                               ;   in Loop: Header=BB71_6 Depth=1
	s_delay_alu instid0(VALU_DEP_4)
	v_mul_f64_e32 v[18:19], s[12:13], v[18:19]
	v_lshl_add_u64 v[20:21], v[8:9], 3, v[22:23]
	s_and_not1_b32 vcc_lo, exec_lo, s22
	s_cbranch_vccnz .LBB71_29
; %bb.19:                               ;   in Loop: Header=BB71_6 Depth=1
	global_load_b64 v[22:23], v[20:21], off
	s_wait_loadcnt 0x0
	v_fma_f64 v[22:23], s[10:11], v[22:23], v[18:19]
	global_store_b64 v[20:21], v[22:23], off
	s_cbranch_execnz .LBB71_21
.LBB71_20:                              ;   in Loop: Header=BB71_6 Depth=1
	global_store_b64 v[20:21], v[18:19], off
.LBB71_21:                              ;   in Loop: Header=BB71_6 Depth=1
	s_wait_xcnt 0x0
	s_or_b32 exec_lo, exec_lo, s19
	v_lshl_add_u64 v[18:19], v[6:7], 3, s[16:17]
	s_and_saveexec_b32 s16, s30
	s_cbranch_execz .LBB71_25
; %bb.22:                               ;   in Loop: Header=BB71_6 Depth=1
	s_delay_alu instid0(VALU_DEP_4) | instskip(NEXT) | instid1(VALU_DEP_2)
	v_mul_f64_e32 v[16:17], s[12:13], v[16:17]
	v_lshl_add_u64 v[20:21], v[2:3], 3, v[18:19]
	s_and_not1_b32 vcc_lo, exec_lo, s22
	s_cbranch_vccnz .LBB71_30
; %bb.23:                               ;   in Loop: Header=BB71_6 Depth=1
	global_load_b64 v[22:23], v[20:21], off
	s_wait_loadcnt 0x0
	v_fma_f64 v[22:23], s[10:11], v[22:23], v[16:17]
	global_store_b64 v[20:21], v[22:23], off
	s_cbranch_execnz .LBB71_25
.LBB71_24:                              ;   in Loop: Header=BB71_6 Depth=1
	global_store_b64 v[20:21], v[16:17], off
.LBB71_25:                              ;   in Loop: Header=BB71_6 Depth=1
	s_wait_xcnt 0x0
	s_or_b32 exec_lo, exec_lo, s16
	s_and_saveexec_b32 s16, s4
	s_cbranch_execz .LBB71_5
; %bb.26:                               ;   in Loop: Header=BB71_6 Depth=1
	s_delay_alu instid0(VALU_DEP_3)
	v_mul_f64_e32 v[14:15], s[12:13], v[14:15]
	v_lshl_add_u64 v[16:17], v[8:9], 3, v[18:19]
	s_and_not1_b32 vcc_lo, exec_lo, s22
	s_cbranch_vccnz .LBB71_31
; %bb.27:                               ;   in Loop: Header=BB71_6 Depth=1
	global_load_b64 v[18:19], v[16:17], off
	s_wait_loadcnt 0x0
	v_fma_f64 v[18:19], s[10:11], v[18:19], v[14:15]
	global_store_b64 v[16:17], v[18:19], off
	s_cbranch_execnz .LBB71_5
	s_branch .LBB71_32
.LBB71_28:                              ;   in Loop: Header=BB71_6 Depth=1
	s_branch .LBB71_16
.LBB71_29:                              ;   in Loop: Header=BB71_6 Depth=1
	s_branch .LBB71_20
.LBB71_30:                              ;   in Loop: Header=BB71_6 Depth=1
	s_branch .LBB71_24
.LBB71_31:                              ;   in Loop: Header=BB71_6 Depth=1
.LBB71_32:                              ;   in Loop: Header=BB71_6 Depth=1
	global_store_b64 v[16:17], v[14:15], off
	s_branch .LBB71_5
.LBB71_33:
	s_endpgm
	.section	.rodata,"a",@progbits
	.p2align	6, 0x0
	.amdhsa_kernel _ZL29rocblas_internal_gemmt_kernelIiLi16ELi32ELi8ELc67ELc67ELc76ELb0ELb0EddPKdPdEviT_T9_T10_S3_lS5_S3_lS4_T11_S3_li
		.amdhsa_group_segment_fixed_size 4096
		.amdhsa_private_segment_fixed_size 0
		.amdhsa_kernarg_size 100
		.amdhsa_user_sgpr_count 2
		.amdhsa_user_sgpr_dispatch_ptr 0
		.amdhsa_user_sgpr_queue_ptr 0
		.amdhsa_user_sgpr_kernarg_segment_ptr 1
		.amdhsa_user_sgpr_dispatch_id 0
		.amdhsa_user_sgpr_kernarg_preload_length 0
		.amdhsa_user_sgpr_kernarg_preload_offset 0
		.amdhsa_user_sgpr_private_segment_size 0
		.amdhsa_wavefront_size32 1
		.amdhsa_uses_dynamic_stack 0
		.amdhsa_enable_private_segment 0
		.amdhsa_system_sgpr_workgroup_id_x 1
		.amdhsa_system_sgpr_workgroup_id_y 1
		.amdhsa_system_sgpr_workgroup_id_z 1
		.amdhsa_system_sgpr_workgroup_info 0
		.amdhsa_system_vgpr_workitem_id 1
		.amdhsa_next_free_vgpr 50
		.amdhsa_next_free_sgpr 34
		.amdhsa_named_barrier_count 0
		.amdhsa_reserve_vcc 1
		.amdhsa_float_round_mode_32 0
		.amdhsa_float_round_mode_16_64 0
		.amdhsa_float_denorm_mode_32 3
		.amdhsa_float_denorm_mode_16_64 3
		.amdhsa_fp16_overflow 0
		.amdhsa_memory_ordered 1
		.amdhsa_forward_progress 1
		.amdhsa_inst_pref_size 13
		.amdhsa_round_robin_scheduling 0
		.amdhsa_exception_fp_ieee_invalid_op 0
		.amdhsa_exception_fp_denorm_src 0
		.amdhsa_exception_fp_ieee_div_zero 0
		.amdhsa_exception_fp_ieee_overflow 0
		.amdhsa_exception_fp_ieee_underflow 0
		.amdhsa_exception_fp_ieee_inexact 0
		.amdhsa_exception_int_div_zero 0
	.end_amdhsa_kernel
	.section	.text._ZL29rocblas_internal_gemmt_kernelIiLi16ELi32ELi8ELc67ELc67ELc76ELb0ELb0EddPKdPdEviT_T9_T10_S3_lS5_S3_lS4_T11_S3_li,"axG",@progbits,_ZL29rocblas_internal_gemmt_kernelIiLi16ELi32ELi8ELc67ELc67ELc76ELb0ELb0EddPKdPdEviT_T9_T10_S3_lS5_S3_lS4_T11_S3_li,comdat
.Lfunc_end71:
	.size	_ZL29rocblas_internal_gemmt_kernelIiLi16ELi32ELi8ELc67ELc67ELc76ELb0ELb0EddPKdPdEviT_T9_T10_S3_lS5_S3_lS4_T11_S3_li, .Lfunc_end71-_ZL29rocblas_internal_gemmt_kernelIiLi16ELi32ELi8ELc67ELc67ELc76ELb0ELb0EddPKdPdEviT_T9_T10_S3_lS5_S3_lS4_T11_S3_li
                                        ; -- End function
	.set _ZL29rocblas_internal_gemmt_kernelIiLi16ELi32ELi8ELc67ELc67ELc76ELb0ELb0EddPKdPdEviT_T9_T10_S3_lS5_S3_lS4_T11_S3_li.num_vgpr, 50
	.set _ZL29rocblas_internal_gemmt_kernelIiLi16ELi32ELi8ELc67ELc67ELc76ELb0ELb0EddPKdPdEviT_T9_T10_S3_lS5_S3_lS4_T11_S3_li.num_agpr, 0
	.set _ZL29rocblas_internal_gemmt_kernelIiLi16ELi32ELi8ELc67ELc67ELc76ELb0ELb0EddPKdPdEviT_T9_T10_S3_lS5_S3_lS4_T11_S3_li.numbered_sgpr, 34
	.set _ZL29rocblas_internal_gemmt_kernelIiLi16ELi32ELi8ELc67ELc67ELc76ELb0ELb0EddPKdPdEviT_T9_T10_S3_lS5_S3_lS4_T11_S3_li.num_named_barrier, 0
	.set _ZL29rocblas_internal_gemmt_kernelIiLi16ELi32ELi8ELc67ELc67ELc76ELb0ELb0EddPKdPdEviT_T9_T10_S3_lS5_S3_lS4_T11_S3_li.private_seg_size, 0
	.set _ZL29rocblas_internal_gemmt_kernelIiLi16ELi32ELi8ELc67ELc67ELc76ELb0ELb0EddPKdPdEviT_T9_T10_S3_lS5_S3_lS4_T11_S3_li.uses_vcc, 1
	.set _ZL29rocblas_internal_gemmt_kernelIiLi16ELi32ELi8ELc67ELc67ELc76ELb0ELb0EddPKdPdEviT_T9_T10_S3_lS5_S3_lS4_T11_S3_li.uses_flat_scratch, 0
	.set _ZL29rocblas_internal_gemmt_kernelIiLi16ELi32ELi8ELc67ELc67ELc76ELb0ELb0EddPKdPdEviT_T9_T10_S3_lS5_S3_lS4_T11_S3_li.has_dyn_sized_stack, 0
	.set _ZL29rocblas_internal_gemmt_kernelIiLi16ELi32ELi8ELc67ELc67ELc76ELb0ELb0EddPKdPdEviT_T9_T10_S3_lS5_S3_lS4_T11_S3_li.has_recursion, 0
	.set _ZL29rocblas_internal_gemmt_kernelIiLi16ELi32ELi8ELc67ELc67ELc76ELb0ELb0EddPKdPdEviT_T9_T10_S3_lS5_S3_lS4_T11_S3_li.has_indirect_call, 0
	.section	.AMDGPU.csdata,"",@progbits
; Kernel info:
; codeLenInByte = 1648
; TotalNumSgprs: 36
; NumVgprs: 50
; ScratchSize: 0
; MemoryBound: 0
; FloatMode: 240
; IeeeMode: 1
; LDSByteSize: 4096 bytes/workgroup (compile time only)
; SGPRBlocks: 0
; VGPRBlocks: 3
; NumSGPRsForWavesPerEU: 36
; NumVGPRsForWavesPerEU: 50
; NamedBarCnt: 0
; Occupancy: 16
; WaveLimiterHint : 0
; COMPUTE_PGM_RSRC2:SCRATCH_EN: 0
; COMPUTE_PGM_RSRC2:USER_SGPR: 2
; COMPUTE_PGM_RSRC2:TRAP_HANDLER: 0
; COMPUTE_PGM_RSRC2:TGID_X_EN: 1
; COMPUTE_PGM_RSRC2:TGID_Y_EN: 1
; COMPUTE_PGM_RSRC2:TGID_Z_EN: 1
; COMPUTE_PGM_RSRC2:TIDIG_COMP_CNT: 1
	.section	.text._ZL29rocblas_internal_gemmt_kernelIiLi16ELi32ELi8ELc78ELc78ELc85ELb0ELb0E19rocblas_complex_numIfEPKS1_S3_PS1_EviT_T9_T10_S5_lS7_S5_lS6_T11_S5_li,"axG",@progbits,_ZL29rocblas_internal_gemmt_kernelIiLi16ELi32ELi8ELc78ELc78ELc85ELb0ELb0E19rocblas_complex_numIfEPKS1_S3_PS1_EviT_T9_T10_S5_lS7_S5_lS6_T11_S5_li,comdat
	.globl	_ZL29rocblas_internal_gemmt_kernelIiLi16ELi32ELi8ELc78ELc78ELc85ELb0ELb0E19rocblas_complex_numIfEPKS1_S3_PS1_EviT_T9_T10_S5_lS7_S5_lS6_T11_S5_li ; -- Begin function _ZL29rocblas_internal_gemmt_kernelIiLi16ELi32ELi8ELc78ELc78ELc85ELb0ELb0E19rocblas_complex_numIfEPKS1_S3_PS1_EviT_T9_T10_S5_lS7_S5_lS6_T11_S5_li
	.p2align	8
	.type	_ZL29rocblas_internal_gemmt_kernelIiLi16ELi32ELi8ELc78ELc78ELc85ELb0ELb0E19rocblas_complex_numIfEPKS1_S3_PS1_EviT_T9_T10_S5_lS7_S5_lS6_T11_S5_li,@function
_ZL29rocblas_internal_gemmt_kernelIiLi16ELi32ELi8ELc78ELc78ELc85ELb0ELb0E19rocblas_complex_numIfEPKS1_S3_PS1_EviT_T9_T10_S5_lS7_S5_lS6_T11_S5_li: ; @_ZL29rocblas_internal_gemmt_kernelIiLi16ELi32ELi8ELc78ELc78ELc85ELb0ELb0E19rocblas_complex_numIfEPKS1_S3_PS1_EviT_T9_T10_S5_lS7_S5_lS6_T11_S5_li
; %bb.0:
	s_load_b128 s[8:11], s[0:1], 0x38
	s_wait_kmcnt 0x0
	s_load_b64 s[20:21], s[10:11], 0x0
	s_clause 0x1
	s_load_b128 s[4:7], s[0:1], 0x8
	s_load_b64 s[22:23], s[0:1], 0x0
	s_wait_kmcnt 0x0
	s_cmp_neq_f32 s20, 1.0
	s_load_b64 s[10:11], s[4:5], 0x0
	s_cselect_b32 s2, -1, 0
	s_and_b32 s3, s21, 0x7fffffff
	s_delay_alu instid0(SALU_CYCLE_1) | instskip(SKIP_3) | instid1(SALU_CYCLE_1)
	s_cmp_eq_u32 s3, 0
	s_cselect_b32 s30, -1, 0
	s_cmp_lg_u32 s3, 0
	s_cselect_b32 s3, -1, 0
	s_or_b32 s2, s2, s3
	s_delay_alu instid0(SALU_CYCLE_1)
	s_and_b32 vcc_lo, exec_lo, s2
	s_cbranch_vccnz .LBB72_2
; %bb.1:
	s_cmp_lg_u32 s23, 0
	s_cselect_b32 s2, -1, 0
	s_wait_kmcnt 0x0
	s_cmp_neq_f32 s10, 0
	s_cselect_b32 s3, -1, 0
	s_cmp_neq_f32 s11, 0
	s_cselect_b32 s4, -1, 0
	s_delay_alu instid0(SALU_CYCLE_1) | instskip(NEXT) | instid1(SALU_CYCLE_1)
	s_or_b32 s3, s3, s4
	s_and_b32 s2, s2, s3
.LBB72_2:
	s_delay_alu instid0(SALU_CYCLE_1)
	s_and_not1_b32 vcc_lo, exec_lo, s2
	s_cbranch_vccnz .LBB72_33
; %bb.3:
	s_load_b32 s19, s[0:1], 0x60
	s_bfe_u32 s2, ttmp6, 0x40014
	s_lshr_b32 s3, ttmp7, 16
	s_add_co_i32 s2, s2, 1
	s_wait_xcnt 0x0
	s_bfe_u32 s5, ttmp6, 0x40008
	s_mul_i32 s2, s3, s2
	s_getreg_b32 s4, hwreg(HW_REG_IB_STS2, 6, 4)
	s_add_co_i32 s5, s5, s2
	s_cmp_eq_u32 s4, 0
	s_mov_b32 s25, 0
	s_cselect_b32 s24, s3, s5
	s_wait_kmcnt 0x0
	s_cmp_ge_u32 s24, s19
	s_cbranch_scc1 .LBB72_33
; %bb.4:
	s_clause 0x3
	s_load_b32 s28, s[0:1], 0x18
	s_load_b32 s2, s[0:1], 0x30
	s_load_b96 s[16:18], s[0:1], 0x48
	s_load_b128 s[12:15], s[0:1], 0x20
	v_and_b32_e32 v1, 0x3ff, v0
	v_bfe_u32 v3, v0, 10, 10
	s_load_b64 s[26:27], s[0:1], 0x58
	s_wait_xcnt 0x0
	s_bfe_u32 s1, ttmp6, 0x4000c
	s_bfe_u32 s3, ttmp6, 0x40010
	s_and_b32 s31, ttmp7, 0xffff
	s_add_co_i32 s1, s1, 1
	s_add_co_i32 s3, s3, 1
	v_lshl_add_u32 v2, v3, 4, v1
	s_and_b32 s0, ttmp6, 15
	s_bfe_u32 s5, ttmp6, 0x40004
	s_mul_i32 s1, ttmp9, s1
	s_mul_i32 s3, s31, s3
	s_add_co_i32 s0, s0, s1
	s_add_co_i32 s1, s5, s3
	v_dual_lshrrev_b32 v4, 5, v2 :: v_dual_bitop2_b32 v5, 31, v2 bitop3:0x40
	s_wait_kmcnt 0x0
	s_ashr_i32 s29, s28, 31
	s_ashr_i32 s3, s2, 31
	;; [unrolled: 1-line block ×3, first 2 shown]
	s_cmp_eq_u32 s4, 0
	v_dual_lshrrev_b32 v7, 3, v2 :: v_dual_bitop2_b32 v23, 7, v0 bitop3:0x40
	s_cselect_b32 s0, ttmp9, s0
	s_cselect_b32 s1, s31, s1
	s_lshl_b32 s31, s0, 5
	s_lshl_b32 s33, s1, 5
	v_dual_lshlrev_b32 v5, 3, v5 :: v_dual_bitop2_b32 v0, s31, v5 bitop3:0x54
	v_lshlrev_b32_e32 v2, 3, v23
	v_add_nc_u32_e32 v14, s33, v3
	v_add_nc_u32_e32 v6, s33, v7
	s_cmp_neq_f32 s10, 0
	v_lshl_or_b32 v25, v4, 8, v5
	v_mov_b32_e32 v5, 0
	v_lshl_or_b32 v8, v7, 6, v2
	v_add_nc_u32_e32 v20, 16, v14
	v_dual_ashrrev_i32 v7, 31, v6 :: v_dual_lshlrev_b32 v29, 3, v1
	s_delay_alu instid0(VALU_DEP_4) | instskip(SKIP_2) | instid1(VALU_DEP_2)
	v_mul_u64_e32 v[16:17], s[28:29], v[4:5]
	s_cselect_b32 s0, -1, 0
	s_cmp_neq_f32 s11, 0
	v_mul_u64_e32 v[18:19], s[2:3], v[6:7]
	v_ashrrev_i32_e32 v21, 31, v20
	s_mov_b32 s4, s18
	s_cselect_b32 s1, -1, 0
	v_add_nc_u32_e32 v27, 0x800, v8
	s_or_b32 s34, s0, s1
	v_cmp_gt_i32_e64 s1, s22, v6
	v_dual_add_nc_u32 v6, s31, v1 :: v_dual_ashrrev_i32 v15, 31, v14
	v_mul_u64_e32 v[12:13], s[4:5], v[20:21]
	v_cmp_gt_i32_e64 s0, s22, v0
	s_cmp_gt_i32 s23, 0
	v_dual_add_nc_u32 v10, 16, v6 :: v_dual_ashrrev_i32 v7, 31, v6
	v_mul_u64_e32 v[8:9], s[4:5], v[14:15]
	v_ashrrev_i32_e32 v1, 31, v0
	v_cmp_gt_i32_e32 vcc_lo, s22, v14
	s_delay_alu instid0(VALU_DEP_4)
	v_ashrrev_i32_e32 v11, 31, v10
	v_cmp_le_i32_e64 s2, v6, v14
	v_lshl_add_u32 v31, v3, 6, 0x800
	v_lshlrev_b64_e32 v[0:1], 3, v[0:1]
	v_mov_b32_e32 v3, v5
	s_cselect_b32 s35, -1, 0
	s_cmp_neq_f32 s20, 0
	s_mov_b32 s5, s10
	s_cselect_b32 s3, -1, 0
	s_xor_b32 s4, s30, -1
	s_and_b32 s30, vcc_lo, s2
	v_cmp_le_i32_e64 s2, v10, v14
	v_lshl_add_u64 v[0:1], v[16:17], 3, v[0:1]
	v_lshl_add_u64 v[2:3], v[18:19], 3, v[2:3]
	s_or_b32 s18, s3, s4
	v_cmp_gt_i32_e64 s3, s22, v20
	v_cmp_le_i32_e64 s4, v6, v20
	s_and_b32 s22, vcc_lo, s2
	v_cmp_le_i32_e32 vcc_lo, v10, v20
	v_add_nc_u64_e32 v[14:15], s[6:7], v[0:1]
	v_add_nc_u64_e32 v[16:17], s[14:15], v[2:3]
	s_and_b32 s31, s3, s4
	s_mov_b32 s2, s20
	s_and_b32 s33, s3, vcc_lo
	s_mov_b32 s3, s20
	s_mov_b32 s20, s21
	;; [unrolled: 1-line block ×3, first 2 shown]
	s_and_b32 s34, s34, s35
	s_lshl_b64 s[6:7], s[12:13], 3
	s_lshl_b64 s[12:13], s[28:29], 6
	;; [unrolled: 1-line block ×3, first 2 shown]
	s_branch .LBB72_6
.LBB72_5:                               ;   in Loop: Header=BB72_6 Depth=1
	s_wait_xcnt 0x0
	s_or_b32 exec_lo, exec_lo, s14
	s_add_co_i32 s24, s24, 0x10000
	s_delay_alu instid0(SALU_CYCLE_1)
	s_cmp_lt_u32 s24, s19
	s_cbranch_scc0 .LBB72_33
.LBB72_6:                               ; =>This Loop Header: Depth=1
                                        ;     Child Loop BB72_9 Depth 2
	v_dual_mov_b32 v34, 0 :: v_dual_mov_b32 v36, 0
	v_dual_mov_b32 v30, 0 :: v_dual_mov_b32 v32, 0
	v_dual_mov_b32 v26, 0 :: v_dual_mov_b32 v28, 0
	v_dual_mov_b32 v22, 0 :: v_dual_mov_b32 v24, 0
	s_and_not1_b32 vcc_lo, exec_lo, s34
	s_cbranch_vccnz .LBB72_13
; %bb.7:                                ;   in Loop: Header=BB72_6 Depth=1
	v_mad_nc_u64_u32 v[18:19], s6, s24, v[14:15]
	v_mad_nc_u64_u32 v[20:21], s8, s24, v[16:17]
	v_dual_mov_b32 v24, 0 :: v_dual_mov_b32 v22, 0
	v_dual_mov_b32 v28, 0 :: v_dual_mov_b32 v26, 0
	;; [unrolled: 1-line block ×4, first 2 shown]
	s_mov_b32 s14, 0
	v_mad_u32 v19, s7, s24, v19
	v_mad_u32 v21, s9, s24, v21
	s_branch .LBB72_9
.LBB72_8:                               ;   in Loop: Header=BB72_9 Depth=2
	s_wait_xcnt 0x0
	s_or_b32 exec_lo, exec_lo, s15
	s_wait_loadcnt 0x0
	ds_store_b64 v27, v[2:3]
	s_wait_dscnt 0x0
	s_barrier_signal -1
	s_barrier_wait -1
	ds_load_b128 v[38:41], v31
	ds_load_b128 v[42:45], v31 offset:16
	ds_load_b128 v[46:49], v31 offset:32
	;; [unrolled: 1-line block ×3, first 2 shown]
	ds_load_2addr_b64 v[50:53], v29 offset1:16
	v_add_nc_u64_e32 v[18:19], s[12:13], v[18:19]
	v_add_nc_u64_e32 v[20:21], 64, v[20:21]
	s_add_co_i32 s14, s14, 8
	s_delay_alu instid0(SALU_CYCLE_1) | instskip(SKIP_2) | instid1(VALU_DEP_1)
	s_cmp_lt_i32 s14, s23
	s_wait_dscnt 0x0
	v_dual_mul_f32 v5, v39, v51 :: v_dual_mul_f32 v33, v38, v51
	v_fmac_f32_e32 v33, v39, v50
	s_delay_alu instid0(VALU_DEP_1) | instskip(NEXT) | instid1(VALU_DEP_1)
	v_dual_fma_f32 v5, v38, v50, -v5 :: v_dual_add_f32 v54, v36, v33
	v_add_f32_e32 v5, v34, v5
	v_dual_mul_f32 v33, v39, v53 :: v_dual_mul_f32 v34, v38, v53
	s_delay_alu instid0(VALU_DEP_1) | instskip(NEXT) | instid1(VALU_DEP_1)
	v_dual_fma_f32 v33, v38, v52, -v33 :: v_dual_fmac_f32 v34, v39, v52
	v_dual_add_f32 v30, v30, v33 :: v_dual_add_f32 v55, v32, v34
	ds_load_b128 v[32:35], v31 offset:1024
	s_wait_dscnt 0x0
	v_dual_mul_f32 v36, v33, v51 :: v_dual_mul_f32 v37, v32, v51
	s_delay_alu instid0(VALU_DEP_1) | instskip(NEXT) | instid1(VALU_DEP_1)
	v_dual_fma_f32 v36, v32, v50, -v36 :: v_dual_fmac_f32 v37, v33, v50
	v_dual_add_f32 v26, v26, v36 :: v_dual_add_f32 v28, v28, v37
	v_mul_f32_e32 v36, v33, v53
	s_delay_alu instid0(VALU_DEP_1) | instskip(NEXT) | instid1(VALU_DEP_1)
	v_dual_fma_f32 v36, v32, v52, -v36 :: v_dual_mul_f32 v32, v32, v53
	v_add_f32_e32 v22, v22, v36
	ds_load_2addr_b64 v[36:39], v29 offset0:32 offset1:48
	s_wait_dscnt 0x0
	v_dual_fmac_f32 v32, v33, v52 :: v_dual_mul_f32 v33, v40, v37
	s_delay_alu instid0(VALU_DEP_1) | instskip(NEXT) | instid1(VALU_DEP_1)
	v_dual_add_f32 v24, v24, v32 :: v_dual_mul_f32 v32, v41, v37
	v_dual_fmac_f32 v33, v41, v36 :: v_dual_fma_f32 v32, v40, v36, -v32
	s_delay_alu instid0(VALU_DEP_1) | instskip(NEXT) | instid1(VALU_DEP_2)
	v_add_f32_e32 v5, v5, v32
	v_dual_mul_f32 v32, v41, v39 :: v_dual_add_f32 v50, v54, v33
	s_delay_alu instid0(VALU_DEP_1) | instskip(NEXT) | instid1(VALU_DEP_1)
	v_dual_fma_f32 v32, v40, v38, -v32 :: v_dual_mul_f32 v33, v40, v39
	v_dual_add_f32 v30, v30, v32 :: v_dual_fmac_f32 v33, v41, v38
	v_mul_f32_e32 v32, v35, v37
	s_delay_alu instid0(VALU_DEP_1) | instskip(SKIP_1) | instid1(VALU_DEP_2)
	v_dual_add_f32 v40, v55, v33 :: v_dual_fma_f32 v32, v34, v36, -v32
	v_mul_f32_e32 v33, v34, v37
	v_dual_add_f32 v26, v26, v32 :: v_dual_mul_f32 v32, v35, v39
	s_delay_alu instid0(VALU_DEP_1) | instskip(NEXT) | instid1(VALU_DEP_1)
	v_dual_fmac_f32 v33, v35, v36 :: v_dual_fma_f32 v32, v34, v38, -v32
	v_dual_add_f32 v28, v28, v33 :: v_dual_mul_f32 v33, v34, v39
	s_delay_alu instid0(VALU_DEP_1) | instskip(NEXT) | instid1(VALU_DEP_1)
	v_dual_add_f32 v22, v22, v32 :: v_dual_fmac_f32 v33, v35, v38
	v_add_f32_e32 v24, v24, v33
	ds_load_2addr_b64 v[32:35], v29 offset0:64 offset1:80
	s_wait_dscnt 0x0
	v_dual_mul_f32 v36, v43, v33 :: v_dual_mul_f32 v37, v42, v33
	s_delay_alu instid0(VALU_DEP_1) | instskip(NEXT) | instid1(VALU_DEP_1)
	v_dual_fma_f32 v36, v42, v32, -v36 :: v_dual_fmac_f32 v37, v43, v32
	v_dual_add_f32 v5, v5, v36 :: v_dual_add_f32 v41, v50, v37
	v_dual_mul_f32 v36, v43, v35 :: v_dual_mul_f32 v37, v42, v35
	s_delay_alu instid0(VALU_DEP_1) | instskip(NEXT) | instid1(VALU_DEP_1)
	v_dual_fma_f32 v36, v42, v34, -v36 :: v_dual_fmac_f32 v37, v43, v34
	v_dual_add_f32 v30, v30, v36 :: v_dual_add_f32 v40, v40, v37
	ds_load_b128 v[36:39], v31 offset:1040
	s_wait_dscnt 0x0
	v_dual_mul_f32 v42, v37, v33 :: v_dual_mul_f32 v33, v36, v33
	s_delay_alu instid0(VALU_DEP_1) | instskip(NEXT) | instid1(VALU_DEP_1)
	v_dual_fma_f32 v42, v36, v32, -v42 :: v_dual_fmac_f32 v33, v37, v32
	v_dual_mul_f32 v32, v37, v35 :: v_dual_add_f32 v26, v26, v42
	s_delay_alu instid0(VALU_DEP_2) | instskip(NEXT) | instid1(VALU_DEP_2)
	v_add_f32_e32 v28, v28, v33
	v_dual_mul_f32 v33, v36, v35 :: v_dual_fma_f32 v32, v36, v34, -v32
	s_delay_alu instid0(VALU_DEP_1) | instskip(NEXT) | instid1(VALU_DEP_1)
	v_dual_fmac_f32 v33, v37, v34 :: v_dual_add_f32 v22, v22, v32
	v_add_f32_e32 v24, v24, v33
	ds_load_2addr_b64 v[32:35], v29 offset0:96 offset1:112
	s_wait_dscnt 0x0
	v_dual_mul_f32 v36, v45, v33 :: v_dual_mul_f32 v37, v44, v33
	s_delay_alu instid0(VALU_DEP_1) | instskip(NEXT) | instid1(VALU_DEP_1)
	v_dual_fma_f32 v36, v44, v32, -v36 :: v_dual_fmac_f32 v37, v45, v32
	v_add_f32_e32 v5, v5, v36
	s_delay_alu instid0(VALU_DEP_2) | instskip(NEXT) | instid1(VALU_DEP_1)
	v_dual_add_f32 v36, v41, v37 :: v_dual_mul_f32 v41, v44, v35
	v_dual_mul_f32 v37, v45, v35 :: v_dual_fmac_f32 v41, v45, v34
	s_delay_alu instid0(VALU_DEP_1) | instskip(NEXT) | instid1(VALU_DEP_1)
	v_fma_f32 v37, v44, v34, -v37
	v_add_f32_e32 v30, v30, v37
	s_delay_alu instid0(VALU_DEP_3) | instskip(SKIP_1) | instid1(VALU_DEP_1)
	v_add_f32_e32 v37, v40, v41
	v_dual_mul_f32 v40, v39, v33 :: v_dual_mul_f32 v33, v38, v33
	v_dual_fma_f32 v40, v38, v32, -v40 :: v_dual_fmac_f32 v33, v39, v32
	s_delay_alu instid0(VALU_DEP_1) | instskip(NEXT) | instid1(VALU_DEP_2)
	v_dual_mul_f32 v32, v39, v35 :: v_dual_add_f32 v26, v26, v40
	v_dual_add_f32 v28, v28, v33 :: v_dual_mul_f32 v33, v38, v35
	s_delay_alu instid0(VALU_DEP_1) | instskip(NEXT) | instid1(VALU_DEP_1)
	v_dual_fma_f32 v32, v38, v34, -v32 :: v_dual_fmac_f32 v33, v39, v34
	v_dual_add_f32 v22, v22, v32 :: v_dual_add_f32 v24, v24, v33
	ds_load_2addr_b64 v[32:35], v29 offset0:128 offset1:144
	s_wait_dscnt 0x0
	v_dual_mul_f32 v38, v47, v33 :: v_dual_mul_f32 v39, v46, v33
	s_delay_alu instid0(VALU_DEP_1) | instskip(NEXT) | instid1(VALU_DEP_1)
	v_dual_fma_f32 v38, v46, v32, -v38 :: v_dual_fmac_f32 v39, v47, v32
	v_dual_add_f32 v5, v5, v38 :: v_dual_add_f32 v40, v36, v39
	v_dual_mul_f32 v36, v47, v35 :: v_dual_mul_f32 v38, v46, v35
	s_delay_alu instid0(VALU_DEP_1) | instskip(NEXT) | instid1(VALU_DEP_1)
	v_dual_fma_f32 v36, v46, v34, -v36 :: v_dual_fmac_f32 v38, v47, v34
	v_dual_add_f32 v30, v30, v36 :: v_dual_add_f32 v41, v37, v38
	ds_load_b128 v[36:39], v31 offset:1056
	s_wait_dscnt 0x0
	v_dual_mul_f32 v42, v37, v33 :: v_dual_mul_f32 v33, v36, v33
	s_delay_alu instid0(VALU_DEP_1) | instskip(NEXT) | instid1(VALU_DEP_1)
	v_dual_fma_f32 v42, v36, v32, -v42 :: v_dual_fmac_f32 v33, v37, v32
	v_dual_mul_f32 v32, v37, v35 :: v_dual_add_f32 v26, v26, v42
	s_delay_alu instid0(VALU_DEP_2) | instskip(NEXT) | instid1(VALU_DEP_2)
	v_add_f32_e32 v28, v28, v33
	v_dual_mul_f32 v33, v36, v35 :: v_dual_fma_f32 v32, v36, v34, -v32
	s_delay_alu instid0(VALU_DEP_1) | instskip(NEXT) | instid1(VALU_DEP_1)
	v_dual_fmac_f32 v33, v37, v34 :: v_dual_add_f32 v22, v22, v32
	v_add_f32_e32 v24, v24, v33
	ds_load_2addr_b64 v[32:35], v29 offset0:160 offset1:176
	s_wait_dscnt 0x0
	v_dual_mul_f32 v36, v49, v33 :: v_dual_mul_f32 v37, v48, v33
	s_delay_alu instid0(VALU_DEP_1) | instskip(NEXT) | instid1(VALU_DEP_1)
	v_dual_fma_f32 v36, v48, v32, -v36 :: v_dual_fmac_f32 v37, v49, v32
	v_dual_add_f32 v5, v5, v36 :: v_dual_add_f32 v36, v40, v37
	v_dual_mul_f32 v37, v49, v35 :: v_dual_mul_f32 v40, v48, v35
	s_delay_alu instid0(VALU_DEP_1) | instskip(NEXT) | instid1(VALU_DEP_1)
	v_dual_fma_f32 v37, v48, v34, -v37 :: v_dual_fmac_f32 v40, v49, v34
	v_dual_add_f32 v30, v30, v37 :: v_dual_add_f32 v37, v41, v40
	v_dual_mul_f32 v40, v39, v33 :: v_dual_mul_f32 v33, v38, v33
	s_delay_alu instid0(VALU_DEP_1) | instskip(NEXT) | instid1(VALU_DEP_1)
	v_dual_fma_f32 v40, v38, v32, -v40 :: v_dual_fmac_f32 v33, v39, v32
	v_dual_mul_f32 v32, v39, v35 :: v_dual_add_f32 v26, v26, v40
	s_delay_alu instid0(VALU_DEP_2) | instskip(NEXT) | instid1(VALU_DEP_2)
	v_dual_add_f32 v28, v28, v33 :: v_dual_mul_f32 v33, v38, v35
	v_fma_f32 v32, v38, v34, -v32
	ds_load_2addr_b64 v[40:43], v29 offset0:224 offset1:240
	v_dual_fmac_f32 v33, v39, v34 :: v_dual_add_f32 v22, v22, v32
	s_delay_alu instid0(VALU_DEP_1) | instskip(SKIP_3) | instid1(VALU_DEP_1)
	v_add_f32_e32 v24, v24, v33
	ds_load_2addr_b64 v[32:35], v29 offset0:192 offset1:208
	s_wait_dscnt 0x0
	v_dual_mul_f32 v38, v1, v33 :: v_dual_mul_f32 v39, v0, v33
	v_dual_fma_f32 v38, v0, v32, -v38 :: v_dual_fmac_f32 v39, v1, v32
	s_delay_alu instid0(VALU_DEP_1) | instskip(SKIP_1) | instid1(VALU_DEP_1)
	v_dual_add_f32 v5, v5, v38 :: v_dual_add_f32 v44, v36, v39
	v_mul_f32_e32 v36, v1, v35
	v_dual_fma_f32 v36, v0, v34, -v36 :: v_dual_mul_f32 v0, v0, v35
	s_delay_alu instid0(VALU_DEP_1) | instskip(NEXT) | instid1(VALU_DEP_1)
	v_fmac_f32_e32 v0, v1, v34
	v_add_f32_e32 v0, v37, v0
	s_delay_alu instid0(VALU_DEP_3)
	v_add_f32_e32 v1, v30, v36
	ds_load_b128 v[36:39], v31 offset:1072
	s_wait_dscnt 0x0
	s_barrier_signal -1
	s_barrier_wait -1
	v_dual_mul_f32 v30, v37, v33 :: v_dual_mul_f32 v33, v36, v33
	s_delay_alu instid0(VALU_DEP_1) | instskip(NEXT) | instid1(VALU_DEP_1)
	v_dual_fma_f32 v30, v36, v32, -v30 :: v_dual_fmac_f32 v33, v37, v32
	v_dual_mul_f32 v32, v36, v35 :: v_dual_add_f32 v26, v26, v30
	s_delay_alu instid0(VALU_DEP_2) | instskip(NEXT) | instid1(VALU_DEP_1)
	v_dual_add_f32 v28, v28, v33 :: v_dual_mul_f32 v30, v37, v35
	v_dual_fmac_f32 v32, v37, v34 :: v_dual_fma_f32 v30, v36, v34, -v30
	s_delay_alu instid0(VALU_DEP_1) | instskip(NEXT) | instid1(VALU_DEP_2)
	v_dual_add_f32 v24, v24, v32 :: v_dual_mul_f32 v32, v2, v41
	v_dual_add_f32 v22, v22, v30 :: v_dual_mul_f32 v30, v3, v41
	s_delay_alu instid0(VALU_DEP_1) | instskip(NEXT) | instid1(VALU_DEP_1)
	v_dual_fmac_f32 v32, v3, v40 :: v_dual_fma_f32 v30, v2, v40, -v30
	v_dual_add_f32 v36, v44, v32 :: v_dual_add_f32 v34, v5, v30
	v_mul_f32_e32 v5, v3, v43
	s_delay_alu instid0(VALU_DEP_1) | instskip(NEXT) | instid1(VALU_DEP_1)
	v_dual_fma_f32 v5, v2, v42, -v5 :: v_dual_mul_f32 v2, v2, v43
	v_dual_fmac_f32 v2, v3, v42 :: v_dual_add_f32 v30, v1, v5
	s_delay_alu instid0(VALU_DEP_1) | instskip(NEXT) | instid1(VALU_DEP_1)
	v_dual_mul_f32 v1, v38, v41 :: v_dual_add_f32 v32, v0, v2
	v_dual_mul_f32 v0, v39, v41 :: v_dual_fmac_f32 v1, v39, v40
	s_delay_alu instid0(VALU_DEP_1) | instskip(SKIP_1) | instid1(VALU_DEP_2)
	v_dual_fma_f32 v0, v38, v40, -v0 :: v_dual_add_f32 v28, v28, v1
	v_mul_f32_e32 v1, v38, v43
	v_dual_add_f32 v26, v26, v0 :: v_dual_mul_f32 v0, v39, v43
	s_delay_alu instid0(VALU_DEP_1) | instskip(NEXT) | instid1(VALU_DEP_1)
	v_dual_fmac_f32 v1, v39, v42 :: v_dual_fma_f32 v0, v38, v42, -v0
	v_dual_add_f32 v24, v24, v1 :: v_dual_add_f32 v22, v22, v0
	s_cbranch_scc0 .LBB72_13
.LBB72_9:                               ;   Parent Loop BB72_6 Depth=1
                                        ; =>  This Inner Loop Header: Depth=2
	v_dual_mov_b32 v1, 0 :: v_dual_add_nc_u32 v0, s14, v4
	s_delay_alu instid0(VALU_DEP_1) | instskip(SKIP_2) | instid1(SALU_CYCLE_1)
	v_cmp_gt_i32_e32 vcc_lo, s23, v0
	v_mov_b32_e32 v0, 0
	s_and_b32 s28, s0, vcc_lo
	s_and_saveexec_b32 s15, s28
	s_cbranch_execz .LBB72_11
; %bb.10:                               ;   in Loop: Header=BB72_9 Depth=2
	global_load_b64 v[0:1], v[18:19], off
.LBB72_11:                              ;   in Loop: Header=BB72_9 Depth=2
	s_wait_xcnt 0x0
	s_or_b32 exec_lo, exec_lo, s15
	v_dual_mov_b32 v3, 0 :: v_dual_add_nc_u32 v2, s14, v23
	s_wait_loadcnt 0x0
	ds_store_b64 v25, v[0:1]
	v_cmp_gt_i32_e32 vcc_lo, s23, v2
	v_mov_b32_e32 v2, 0
	s_and_b32 s28, vcc_lo, s1
	s_delay_alu instid0(SALU_CYCLE_1)
	s_and_saveexec_b32 s15, s28
	s_cbranch_execz .LBB72_8
; %bb.12:                               ;   in Loop: Header=BB72_9 Depth=2
	global_load_b64 v[2:3], v[20:21], off
	s_branch .LBB72_8
.LBB72_13:                              ;   in Loop: Header=BB72_6 Depth=1
	s_mul_u64 s[14:15], s[26:27], s[24:25]
	s_delay_alu instid0(SALU_CYCLE_1) | instskip(NEXT) | instid1(SALU_CYCLE_1)
	s_lshl_b64 s[14:15], s[14:15], 3
	s_add_nc_u64 s[14:15], s[16:17], s[14:15]
	s_delay_alu instid0(SALU_CYCLE_1)
	v_lshl_add_u64 v[0:1], v[8:9], 3, s[14:15]
	s_and_saveexec_b32 s28, s30
	s_cbranch_execz .LBB72_18
; %bb.14:                               ;   in Loop: Header=BB72_6 Depth=1
	v_mov_b64_e32 v[2:3], s[4:5]
	v_mov_b64_e32 v[18:19], s[10:11]
	s_and_b32 vcc_lo, exec_lo, s18
	s_mov_b32 s29, -1
	s_delay_alu instid0(VALU_DEP_2) | instskip(NEXT) | instid1(VALU_DEP_1)
	v_pk_mul_f32 v[2:3], v[36:37], v[2:3] op_sel_hi:[0,1]
	v_pk_fma_f32 v[20:21], v[34:35], v[18:19], v[2:3] op_sel_hi:[0,1,1]
	v_pk_fma_f32 v[2:3], v[34:35], v[18:19], v[2:3] neg_lo:[0,0,1] neg_hi:[0,0,1]
	v_lshl_add_u64 v[18:19], v[6:7], 3, v[0:1]
	s_delay_alu instid0(VALU_DEP_3)
	v_mov_b32_e32 v3, v21
	s_cbranch_vccz .LBB72_16
; %bb.15:                               ;   in Loop: Header=BB72_6 Depth=1
	global_load_b64 v[20:21], v[18:19], off
	v_mov_b64_e32 v[34:35], s[20:21]
	v_mov_b64_e32 v[36:37], s[2:3]
	s_mov_b32 s29, 0
	s_wait_loadcnt 0x0
	s_delay_alu instid0(VALU_DEP_2) | instskip(NEXT) | instid1(VALU_DEP_1)
	v_pk_mul_f32 v[34:35], v[20:21], v[34:35]
	v_pk_fma_f32 v[38:39], v[20:21], v[36:37], v[34:35] op_sel:[0,0,1] op_sel_hi:[1,1,0]
	v_pk_fma_f32 v[20:21], v[20:21], v[36:37], v[34:35] op_sel:[0,0,1] op_sel_hi:[1,1,0] neg_lo:[0,0,1] neg_hi:[0,0,1]
	s_delay_alu instid0(VALU_DEP_2) | instskip(NEXT) | instid1(VALU_DEP_1)
	v_mov_b32_e32 v21, v39
	v_pk_add_f32 v[20:21], v[2:3], v[20:21]
	global_store_b64 v[18:19], v[20:21], off
.LBB72_16:                              ;   in Loop: Header=BB72_6 Depth=1
	s_and_not1_b32 vcc_lo, exec_lo, s29
	s_cbranch_vccnz .LBB72_18
; %bb.17:                               ;   in Loop: Header=BB72_6 Depth=1
	global_store_b64 v[18:19], v[2:3], off
.LBB72_18:                              ;   in Loop: Header=BB72_6 Depth=1
	s_wait_xcnt 0x0
	s_or_b32 exec_lo, exec_lo, s28
	s_and_saveexec_b32 s28, s22
	s_cbranch_execz .LBB72_23
; %bb.19:                               ;   in Loop: Header=BB72_6 Depth=1
	v_mov_b64_e32 v[2:3], s[4:5]
	v_mov_b64_e32 v[18:19], s[10:11]
	v_lshl_add_u64 v[0:1], v[10:11], 3, v[0:1]
	s_and_not1_b32 vcc_lo, exec_lo, s18
	s_mov_b32 s29, -1
	s_delay_alu instid0(VALU_DEP_3) | instskip(NEXT) | instid1(VALU_DEP_1)
	v_pk_mul_f32 v[2:3], v[32:33], v[2:3] op_sel_hi:[0,1]
	v_pk_fma_f32 v[20:21], v[30:31], v[18:19], v[2:3] op_sel_hi:[0,1,1]
	v_pk_fma_f32 v[2:3], v[30:31], v[18:19], v[2:3] neg_lo:[0,0,1] neg_hi:[0,0,1]
	s_delay_alu instid0(VALU_DEP_2)
	v_mov_b32_e32 v3, v21
	s_cbranch_vccnz .LBB72_21
; %bb.20:                               ;   in Loop: Header=BB72_6 Depth=1
	global_load_b64 v[18:19], v[0:1], off
	v_mov_b64_e32 v[20:21], s[20:21]
	v_mov_b64_e32 v[32:33], s[2:3]
	s_mov_b32 s29, 0
	s_wait_loadcnt 0x0
	s_delay_alu instid0(VALU_DEP_2) | instskip(NEXT) | instid1(VALU_DEP_1)
	v_pk_mul_f32 v[20:21], v[18:19], v[20:21]
	v_pk_fma_f32 v[34:35], v[18:19], v[32:33], v[20:21] op_sel:[0,0,1] op_sel_hi:[1,1,0]
	v_pk_fma_f32 v[18:19], v[18:19], v[32:33], v[20:21] op_sel:[0,0,1] op_sel_hi:[1,1,0] neg_lo:[0,0,1] neg_hi:[0,0,1]
	s_delay_alu instid0(VALU_DEP_2) | instskip(NEXT) | instid1(VALU_DEP_1)
	v_mov_b32_e32 v19, v35
	v_pk_add_f32 v[18:19], v[2:3], v[18:19]
	global_store_b64 v[0:1], v[18:19], off
.LBB72_21:                              ;   in Loop: Header=BB72_6 Depth=1
	s_and_not1_b32 vcc_lo, exec_lo, s29
	s_cbranch_vccnz .LBB72_23
; %bb.22:                               ;   in Loop: Header=BB72_6 Depth=1
	global_store_b64 v[0:1], v[2:3], off
.LBB72_23:                              ;   in Loop: Header=BB72_6 Depth=1
	s_wait_xcnt 0x0
	s_or_b32 exec_lo, exec_lo, s28
	v_lshl_add_u64 v[0:1], v[12:13], 3, s[14:15]
	s_and_saveexec_b32 s14, s31
	s_cbranch_execz .LBB72_28
; %bb.24:                               ;   in Loop: Header=BB72_6 Depth=1
	v_mov_b64_e32 v[2:3], s[4:5]
	v_mov_b64_e32 v[18:19], s[10:11]
	s_and_not1_b32 vcc_lo, exec_lo, s18
	s_mov_b32 s15, -1
	s_delay_alu instid0(VALU_DEP_2) | instskip(NEXT) | instid1(VALU_DEP_1)
	v_pk_mul_f32 v[2:3], v[28:29], v[2:3] op_sel_hi:[0,1]
	v_pk_fma_f32 v[20:21], v[26:27], v[18:19], v[2:3] op_sel_hi:[0,1,1]
	v_pk_fma_f32 v[2:3], v[26:27], v[18:19], v[2:3] neg_lo:[0,0,1] neg_hi:[0,0,1]
	v_lshl_add_u64 v[18:19], v[6:7], 3, v[0:1]
	s_delay_alu instid0(VALU_DEP_3)
	v_mov_b32_e32 v3, v21
	s_cbranch_vccnz .LBB72_26
; %bb.25:                               ;   in Loop: Header=BB72_6 Depth=1
	global_load_b64 v[20:21], v[18:19], off
	v_mov_b64_e32 v[32:33], s[20:21]
	v_mov_b64_e32 v[34:35], s[2:3]
	s_mov_b32 s15, 0
	s_wait_loadcnt 0x0
	s_delay_alu instid0(VALU_DEP_2) | instskip(NEXT) | instid1(VALU_DEP_1)
	v_pk_mul_f32 v[32:33], v[20:21], v[32:33]
	v_pk_fma_f32 v[36:37], v[20:21], v[34:35], v[32:33] op_sel:[0,0,1] op_sel_hi:[1,1,0]
	v_pk_fma_f32 v[20:21], v[20:21], v[34:35], v[32:33] op_sel:[0,0,1] op_sel_hi:[1,1,0] neg_lo:[0,0,1] neg_hi:[0,0,1]
	s_delay_alu instid0(VALU_DEP_2) | instskip(NEXT) | instid1(VALU_DEP_1)
	v_mov_b32_e32 v21, v37
	v_pk_add_f32 v[20:21], v[2:3], v[20:21]
	global_store_b64 v[18:19], v[20:21], off
.LBB72_26:                              ;   in Loop: Header=BB72_6 Depth=1
	s_and_not1_b32 vcc_lo, exec_lo, s15
	s_cbranch_vccnz .LBB72_28
; %bb.27:                               ;   in Loop: Header=BB72_6 Depth=1
	global_store_b64 v[18:19], v[2:3], off
.LBB72_28:                              ;   in Loop: Header=BB72_6 Depth=1
	s_wait_xcnt 0x0
	s_or_b32 exec_lo, exec_lo, s14
	s_and_saveexec_b32 s14, s33
	s_cbranch_execz .LBB72_5
; %bb.29:                               ;   in Loop: Header=BB72_6 Depth=1
	v_mov_b64_e32 v[2:3], s[4:5]
	v_mov_b64_e32 v[18:19], s[10:11]
	v_lshl_add_u64 v[0:1], v[10:11], 3, v[0:1]
	s_and_not1_b32 vcc_lo, exec_lo, s18
	s_mov_b32 s15, -1
	s_delay_alu instid0(VALU_DEP_3) | instskip(NEXT) | instid1(VALU_DEP_1)
	v_pk_mul_f32 v[2:3], v[24:25], v[2:3] op_sel_hi:[0,1]
	v_pk_fma_f32 v[20:21], v[22:23], v[18:19], v[2:3] op_sel_hi:[0,1,1]
	v_pk_fma_f32 v[2:3], v[22:23], v[18:19], v[2:3] neg_lo:[0,0,1] neg_hi:[0,0,1]
	s_delay_alu instid0(VALU_DEP_2)
	v_mov_b32_e32 v3, v21
	s_cbranch_vccnz .LBB72_31
; %bb.30:                               ;   in Loop: Header=BB72_6 Depth=1
	global_load_b64 v[18:19], v[0:1], off
	v_mov_b64_e32 v[20:21], s[20:21]
	v_mov_b64_e32 v[32:33], s[2:3]
	s_mov_b32 s15, 0
	s_wait_loadcnt 0x0
	s_delay_alu instid0(VALU_DEP_2) | instskip(NEXT) | instid1(VALU_DEP_1)
	v_pk_mul_f32 v[20:21], v[18:19], v[20:21]
	v_pk_fma_f32 v[34:35], v[18:19], v[32:33], v[20:21] op_sel:[0,0,1] op_sel_hi:[1,1,0]
	v_pk_fma_f32 v[18:19], v[18:19], v[32:33], v[20:21] op_sel:[0,0,1] op_sel_hi:[1,1,0] neg_lo:[0,0,1] neg_hi:[0,0,1]
	s_delay_alu instid0(VALU_DEP_2) | instskip(NEXT) | instid1(VALU_DEP_1)
	v_mov_b32_e32 v19, v35
	v_pk_add_f32 v[18:19], v[2:3], v[18:19]
	global_store_b64 v[0:1], v[18:19], off
.LBB72_31:                              ;   in Loop: Header=BB72_6 Depth=1
	s_and_not1_b32 vcc_lo, exec_lo, s15
	s_cbranch_vccnz .LBB72_5
; %bb.32:                               ;   in Loop: Header=BB72_6 Depth=1
	global_store_b64 v[0:1], v[2:3], off
	s_branch .LBB72_5
.LBB72_33:
	s_endpgm
	.section	.rodata,"a",@progbits
	.p2align	6, 0x0
	.amdhsa_kernel _ZL29rocblas_internal_gemmt_kernelIiLi16ELi32ELi8ELc78ELc78ELc85ELb0ELb0E19rocblas_complex_numIfEPKS1_S3_PS1_EviT_T9_T10_S5_lS7_S5_lS6_T11_S5_li
		.amdhsa_group_segment_fixed_size 4096
		.amdhsa_private_segment_fixed_size 0
		.amdhsa_kernarg_size 100
		.amdhsa_user_sgpr_count 2
		.amdhsa_user_sgpr_dispatch_ptr 0
		.amdhsa_user_sgpr_queue_ptr 0
		.amdhsa_user_sgpr_kernarg_segment_ptr 1
		.amdhsa_user_sgpr_dispatch_id 0
		.amdhsa_user_sgpr_kernarg_preload_length 0
		.amdhsa_user_sgpr_kernarg_preload_offset 0
		.amdhsa_user_sgpr_private_segment_size 0
		.amdhsa_wavefront_size32 1
		.amdhsa_uses_dynamic_stack 0
		.amdhsa_enable_private_segment 0
		.amdhsa_system_sgpr_workgroup_id_x 1
		.amdhsa_system_sgpr_workgroup_id_y 1
		.amdhsa_system_sgpr_workgroup_id_z 1
		.amdhsa_system_sgpr_workgroup_info 0
		.amdhsa_system_vgpr_workitem_id 1
		.amdhsa_next_free_vgpr 56
		.amdhsa_next_free_sgpr 36
		.amdhsa_named_barrier_count 0
		.amdhsa_reserve_vcc 1
		.amdhsa_float_round_mode_32 0
		.amdhsa_float_round_mode_16_64 0
		.amdhsa_float_denorm_mode_32 3
		.amdhsa_float_denorm_mode_16_64 3
		.amdhsa_fp16_overflow 0
		.amdhsa_memory_ordered 1
		.amdhsa_forward_progress 1
		.amdhsa_inst_pref_size 25
		.amdhsa_round_robin_scheduling 0
		.amdhsa_exception_fp_ieee_invalid_op 0
		.amdhsa_exception_fp_denorm_src 0
		.amdhsa_exception_fp_ieee_div_zero 0
		.amdhsa_exception_fp_ieee_overflow 0
		.amdhsa_exception_fp_ieee_underflow 0
		.amdhsa_exception_fp_ieee_inexact 0
		.amdhsa_exception_int_div_zero 0
	.end_amdhsa_kernel
	.section	.text._ZL29rocblas_internal_gemmt_kernelIiLi16ELi32ELi8ELc78ELc78ELc85ELb0ELb0E19rocblas_complex_numIfEPKS1_S3_PS1_EviT_T9_T10_S5_lS7_S5_lS6_T11_S5_li,"axG",@progbits,_ZL29rocblas_internal_gemmt_kernelIiLi16ELi32ELi8ELc78ELc78ELc85ELb0ELb0E19rocblas_complex_numIfEPKS1_S3_PS1_EviT_T9_T10_S5_lS7_S5_lS6_T11_S5_li,comdat
.Lfunc_end72:
	.size	_ZL29rocblas_internal_gemmt_kernelIiLi16ELi32ELi8ELc78ELc78ELc85ELb0ELb0E19rocblas_complex_numIfEPKS1_S3_PS1_EviT_T9_T10_S5_lS7_S5_lS6_T11_S5_li, .Lfunc_end72-_ZL29rocblas_internal_gemmt_kernelIiLi16ELi32ELi8ELc78ELc78ELc85ELb0ELb0E19rocblas_complex_numIfEPKS1_S3_PS1_EviT_T9_T10_S5_lS7_S5_lS6_T11_S5_li
                                        ; -- End function
	.set _ZL29rocblas_internal_gemmt_kernelIiLi16ELi32ELi8ELc78ELc78ELc85ELb0ELb0E19rocblas_complex_numIfEPKS1_S3_PS1_EviT_T9_T10_S5_lS7_S5_lS6_T11_S5_li.num_vgpr, 56
	.set _ZL29rocblas_internal_gemmt_kernelIiLi16ELi32ELi8ELc78ELc78ELc85ELb0ELb0E19rocblas_complex_numIfEPKS1_S3_PS1_EviT_T9_T10_S5_lS7_S5_lS6_T11_S5_li.num_agpr, 0
	.set _ZL29rocblas_internal_gemmt_kernelIiLi16ELi32ELi8ELc78ELc78ELc85ELb0ELb0E19rocblas_complex_numIfEPKS1_S3_PS1_EviT_T9_T10_S5_lS7_S5_lS6_T11_S5_li.numbered_sgpr, 36
	.set _ZL29rocblas_internal_gemmt_kernelIiLi16ELi32ELi8ELc78ELc78ELc85ELb0ELb0E19rocblas_complex_numIfEPKS1_S3_PS1_EviT_T9_T10_S5_lS7_S5_lS6_T11_S5_li.num_named_barrier, 0
	.set _ZL29rocblas_internal_gemmt_kernelIiLi16ELi32ELi8ELc78ELc78ELc85ELb0ELb0E19rocblas_complex_numIfEPKS1_S3_PS1_EviT_T9_T10_S5_lS7_S5_lS6_T11_S5_li.private_seg_size, 0
	.set _ZL29rocblas_internal_gemmt_kernelIiLi16ELi32ELi8ELc78ELc78ELc85ELb0ELb0E19rocblas_complex_numIfEPKS1_S3_PS1_EviT_T9_T10_S5_lS7_S5_lS6_T11_S5_li.uses_vcc, 1
	.set _ZL29rocblas_internal_gemmt_kernelIiLi16ELi32ELi8ELc78ELc78ELc85ELb0ELb0E19rocblas_complex_numIfEPKS1_S3_PS1_EviT_T9_T10_S5_lS7_S5_lS6_T11_S5_li.uses_flat_scratch, 0
	.set _ZL29rocblas_internal_gemmt_kernelIiLi16ELi32ELi8ELc78ELc78ELc85ELb0ELb0E19rocblas_complex_numIfEPKS1_S3_PS1_EviT_T9_T10_S5_lS7_S5_lS6_T11_S5_li.has_dyn_sized_stack, 0
	.set _ZL29rocblas_internal_gemmt_kernelIiLi16ELi32ELi8ELc78ELc78ELc85ELb0ELb0E19rocblas_complex_numIfEPKS1_S3_PS1_EviT_T9_T10_S5_lS7_S5_lS6_T11_S5_li.has_recursion, 0
	.set _ZL29rocblas_internal_gemmt_kernelIiLi16ELi32ELi8ELc78ELc78ELc85ELb0ELb0E19rocblas_complex_numIfEPKS1_S3_PS1_EviT_T9_T10_S5_lS7_S5_lS6_T11_S5_li.has_indirect_call, 0
	.section	.AMDGPU.csdata,"",@progbits
; Kernel info:
; codeLenInByte = 3196
; TotalNumSgprs: 38
; NumVgprs: 56
; ScratchSize: 0
; MemoryBound: 0
; FloatMode: 240
; IeeeMode: 1
; LDSByteSize: 4096 bytes/workgroup (compile time only)
; SGPRBlocks: 0
; VGPRBlocks: 3
; NumSGPRsForWavesPerEU: 38
; NumVGPRsForWavesPerEU: 56
; NamedBarCnt: 0
; Occupancy: 16
; WaveLimiterHint : 0
; COMPUTE_PGM_RSRC2:SCRATCH_EN: 0
; COMPUTE_PGM_RSRC2:USER_SGPR: 2
; COMPUTE_PGM_RSRC2:TRAP_HANDLER: 0
; COMPUTE_PGM_RSRC2:TGID_X_EN: 1
; COMPUTE_PGM_RSRC2:TGID_Y_EN: 1
; COMPUTE_PGM_RSRC2:TGID_Z_EN: 1
; COMPUTE_PGM_RSRC2:TIDIG_COMP_CNT: 1
	.section	.text._ZL29rocblas_internal_gemmt_kernelIiLi16ELi32ELi8ELc78ELc84ELc85ELb0ELb0E19rocblas_complex_numIfEPKS1_S3_PS1_EviT_T9_T10_S5_lS7_S5_lS6_T11_S5_li,"axG",@progbits,_ZL29rocblas_internal_gemmt_kernelIiLi16ELi32ELi8ELc78ELc84ELc85ELb0ELb0E19rocblas_complex_numIfEPKS1_S3_PS1_EviT_T9_T10_S5_lS7_S5_lS6_T11_S5_li,comdat
	.globl	_ZL29rocblas_internal_gemmt_kernelIiLi16ELi32ELi8ELc78ELc84ELc85ELb0ELb0E19rocblas_complex_numIfEPKS1_S3_PS1_EviT_T9_T10_S5_lS7_S5_lS6_T11_S5_li ; -- Begin function _ZL29rocblas_internal_gemmt_kernelIiLi16ELi32ELi8ELc78ELc84ELc85ELb0ELb0E19rocblas_complex_numIfEPKS1_S3_PS1_EviT_T9_T10_S5_lS7_S5_lS6_T11_S5_li
	.p2align	8
	.type	_ZL29rocblas_internal_gemmt_kernelIiLi16ELi32ELi8ELc78ELc84ELc85ELb0ELb0E19rocblas_complex_numIfEPKS1_S3_PS1_EviT_T9_T10_S5_lS7_S5_lS6_T11_S5_li,@function
_ZL29rocblas_internal_gemmt_kernelIiLi16ELi32ELi8ELc78ELc84ELc85ELb0ELb0E19rocblas_complex_numIfEPKS1_S3_PS1_EviT_T9_T10_S5_lS7_S5_lS6_T11_S5_li: ; @_ZL29rocblas_internal_gemmt_kernelIiLi16ELi32ELi8ELc78ELc84ELc85ELb0ELb0E19rocblas_complex_numIfEPKS1_S3_PS1_EviT_T9_T10_S5_lS7_S5_lS6_T11_S5_li
; %bb.0:
	s_load_b128 s[4:7], s[0:1], 0x38
	s_wait_kmcnt 0x0
	s_load_b64 s[20:21], s[6:7], 0x0
	s_clause 0x1
	s_load_b128 s[8:11], s[0:1], 0x8
	s_load_b64 s[22:23], s[0:1], 0x0
	s_wait_kmcnt 0x0
	s_cmp_neq_f32 s20, 1.0
	s_load_b64 s[6:7], s[8:9], 0x0
	s_cselect_b32 s2, -1, 0
	s_wait_xcnt 0x0
	s_and_b32 s8, s21, 0x7fffffff
	s_delay_alu instid0(SALU_CYCLE_1) | instskip(SKIP_3) | instid1(SALU_CYCLE_1)
	s_cmp_eq_u32 s8, 0
	s_cselect_b32 s3, -1, 0
	s_cmp_lg_u32 s8, 0
	s_cselect_b32 s8, -1, 0
	s_or_b32 s2, s2, s8
	s_delay_alu instid0(SALU_CYCLE_1)
	s_and_b32 vcc_lo, exec_lo, s2
	s_cbranch_vccnz .LBB73_2
; %bb.1:
	s_cmp_lg_u32 s23, 0
	s_cselect_b32 s2, -1, 0
	s_wait_kmcnt 0x0
	s_cmp_neq_f32 s6, 0
	s_cselect_b32 s8, -1, 0
	s_cmp_neq_f32 s7, 0
	s_cselect_b32 s9, -1, 0
	s_delay_alu instid0(SALU_CYCLE_1) | instskip(NEXT) | instid1(SALU_CYCLE_1)
	s_or_b32 s8, s8, s9
	s_and_b32 s2, s2, s8
.LBB73_2:
	s_delay_alu instid0(SALU_CYCLE_1)
	s_and_not1_b32 vcc_lo, exec_lo, s2
	s_cbranch_vccnz .LBB73_33
; %bb.3:
	s_load_b32 s30, s[0:1], 0x60
	s_bfe_u32 s2, ttmp6, 0x40014
	s_lshr_b32 s8, ttmp7, 16
	s_add_co_i32 s2, s2, 1
	s_bfe_u32 s12, ttmp6, 0x40008
	s_mul_i32 s9, s8, s2
	s_getreg_b32 s2, hwreg(HW_REG_IB_STS2, 6, 4)
	s_add_co_i32 s12, s12, s9
	s_cmp_eq_u32 s2, 0
	s_mov_b32 s9, 0
	s_cselect_b32 s8, s8, s12
	s_wait_kmcnt 0x0
	s_cmp_ge_u32 s8, s30
	s_cbranch_scc1 .LBB73_33
; %bb.4:
	s_clause 0x3
	s_load_b32 s26, s[0:1], 0x18
	s_load_b32 s28, s[0:1], 0x30
	s_load_b96 s[16:18], s[0:1], 0x48
	s_load_b128 s[12:15], s[0:1], 0x20
	v_and_b32_e32 v1, 0x3ff, v0
	v_bfe_u32 v8, v0, 10, 10
	s_load_b64 s[24:25], s[0:1], 0x58
	s_wait_xcnt 0x0
	s_bfe_u32 s1, ttmp6, 0x4000c
	s_bfe_u32 s19, ttmp6, 0x40010
	s_and_b32 s31, ttmp7, 0xffff
	v_lshl_add_u32 v2, v8, 4, v1
	s_add_co_i32 s1, s1, 1
	s_add_co_i32 s19, s19, 1
	v_and_b32_e32 v6, 7, v0
	s_and_b32 s0, ttmp6, 15
	v_lshrrev_b32_e32 v4, 5, v2
	s_bfe_u32 s33, ttmp6, 0x40004
	s_mul_i32 s1, ttmp9, s1
	s_mul_i32 s34, s31, s19
	s_add_co_i32 s0, s0, s1
	s_wait_kmcnt 0x0
	s_ashr_i32 s27, s26, 31
	s_ashr_i32 s29, s28, 31
	;; [unrolled: 1-line block ×3, first 2 shown]
	s_add_co_i32 s33, s33, s34
	s_cmp_eq_u32 s2, 0
	v_dual_lshrrev_b32 v5, 3, v2 :: v_dual_bitop2_b32 v3, 31, v2 bitop3:0x40
	v_lshlrev_b32_e32 v7, 3, v6
	s_cselect_b32 s0, ttmp9, s0
	s_cselect_b32 s1, s31, s33
	s_lshl_b32 s2, s0, 5
	s_lshl_b32 s31, s1, 5
	s_delay_alu instid0(SALU_CYCLE_1) | instskip(SKIP_4) | instid1(VALU_DEP_3)
	v_dual_add_nc_u32 v2, s31, v5 :: v_dual_bitop2_b32 v0, s2, v3 bitop3:0x54
	v_lshlrev_b32_e32 v3, 3, v3
	v_lshl_or_b32 v7, v5, 6, v7
	v_dual_mov_b32 v5, 0 :: v_dual_add_nc_u32 v16, s31, v8
	s_cmp_neq_f32 s6, 0
	v_lshl_or_b32 v25, v4, 8, v3
	s_delay_alu instid0(VALU_DEP_3) | instskip(NEXT) | instid1(VALU_DEP_3)
	v_add_nc_u32_e32 v27, 0x800, v7
	v_dual_ashrrev_i32 v3, 31, v2 :: v_dual_mov_b32 v7, v5
	v_mul_u64_e32 v[18:19], s[26:27], v[4:5]
	v_dual_lshlrev_b32 v5, 3, v1 :: v_dual_add_nc_u32 v22, 16, v16
	v_ashrrev_i32_e32 v17, 31, v16
	s_delay_alu instid0(VALU_DEP_4) | instskip(SKIP_1) | instid1(VALU_DEP_4)
	v_mul_u64_e32 v[20:21], s[28:29], v[6:7]
	v_lshl_add_u32 v7, v8, 6, 0x800
	v_dual_add_nc_u32 v8, s2, v1 :: v_dual_ashrrev_i32 v23, 31, v22
	s_delay_alu instid0(VALU_DEP_4) | instskip(SKIP_2) | instid1(VALU_DEP_2)
	v_mul_u64_e32 v[12:13], s[18:19], v[16:17]
	s_cselect_b32 s0, -1, 0
	s_cmp_neq_f32 s7, 0
	v_add_nc_u32_e32 v10, 16, v8
	v_mul_u64_e32 v[14:15], s[18:19], v[22:23]
	v_ashrrev_i32_e32 v1, 31, v0
	s_cselect_b32 s1, -1, 0
	v_cmp_gt_i32_e32 vcc_lo, s22, v16
	s_or_b32 s36, s0, s1
	v_cmp_gt_i32_e64 s0, s22, v0
	v_cmp_gt_i32_e64 s1, s22, v2
	v_lshlrev_b64_e32 v[0:1], 3, v[0:1]
	v_lshlrev_b64_e32 v[2:3], 3, v[2:3]
	s_cmp_gt_i32 s23, 0
	v_cmp_le_i32_e64 s2, v8, v16
	s_cselect_b32 s37, -1, 0
	s_cmp_neq_f32 s20, 0
	v_dual_ashrrev_i32 v9, 31, v8 :: v_dual_ashrrev_i32 v11, 31, v10
	s_mov_b32 s19, s6
	s_cselect_b32 s31, -1, 0
	s_xor_b32 s18, s3, -1
	v_cmp_le_i32_e64 s3, v10, v16
	s_and_b32 s33, vcc_lo, s2
	v_lshl_add_u64 v[0:1], v[18:19], 3, v[0:1]
	v_cmp_le_i32_e64 s2, v8, v22
	s_or_b32 s31, s31, s18
	s_and_b32 s34, vcc_lo, s3
	v_lshl_add_u64 v[2:3], v[20:21], 3, v[2:3]
	v_cmp_gt_i32_e32 vcc_lo, s22, v22
	v_cmp_le_i32_e64 s3, v10, v22
	v_add_nc_u64_e32 v[16:17], s[10:11], v[0:1]
	s_mov_b32 s18, s7
	v_add_nc_u64_e32 v[18:19], s[14:15], v[2:3]
	s_and_b32 s22, vcc_lo, s2
	s_and_b32 s35, vcc_lo, s3
	s_mov_b32 s2, s20
	s_mov_b32 s3, s20
	;; [unrolled: 1-line block ×3, first 2 shown]
	s_lshl_b64 s[10:11], s[12:13], 3
	s_and_b32 s36, s36, s37
	s_lshl_b64 s[12:13], s[26:27], 6
	s_lshl_b64 s[4:5], s[4:5], 3
	;; [unrolled: 1-line block ×3, first 2 shown]
	s_branch .LBB73_6
.LBB73_5:                               ;   in Loop: Header=BB73_6 Depth=1
	s_wait_xcnt 0x0
	s_or_b32 exec_lo, exec_lo, s26
	s_add_co_i32 s8, s8, 0x10000
	s_delay_alu instid0(SALU_CYCLE_1)
	s_cmp_lt_u32 s8, s30
	s_cbranch_scc0 .LBB73_33
.LBB73_6:                               ; =>This Loop Header: Depth=1
                                        ;     Child Loop BB73_9 Depth 2
	v_dual_mov_b32 v36, 0 :: v_dual_mov_b32 v38, 0
	v_dual_mov_b32 v32, 0 :: v_dual_mov_b32 v34, 0
	;; [unrolled: 1-line block ×4, first 2 shown]
	s_and_not1_b32 vcc_lo, exec_lo, s36
	s_cbranch_vccnz .LBB73_13
; %bb.7:                                ;   in Loop: Header=BB73_6 Depth=1
	v_mad_nc_u64_u32 v[20:21], s10, s8, v[16:17]
	v_mad_nc_u64_u32 v[22:23], s4, s8, v[18:19]
	v_dual_mov_b32 v26, 0 :: v_dual_mov_b32 v24, 0
	v_dual_mov_b32 v30, 0 :: v_dual_mov_b32 v28, 0
	;; [unrolled: 1-line block ×4, first 2 shown]
	s_mov_b32 s26, 0
	v_mad_u32 v21, s11, s8, v21
	v_mad_u32 v23, s5, s8, v23
	s_branch .LBB73_9
.LBB73_8:                               ;   in Loop: Header=BB73_9 Depth=2
	s_wait_xcnt 0x0
	s_or_b32 exec_lo, exec_lo, s27
	s_wait_loadcnt 0x0
	ds_store_b64 v27, v[2:3]
	s_wait_dscnt 0x0
	s_barrier_signal -1
	s_barrier_wait -1
	ds_load_b128 v[40:43], v7
	ds_load_b128 v[44:47], v7 offset:16
	ds_load_b128 v[48:51], v7 offset:32
	;; [unrolled: 1-line block ×3, first 2 shown]
	ds_load_2addr_b64 v[52:55], v5 offset1:16
	v_add_nc_u64_e32 v[20:21], s[12:13], v[20:21]
	v_add_nc_u64_e32 v[22:23], s[14:15], v[22:23]
	s_add_co_i32 s26, s26, 8
	s_delay_alu instid0(SALU_CYCLE_1) | instskip(SKIP_2) | instid1(VALU_DEP_1)
	s_cmp_lt_i32 s26, s23
	s_wait_dscnt 0x0
	v_dual_mul_f32 v29, v41, v53 :: v_dual_mul_f32 v31, v40, v53
	v_dual_fma_f32 v29, v40, v52, -v29 :: v_dual_fmac_f32 v31, v41, v52
	s_delay_alu instid0(VALU_DEP_1) | instskip(SKIP_1) | instid1(VALU_DEP_1)
	v_dual_add_f32 v36, v36, v29 :: v_dual_add_f32 v37, v38, v31
	v_dual_mul_f32 v29, v41, v55 :: v_dual_mul_f32 v31, v40, v55
	v_dual_fma_f32 v29, v40, v54, -v29 :: v_dual_fmac_f32 v31, v41, v54
	s_delay_alu instid0(VALU_DEP_1) | instskip(SKIP_3) | instid1(VALU_DEP_1)
	v_dual_add_f32 v38, v32, v29 :: v_dual_add_f32 v39, v34, v31
	ds_load_b128 v[32:35], v7 offset:1024
	s_wait_dscnt 0x0
	v_dual_mul_f32 v29, v33, v53 :: v_dual_mul_f32 v31, v32, v53
	v_dual_fma_f32 v29, v32, v52, -v29 :: v_dual_fmac_f32 v31, v33, v52
	s_delay_alu instid0(VALU_DEP_1) | instskip(SKIP_1) | instid1(VALU_DEP_1)
	v_dual_add_f32 v40, v28, v29 :: v_dual_add_f32 v41, v30, v31
	v_dual_mul_f32 v28, v33, v55 :: v_dual_mul_f32 v29, v32, v55
	v_dual_fma_f32 v28, v32, v54, -v28 :: v_dual_fmac_f32 v29, v33, v54
	s_delay_alu instid0(VALU_DEP_1) | instskip(SKIP_3) | instid1(VALU_DEP_1)
	v_dual_add_f32 v24, v24, v28 :: v_dual_add_f32 v26, v26, v29
	ds_load_2addr_b64 v[28:31], v5 offset0:32 offset1:48
	s_wait_dscnt 0x0
	v_dual_mul_f32 v32, v43, v29 :: v_dual_mul_f32 v33, v42, v29
	v_dual_fma_f32 v32, v42, v28, -v32 :: v_dual_fmac_f32 v33, v43, v28
	s_delay_alu instid0(VALU_DEP_1) | instskip(SKIP_1) | instid1(VALU_DEP_1)
	v_dual_add_f32 v32, v36, v32 :: v_dual_add_f32 v33, v37, v33
	v_dual_mul_f32 v36, v43, v31 :: v_dual_mul_f32 v37, v42, v31
	v_dual_fma_f32 v36, v42, v30, -v36 :: v_dual_fmac_f32 v37, v43, v30
	s_delay_alu instid0(VALU_DEP_1) | instskip(SKIP_1) | instid1(VALU_DEP_1)
	v_dual_add_f32 v36, v38, v36 :: v_dual_add_f32 v37, v39, v37
	v_dual_mul_f32 v38, v35, v29 :: v_dual_mul_f32 v29, v34, v29
	v_dual_fma_f32 v38, v34, v28, -v38 :: v_dual_fmac_f32 v29, v35, v28
	s_delay_alu instid0(VALU_DEP_1) | instskip(NEXT) | instid1(VALU_DEP_2)
	v_dual_mul_f32 v28, v35, v31 :: v_dual_add_f32 v38, v40, v38
	v_dual_add_f32 v39, v41, v29 :: v_dual_mul_f32 v29, v34, v31
	s_delay_alu instid0(VALU_DEP_1) | instskip(NEXT) | instid1(VALU_DEP_1)
	v_dual_fma_f32 v28, v34, v30, -v28 :: v_dual_fmac_f32 v29, v35, v30
	v_dual_add_f32 v24, v24, v28 :: v_dual_add_f32 v26, v26, v29
	ds_load_2addr_b64 v[28:31], v5 offset0:64 offset1:80
	s_wait_dscnt 0x0
	v_dual_mul_f32 v34, v45, v29 :: v_dual_mul_f32 v35, v44, v29
	s_delay_alu instid0(VALU_DEP_1) | instskip(NEXT) | instid1(VALU_DEP_1)
	v_dual_fma_f32 v34, v44, v28, -v34 :: v_dual_fmac_f32 v35, v45, v28
	v_dual_add_f32 v40, v32, v34 :: v_dual_add_f32 v41, v33, v35
	v_dual_mul_f32 v32, v45, v31 :: v_dual_mul_f32 v33, v44, v31
	s_delay_alu instid0(VALU_DEP_1) | instskip(NEXT) | instid1(VALU_DEP_1)
	v_dual_fma_f32 v32, v44, v30, -v32 :: v_dual_fmac_f32 v33, v45, v30
	v_dual_add_f32 v36, v36, v32 :: v_dual_add_f32 v37, v37, v33
	ds_load_b128 v[32:35], v7 offset:1040
	s_wait_dscnt 0x0
	v_dual_mul_f32 v42, v33, v29 :: v_dual_mul_f32 v29, v32, v29
	s_delay_alu instid0(VALU_DEP_1) | instskip(NEXT) | instid1(VALU_DEP_1)
	v_dual_fma_f32 v42, v32, v28, -v42 :: v_dual_fmac_f32 v29, v33, v28
	v_dual_mul_f32 v28, v33, v31 :: v_dual_add_f32 v38, v38, v42
	s_delay_alu instid0(VALU_DEP_2) | instskip(NEXT) | instid1(VALU_DEP_1)
	v_dual_add_f32 v39, v39, v29 :: v_dual_mul_f32 v29, v32, v31
	v_dual_fma_f32 v28, v32, v30, -v28 :: v_dual_fmac_f32 v29, v33, v30
	s_delay_alu instid0(VALU_DEP_1) | instskip(SKIP_3) | instid1(VALU_DEP_1)
	v_dual_add_f32 v24, v24, v28 :: v_dual_add_f32 v26, v26, v29
	ds_load_2addr_b64 v[28:31], v5 offset0:96 offset1:112
	s_wait_dscnt 0x0
	v_dual_mul_f32 v32, v47, v29 :: v_dual_mul_f32 v33, v46, v29
	v_dual_fma_f32 v32, v46, v28, -v32 :: v_dual_fmac_f32 v33, v47, v28
	s_delay_alu instid0(VALU_DEP_1) | instskip(SKIP_1) | instid1(VALU_DEP_1)
	v_dual_add_f32 v32, v40, v32 :: v_dual_add_f32 v33, v41, v33
	v_dual_mul_f32 v40, v47, v31 :: v_dual_mul_f32 v41, v46, v31
	v_dual_fma_f32 v40, v46, v30, -v40 :: v_dual_fmac_f32 v41, v47, v30
	s_delay_alu instid0(VALU_DEP_1) | instskip(SKIP_1) | instid1(VALU_DEP_1)
	v_dual_add_f32 v36, v36, v40 :: v_dual_add_f32 v37, v37, v41
	v_dual_mul_f32 v40, v35, v29 :: v_dual_mul_f32 v29, v34, v29
	v_dual_fma_f32 v40, v34, v28, -v40 :: v_dual_fmac_f32 v29, v35, v28
	s_delay_alu instid0(VALU_DEP_1) | instskip(NEXT) | instid1(VALU_DEP_2)
	v_dual_mul_f32 v28, v35, v31 :: v_dual_add_f32 v38, v38, v40
	v_dual_add_f32 v39, v39, v29 :: v_dual_mul_f32 v29, v34, v31
	s_delay_alu instid0(VALU_DEP_1) | instskip(NEXT) | instid1(VALU_DEP_1)
	v_dual_fma_f32 v28, v34, v30, -v28 :: v_dual_fmac_f32 v29, v35, v30
	v_dual_add_f32 v24, v24, v28 :: v_dual_add_f32 v26, v26, v29
	ds_load_2addr_b64 v[28:31], v5 offset0:128 offset1:144
	s_wait_dscnt 0x0
	v_dual_mul_f32 v34, v49, v29 :: v_dual_mul_f32 v35, v48, v29
	s_delay_alu instid0(VALU_DEP_1) | instskip(NEXT) | instid1(VALU_DEP_1)
	v_dual_fma_f32 v34, v48, v28, -v34 :: v_dual_fmac_f32 v35, v49, v28
	v_dual_add_f32 v40, v32, v34 :: v_dual_add_f32 v41, v33, v35
	v_dual_mul_f32 v32, v49, v31 :: v_dual_mul_f32 v33, v48, v31
	s_delay_alu instid0(VALU_DEP_1) | instskip(NEXT) | instid1(VALU_DEP_1)
	v_dual_fma_f32 v32, v48, v30, -v32 :: v_dual_fmac_f32 v33, v49, v30
	v_dual_add_f32 v36, v36, v32 :: v_dual_add_f32 v37, v37, v33
	ds_load_b128 v[32:35], v7 offset:1056
	s_wait_dscnt 0x0
	v_dual_mul_f32 v42, v33, v29 :: v_dual_mul_f32 v29, v32, v29
	s_delay_alu instid0(VALU_DEP_1) | instskip(NEXT) | instid1(VALU_DEP_1)
	v_dual_fma_f32 v42, v32, v28, -v42 :: v_dual_fmac_f32 v29, v33, v28
	v_dual_mul_f32 v28, v33, v31 :: v_dual_add_f32 v38, v38, v42
	s_delay_alu instid0(VALU_DEP_2) | instskip(NEXT) | instid1(VALU_DEP_1)
	v_dual_add_f32 v39, v39, v29 :: v_dual_mul_f32 v29, v32, v31
	v_dual_fma_f32 v28, v32, v30, -v28 :: v_dual_fmac_f32 v29, v33, v30
	s_delay_alu instid0(VALU_DEP_1) | instskip(SKIP_3) | instid1(VALU_DEP_1)
	v_dual_add_f32 v24, v24, v28 :: v_dual_add_f32 v26, v26, v29
	ds_load_2addr_b64 v[28:31], v5 offset0:160 offset1:176
	s_wait_dscnt 0x0
	v_dual_mul_f32 v32, v51, v29 :: v_dual_mul_f32 v33, v50, v29
	v_dual_fma_f32 v32, v50, v28, -v32 :: v_dual_fmac_f32 v33, v51, v28
	s_delay_alu instid0(VALU_DEP_1) | instskip(SKIP_1) | instid1(VALU_DEP_1)
	v_dual_add_f32 v32, v40, v32 :: v_dual_add_f32 v33, v41, v33
	v_dual_mul_f32 v40, v51, v31 :: v_dual_mul_f32 v41, v50, v31
	v_dual_fma_f32 v40, v50, v30, -v40 :: v_dual_fmac_f32 v41, v51, v30
	s_delay_alu instid0(VALU_DEP_1) | instskip(SKIP_1) | instid1(VALU_DEP_1)
	v_dual_add_f32 v36, v36, v40 :: v_dual_add_f32 v37, v37, v41
	v_dual_mul_f32 v40, v35, v29 :: v_dual_mul_f32 v29, v34, v29
	v_dual_fma_f32 v40, v34, v28, -v40 :: v_dual_fmac_f32 v29, v35, v28
	s_delay_alu instid0(VALU_DEP_1) | instskip(NEXT) | instid1(VALU_DEP_2)
	v_dual_mul_f32 v28, v35, v31 :: v_dual_add_f32 v42, v38, v40
	v_dual_add_f32 v43, v39, v29 :: v_dual_mul_f32 v29, v34, v31
	s_delay_alu instid0(VALU_DEP_2) | instskip(SKIP_2) | instid1(VALU_DEP_1)
	v_fma_f32 v28, v34, v30, -v28
	ds_load_b128 v[38:41], v7 offset:1072
	v_dual_fmac_f32 v29, v35, v30 :: v_dual_add_f32 v24, v24, v28
	v_add_f32_e32 v26, v26, v29
	ds_load_2addr_b64 v[28:31], v5 offset0:192 offset1:208
	s_wait_dscnt 0x0
	v_dual_mul_f32 v34, v1, v29 :: v_dual_mul_f32 v35, v0, v29
	s_delay_alu instid0(VALU_DEP_1) | instskip(NEXT) | instid1(VALU_DEP_1)
	v_dual_fma_f32 v34, v0, v28, -v34 :: v_dual_fmac_f32 v35, v1, v28
	v_dual_add_f32 v32, v32, v34 :: v_dual_add_f32 v33, v33, v35
	v_mul_f32_e32 v34, v1, v31
	s_delay_alu instid0(VALU_DEP_1) | instskip(NEXT) | instid1(VALU_DEP_1)
	v_dual_fma_f32 v34, v0, v30, -v34 :: v_dual_mul_f32 v0, v0, v31
	v_fmac_f32_e32 v0, v1, v30
	s_delay_alu instid0(VALU_DEP_2) | instskip(NEXT) | instid1(VALU_DEP_2)
	v_dual_add_f32 v1, v36, v34 :: v_dual_mul_f32 v34, v39, v29
	v_dual_mul_f32 v29, v38, v29 :: v_dual_add_f32 v0, v37, v0
	s_delay_alu instid0(VALU_DEP_1) | instskip(NEXT) | instid1(VALU_DEP_1)
	v_dual_fma_f32 v34, v38, v28, -v34 :: v_dual_fmac_f32 v29, v39, v28
	v_dual_add_f32 v28, v42, v34 :: v_dual_add_f32 v29, v43, v29
	ds_load_2addr_b64 v[42:45], v5 offset0:224 offset1:240
	v_dual_mul_f32 v34, v39, v31 :: v_dual_mul_f32 v31, v38, v31
	s_wait_dscnt 0x0
	s_barrier_signal -1
	s_barrier_wait -1
	s_delay_alu instid0(VALU_DEP_1) | instskip(NEXT) | instid1(VALU_DEP_1)
	v_dual_fma_f32 v34, v38, v30, -v34 :: v_dual_fmac_f32 v31, v39, v30
	v_dual_add_f32 v24, v24, v34 :: v_dual_add_f32 v26, v26, v31
	v_dual_mul_f32 v30, v3, v43 :: v_dual_mul_f32 v31, v2, v43
	s_delay_alu instid0(VALU_DEP_1) | instskip(NEXT) | instid1(VALU_DEP_1)
	v_dual_fma_f32 v30, v2, v42, -v30 :: v_dual_fmac_f32 v31, v3, v42
	v_dual_add_f32 v36, v32, v30 :: v_dual_add_f32 v38, v33, v31
	v_mul_f32_e32 v30, v3, v45
	s_delay_alu instid0(VALU_DEP_1) | instskip(NEXT) | instid1(VALU_DEP_1)
	v_dual_fma_f32 v30, v2, v44, -v30 :: v_dual_mul_f32 v2, v2, v45
	v_fmac_f32_e32 v2, v3, v44
	s_delay_alu instid0(VALU_DEP_1) | instskip(NEXT) | instid1(VALU_DEP_3)
	v_add_f32_e32 v34, v0, v2
	v_add_f32_e32 v32, v1, v30
	v_dual_mul_f32 v0, v41, v43 :: v_dual_mul_f32 v1, v40, v43
	s_delay_alu instid0(VALU_DEP_1) | instskip(NEXT) | instid1(VALU_DEP_1)
	v_dual_fma_f32 v0, v40, v42, -v0 :: v_dual_fmac_f32 v1, v41, v42
	v_dual_add_f32 v28, v28, v0 :: v_dual_add_f32 v30, v29, v1
	v_dual_mul_f32 v0, v41, v45 :: v_dual_mul_f32 v1, v40, v45
	s_delay_alu instid0(VALU_DEP_1) | instskip(NEXT) | instid1(VALU_DEP_1)
	v_dual_fma_f32 v0, v40, v44, -v0 :: v_dual_fmac_f32 v1, v41, v44
	v_dual_add_f32 v24, v24, v0 :: v_dual_add_f32 v26, v26, v1
	s_cbranch_scc0 .LBB73_13
.LBB73_9:                               ;   Parent Loop BB73_6 Depth=1
                                        ; =>  This Inner Loop Header: Depth=2
	v_dual_mov_b32 v1, 0 :: v_dual_add_nc_u32 v0, s26, v4
	s_delay_alu instid0(VALU_DEP_1) | instskip(SKIP_2) | instid1(SALU_CYCLE_1)
	v_cmp_gt_i32_e32 vcc_lo, s23, v0
	v_mov_b32_e32 v0, 0
	s_and_b32 s28, s0, vcc_lo
	s_and_saveexec_b32 s27, s28
	s_cbranch_execz .LBB73_11
; %bb.10:                               ;   in Loop: Header=BB73_9 Depth=2
	global_load_b64 v[0:1], v[20:21], off
.LBB73_11:                              ;   in Loop: Header=BB73_9 Depth=2
	s_wait_xcnt 0x0
	s_or_b32 exec_lo, exec_lo, s27
	v_dual_mov_b32 v3, 0 :: v_dual_add_nc_u32 v2, s26, v6
	s_wait_loadcnt 0x0
	ds_store_b64 v25, v[0:1]
	v_cmp_gt_i32_e32 vcc_lo, s23, v2
	v_mov_b32_e32 v2, 0
	s_and_b32 s28, vcc_lo, s1
	s_delay_alu instid0(SALU_CYCLE_1)
	s_and_saveexec_b32 s27, s28
	s_cbranch_execz .LBB73_8
; %bb.12:                               ;   in Loop: Header=BB73_9 Depth=2
	global_load_b64 v[2:3], v[22:23], off
	s_branch .LBB73_8
.LBB73_13:                              ;   in Loop: Header=BB73_6 Depth=1
	s_mul_u64 s[26:27], s[24:25], s[8:9]
	s_delay_alu instid0(SALU_CYCLE_1) | instskip(NEXT) | instid1(SALU_CYCLE_1)
	s_lshl_b64 s[26:27], s[26:27], 3
	s_add_nc_u64 s[26:27], s[16:17], s[26:27]
	s_delay_alu instid0(SALU_CYCLE_1)
	v_lshl_add_u64 v[0:1], v[12:13], 3, s[26:27]
	s_and_saveexec_b32 s28, s33
	s_cbranch_execz .LBB73_18
; %bb.14:                               ;   in Loop: Header=BB73_6 Depth=1
	v_mov_b64_e32 v[2:3], s[18:19]
	v_mov_b64_e32 v[20:21], s[6:7]
	s_and_b32 vcc_lo, exec_lo, s31
	s_mov_b32 s29, -1
	s_delay_alu instid0(VALU_DEP_2) | instskip(NEXT) | instid1(VALU_DEP_1)
	v_pk_mul_f32 v[2:3], v[38:39], v[2:3] op_sel_hi:[0,1]
	v_pk_fma_f32 v[22:23], v[36:37], v[20:21], v[2:3] op_sel_hi:[0,1,1]
	v_pk_fma_f32 v[2:3], v[36:37], v[20:21], v[2:3] neg_lo:[0,0,1] neg_hi:[0,0,1]
	v_lshl_add_u64 v[20:21], v[8:9], 3, v[0:1]
	s_delay_alu instid0(VALU_DEP_3)
	v_mov_b32_e32 v3, v23
	s_cbranch_vccz .LBB73_16
; %bb.15:                               ;   in Loop: Header=BB73_6 Depth=1
	global_load_b64 v[22:23], v[20:21], off
	v_mov_b64_e32 v[36:37], s[20:21]
	v_mov_b64_e32 v[38:39], s[2:3]
	s_mov_b32 s29, 0
	s_wait_loadcnt 0x0
	s_delay_alu instid0(VALU_DEP_2) | instskip(NEXT) | instid1(VALU_DEP_1)
	v_pk_mul_f32 v[36:37], v[22:23], v[36:37]
	v_pk_fma_f32 v[40:41], v[22:23], v[38:39], v[36:37] op_sel:[0,0,1] op_sel_hi:[1,1,0]
	v_pk_fma_f32 v[22:23], v[22:23], v[38:39], v[36:37] op_sel:[0,0,1] op_sel_hi:[1,1,0] neg_lo:[0,0,1] neg_hi:[0,0,1]
	s_delay_alu instid0(VALU_DEP_2) | instskip(NEXT) | instid1(VALU_DEP_1)
	v_mov_b32_e32 v23, v41
	v_pk_add_f32 v[22:23], v[2:3], v[22:23]
	global_store_b64 v[20:21], v[22:23], off
.LBB73_16:                              ;   in Loop: Header=BB73_6 Depth=1
	s_and_not1_b32 vcc_lo, exec_lo, s29
	s_cbranch_vccnz .LBB73_18
; %bb.17:                               ;   in Loop: Header=BB73_6 Depth=1
	global_store_b64 v[20:21], v[2:3], off
.LBB73_18:                              ;   in Loop: Header=BB73_6 Depth=1
	s_wait_xcnt 0x0
	s_or_b32 exec_lo, exec_lo, s28
	s_and_saveexec_b32 s28, s34
	s_cbranch_execz .LBB73_23
; %bb.19:                               ;   in Loop: Header=BB73_6 Depth=1
	v_mov_b64_e32 v[2:3], s[18:19]
	v_mov_b64_e32 v[20:21], s[6:7]
	v_lshl_add_u64 v[0:1], v[10:11], 3, v[0:1]
	s_and_not1_b32 vcc_lo, exec_lo, s31
	s_mov_b32 s29, -1
	s_delay_alu instid0(VALU_DEP_3) | instskip(NEXT) | instid1(VALU_DEP_1)
	v_pk_mul_f32 v[2:3], v[34:35], v[2:3] op_sel_hi:[0,1]
	v_pk_fma_f32 v[22:23], v[32:33], v[20:21], v[2:3] op_sel_hi:[0,1,1]
	v_pk_fma_f32 v[2:3], v[32:33], v[20:21], v[2:3] neg_lo:[0,0,1] neg_hi:[0,0,1]
	s_delay_alu instid0(VALU_DEP_2)
	v_mov_b32_e32 v3, v23
	s_cbranch_vccnz .LBB73_21
; %bb.20:                               ;   in Loop: Header=BB73_6 Depth=1
	global_load_b64 v[20:21], v[0:1], off
	v_mov_b64_e32 v[22:23], s[20:21]
	v_mov_b64_e32 v[32:33], s[2:3]
	s_mov_b32 s29, 0
	s_wait_loadcnt 0x0
	s_delay_alu instid0(VALU_DEP_2) | instskip(NEXT) | instid1(VALU_DEP_1)
	v_pk_mul_f32 v[22:23], v[20:21], v[22:23]
	v_pk_fma_f32 v[34:35], v[20:21], v[32:33], v[22:23] op_sel:[0,0,1] op_sel_hi:[1,1,0]
	v_pk_fma_f32 v[20:21], v[20:21], v[32:33], v[22:23] op_sel:[0,0,1] op_sel_hi:[1,1,0] neg_lo:[0,0,1] neg_hi:[0,0,1]
	s_delay_alu instid0(VALU_DEP_2) | instskip(NEXT) | instid1(VALU_DEP_1)
	v_mov_b32_e32 v21, v35
	v_pk_add_f32 v[20:21], v[2:3], v[20:21]
	global_store_b64 v[0:1], v[20:21], off
.LBB73_21:                              ;   in Loop: Header=BB73_6 Depth=1
	s_and_not1_b32 vcc_lo, exec_lo, s29
	s_cbranch_vccnz .LBB73_23
; %bb.22:                               ;   in Loop: Header=BB73_6 Depth=1
	global_store_b64 v[0:1], v[2:3], off
.LBB73_23:                              ;   in Loop: Header=BB73_6 Depth=1
	s_wait_xcnt 0x0
	s_or_b32 exec_lo, exec_lo, s28
	v_lshl_add_u64 v[0:1], v[14:15], 3, s[26:27]
	s_and_saveexec_b32 s26, s22
	s_cbranch_execz .LBB73_28
; %bb.24:                               ;   in Loop: Header=BB73_6 Depth=1
	v_mov_b64_e32 v[2:3], s[18:19]
	v_mov_b64_e32 v[20:21], s[6:7]
	s_and_not1_b32 vcc_lo, exec_lo, s31
	s_mov_b32 s27, -1
	s_delay_alu instid0(VALU_DEP_2) | instskip(NEXT) | instid1(VALU_DEP_1)
	v_pk_mul_f32 v[2:3], v[30:31], v[2:3] op_sel_hi:[0,1]
	v_pk_fma_f32 v[22:23], v[28:29], v[20:21], v[2:3] op_sel_hi:[0,1,1]
	v_pk_fma_f32 v[2:3], v[28:29], v[20:21], v[2:3] neg_lo:[0,0,1] neg_hi:[0,0,1]
	v_lshl_add_u64 v[20:21], v[8:9], 3, v[0:1]
	s_delay_alu instid0(VALU_DEP_3)
	v_mov_b32_e32 v3, v23
	s_cbranch_vccnz .LBB73_26
; %bb.25:                               ;   in Loop: Header=BB73_6 Depth=1
	global_load_b64 v[22:23], v[20:21], off
	v_mov_b64_e32 v[28:29], s[20:21]
	v_mov_b64_e32 v[30:31], s[2:3]
	s_mov_b32 s27, 0
	s_wait_loadcnt 0x0
	s_delay_alu instid0(VALU_DEP_2) | instskip(NEXT) | instid1(VALU_DEP_1)
	v_pk_mul_f32 v[28:29], v[22:23], v[28:29]
	v_pk_fma_f32 v[32:33], v[22:23], v[30:31], v[28:29] op_sel:[0,0,1] op_sel_hi:[1,1,0]
	v_pk_fma_f32 v[22:23], v[22:23], v[30:31], v[28:29] op_sel:[0,0,1] op_sel_hi:[1,1,0] neg_lo:[0,0,1] neg_hi:[0,0,1]
	s_delay_alu instid0(VALU_DEP_2) | instskip(NEXT) | instid1(VALU_DEP_1)
	v_mov_b32_e32 v23, v33
	v_pk_add_f32 v[22:23], v[2:3], v[22:23]
	global_store_b64 v[20:21], v[22:23], off
.LBB73_26:                              ;   in Loop: Header=BB73_6 Depth=1
	s_and_not1_b32 vcc_lo, exec_lo, s27
	s_cbranch_vccnz .LBB73_28
; %bb.27:                               ;   in Loop: Header=BB73_6 Depth=1
	global_store_b64 v[20:21], v[2:3], off
.LBB73_28:                              ;   in Loop: Header=BB73_6 Depth=1
	s_wait_xcnt 0x0
	s_or_b32 exec_lo, exec_lo, s26
	s_and_saveexec_b32 s26, s35
	s_cbranch_execz .LBB73_5
; %bb.29:                               ;   in Loop: Header=BB73_6 Depth=1
	v_mov_b64_e32 v[2:3], s[18:19]
	v_mov_b64_e32 v[20:21], s[6:7]
	v_lshl_add_u64 v[0:1], v[10:11], 3, v[0:1]
	s_and_not1_b32 vcc_lo, exec_lo, s31
	s_mov_b32 s27, -1
	s_delay_alu instid0(VALU_DEP_3) | instskip(NEXT) | instid1(VALU_DEP_1)
	v_pk_mul_f32 v[2:3], v[26:27], v[2:3] op_sel_hi:[0,1]
	v_pk_fma_f32 v[22:23], v[24:25], v[20:21], v[2:3] op_sel_hi:[0,1,1]
	v_pk_fma_f32 v[2:3], v[24:25], v[20:21], v[2:3] neg_lo:[0,0,1] neg_hi:[0,0,1]
	s_delay_alu instid0(VALU_DEP_2)
	v_mov_b32_e32 v3, v23
	s_cbranch_vccnz .LBB73_31
; %bb.30:                               ;   in Loop: Header=BB73_6 Depth=1
	global_load_b64 v[20:21], v[0:1], off
	v_mov_b64_e32 v[22:23], s[20:21]
	v_mov_b64_e32 v[28:29], s[2:3]
	s_mov_b32 s27, 0
	s_wait_loadcnt 0x0
	s_delay_alu instid0(VALU_DEP_2) | instskip(NEXT) | instid1(VALU_DEP_1)
	v_pk_mul_f32 v[22:23], v[20:21], v[22:23]
	v_pk_fma_f32 v[30:31], v[20:21], v[28:29], v[22:23] op_sel:[0,0,1] op_sel_hi:[1,1,0]
	v_pk_fma_f32 v[20:21], v[20:21], v[28:29], v[22:23] op_sel:[0,0,1] op_sel_hi:[1,1,0] neg_lo:[0,0,1] neg_hi:[0,0,1]
	s_delay_alu instid0(VALU_DEP_2) | instskip(NEXT) | instid1(VALU_DEP_1)
	v_mov_b32_e32 v21, v31
	v_pk_add_f32 v[20:21], v[2:3], v[20:21]
	global_store_b64 v[0:1], v[20:21], off
.LBB73_31:                              ;   in Loop: Header=BB73_6 Depth=1
	s_and_not1_b32 vcc_lo, exec_lo, s27
	s_cbranch_vccnz .LBB73_5
; %bb.32:                               ;   in Loop: Header=BB73_6 Depth=1
	global_store_b64 v[0:1], v[2:3], off
	s_branch .LBB73_5
.LBB73_33:
	s_endpgm
	.section	.rodata,"a",@progbits
	.p2align	6, 0x0
	.amdhsa_kernel _ZL29rocblas_internal_gemmt_kernelIiLi16ELi32ELi8ELc78ELc84ELc85ELb0ELb0E19rocblas_complex_numIfEPKS1_S3_PS1_EviT_T9_T10_S5_lS7_S5_lS6_T11_S5_li
		.amdhsa_group_segment_fixed_size 4096
		.amdhsa_private_segment_fixed_size 0
		.amdhsa_kernarg_size 100
		.amdhsa_user_sgpr_count 2
		.amdhsa_user_sgpr_dispatch_ptr 0
		.amdhsa_user_sgpr_queue_ptr 0
		.amdhsa_user_sgpr_kernarg_segment_ptr 1
		.amdhsa_user_sgpr_dispatch_id 0
		.amdhsa_user_sgpr_kernarg_preload_length 0
		.amdhsa_user_sgpr_kernarg_preload_offset 0
		.amdhsa_user_sgpr_private_segment_size 0
		.amdhsa_wavefront_size32 1
		.amdhsa_uses_dynamic_stack 0
		.amdhsa_enable_private_segment 0
		.amdhsa_system_sgpr_workgroup_id_x 1
		.amdhsa_system_sgpr_workgroup_id_y 1
		.amdhsa_system_sgpr_workgroup_id_z 1
		.amdhsa_system_sgpr_workgroup_info 0
		.amdhsa_system_vgpr_workitem_id 1
		.amdhsa_next_free_vgpr 56
		.amdhsa_next_free_sgpr 38
		.amdhsa_named_barrier_count 0
		.amdhsa_reserve_vcc 1
		.amdhsa_float_round_mode_32 0
		.amdhsa_float_round_mode_16_64 0
		.amdhsa_float_denorm_mode_32 3
		.amdhsa_float_denorm_mode_16_64 3
		.amdhsa_fp16_overflow 0
		.amdhsa_memory_ordered 1
		.amdhsa_forward_progress 1
		.amdhsa_inst_pref_size 25
		.amdhsa_round_robin_scheduling 0
		.amdhsa_exception_fp_ieee_invalid_op 0
		.amdhsa_exception_fp_denorm_src 0
		.amdhsa_exception_fp_ieee_div_zero 0
		.amdhsa_exception_fp_ieee_overflow 0
		.amdhsa_exception_fp_ieee_underflow 0
		.amdhsa_exception_fp_ieee_inexact 0
		.amdhsa_exception_int_div_zero 0
	.end_amdhsa_kernel
	.section	.text._ZL29rocblas_internal_gemmt_kernelIiLi16ELi32ELi8ELc78ELc84ELc85ELb0ELb0E19rocblas_complex_numIfEPKS1_S3_PS1_EviT_T9_T10_S5_lS7_S5_lS6_T11_S5_li,"axG",@progbits,_ZL29rocblas_internal_gemmt_kernelIiLi16ELi32ELi8ELc78ELc84ELc85ELb0ELb0E19rocblas_complex_numIfEPKS1_S3_PS1_EviT_T9_T10_S5_lS7_S5_lS6_T11_S5_li,comdat
.Lfunc_end73:
	.size	_ZL29rocblas_internal_gemmt_kernelIiLi16ELi32ELi8ELc78ELc84ELc85ELb0ELb0E19rocblas_complex_numIfEPKS1_S3_PS1_EviT_T9_T10_S5_lS7_S5_lS6_T11_S5_li, .Lfunc_end73-_ZL29rocblas_internal_gemmt_kernelIiLi16ELi32ELi8ELc78ELc84ELc85ELb0ELb0E19rocblas_complex_numIfEPKS1_S3_PS1_EviT_T9_T10_S5_lS7_S5_lS6_T11_S5_li
                                        ; -- End function
	.set _ZL29rocblas_internal_gemmt_kernelIiLi16ELi32ELi8ELc78ELc84ELc85ELb0ELb0E19rocblas_complex_numIfEPKS1_S3_PS1_EviT_T9_T10_S5_lS7_S5_lS6_T11_S5_li.num_vgpr, 56
	.set _ZL29rocblas_internal_gemmt_kernelIiLi16ELi32ELi8ELc78ELc84ELc85ELb0ELb0E19rocblas_complex_numIfEPKS1_S3_PS1_EviT_T9_T10_S5_lS7_S5_lS6_T11_S5_li.num_agpr, 0
	.set _ZL29rocblas_internal_gemmt_kernelIiLi16ELi32ELi8ELc78ELc84ELc85ELb0ELb0E19rocblas_complex_numIfEPKS1_S3_PS1_EviT_T9_T10_S5_lS7_S5_lS6_T11_S5_li.numbered_sgpr, 38
	.set _ZL29rocblas_internal_gemmt_kernelIiLi16ELi32ELi8ELc78ELc84ELc85ELb0ELb0E19rocblas_complex_numIfEPKS1_S3_PS1_EviT_T9_T10_S5_lS7_S5_lS6_T11_S5_li.num_named_barrier, 0
	.set _ZL29rocblas_internal_gemmt_kernelIiLi16ELi32ELi8ELc78ELc84ELc85ELb0ELb0E19rocblas_complex_numIfEPKS1_S3_PS1_EviT_T9_T10_S5_lS7_S5_lS6_T11_S5_li.private_seg_size, 0
	.set _ZL29rocblas_internal_gemmt_kernelIiLi16ELi32ELi8ELc78ELc84ELc85ELb0ELb0E19rocblas_complex_numIfEPKS1_S3_PS1_EviT_T9_T10_S5_lS7_S5_lS6_T11_S5_li.uses_vcc, 1
	.set _ZL29rocblas_internal_gemmt_kernelIiLi16ELi32ELi8ELc78ELc84ELc85ELb0ELb0E19rocblas_complex_numIfEPKS1_S3_PS1_EviT_T9_T10_S5_lS7_S5_lS6_T11_S5_li.uses_flat_scratch, 0
	.set _ZL29rocblas_internal_gemmt_kernelIiLi16ELi32ELi8ELc78ELc84ELc85ELb0ELb0E19rocblas_complex_numIfEPKS1_S3_PS1_EviT_T9_T10_S5_lS7_S5_lS6_T11_S5_li.has_dyn_sized_stack, 0
	.set _ZL29rocblas_internal_gemmt_kernelIiLi16ELi32ELi8ELc78ELc84ELc85ELb0ELb0E19rocblas_complex_numIfEPKS1_S3_PS1_EviT_T9_T10_S5_lS7_S5_lS6_T11_S5_li.has_recursion, 0
	.set _ZL29rocblas_internal_gemmt_kernelIiLi16ELi32ELi8ELc78ELc84ELc85ELb0ELb0E19rocblas_complex_numIfEPKS1_S3_PS1_EviT_T9_T10_S5_lS7_S5_lS6_T11_S5_li.has_indirect_call, 0
	.section	.AMDGPU.csdata,"",@progbits
; Kernel info:
; codeLenInByte = 3184
; TotalNumSgprs: 40
; NumVgprs: 56
; ScratchSize: 0
; MemoryBound: 0
; FloatMode: 240
; IeeeMode: 1
; LDSByteSize: 4096 bytes/workgroup (compile time only)
; SGPRBlocks: 0
; VGPRBlocks: 3
; NumSGPRsForWavesPerEU: 40
; NumVGPRsForWavesPerEU: 56
; NamedBarCnt: 0
; Occupancy: 16
; WaveLimiterHint : 0
; COMPUTE_PGM_RSRC2:SCRATCH_EN: 0
; COMPUTE_PGM_RSRC2:USER_SGPR: 2
; COMPUTE_PGM_RSRC2:TRAP_HANDLER: 0
; COMPUTE_PGM_RSRC2:TGID_X_EN: 1
; COMPUTE_PGM_RSRC2:TGID_Y_EN: 1
; COMPUTE_PGM_RSRC2:TGID_Z_EN: 1
; COMPUTE_PGM_RSRC2:TIDIG_COMP_CNT: 1
	.section	.text._ZL29rocblas_internal_gemmt_kernelIiLi16ELi32ELi8ELc78ELc67ELc85ELb0ELb1E19rocblas_complex_numIfEPKS1_S3_PS1_EviT_T9_T10_S5_lS7_S5_lS6_T11_S5_li,"axG",@progbits,_ZL29rocblas_internal_gemmt_kernelIiLi16ELi32ELi8ELc78ELc67ELc85ELb0ELb1E19rocblas_complex_numIfEPKS1_S3_PS1_EviT_T9_T10_S5_lS7_S5_lS6_T11_S5_li,comdat
	.globl	_ZL29rocblas_internal_gemmt_kernelIiLi16ELi32ELi8ELc78ELc67ELc85ELb0ELb1E19rocblas_complex_numIfEPKS1_S3_PS1_EviT_T9_T10_S5_lS7_S5_lS6_T11_S5_li ; -- Begin function _ZL29rocblas_internal_gemmt_kernelIiLi16ELi32ELi8ELc78ELc67ELc85ELb0ELb1E19rocblas_complex_numIfEPKS1_S3_PS1_EviT_T9_T10_S5_lS7_S5_lS6_T11_S5_li
	.p2align	8
	.type	_ZL29rocblas_internal_gemmt_kernelIiLi16ELi32ELi8ELc78ELc67ELc85ELb0ELb1E19rocblas_complex_numIfEPKS1_S3_PS1_EviT_T9_T10_S5_lS7_S5_lS6_T11_S5_li,@function
_ZL29rocblas_internal_gemmt_kernelIiLi16ELi32ELi8ELc78ELc67ELc85ELb0ELb1E19rocblas_complex_numIfEPKS1_S3_PS1_EviT_T9_T10_S5_lS7_S5_lS6_T11_S5_li: ; @_ZL29rocblas_internal_gemmt_kernelIiLi16ELi32ELi8ELc78ELc67ELc85ELb0ELb1E19rocblas_complex_numIfEPKS1_S3_PS1_EviT_T9_T10_S5_lS7_S5_lS6_T11_S5_li
; %bb.0:
	s_load_b128 s[8:11], s[0:1], 0x38
	s_wait_kmcnt 0x0
	s_load_b64 s[20:21], s[10:11], 0x0
	s_clause 0x1
	s_load_b128 s[4:7], s[0:1], 0x8
	s_load_b64 s[22:23], s[0:1], 0x0
	s_wait_kmcnt 0x0
	s_cmp_neq_f32 s20, 1.0
	s_load_b64 s[10:11], s[4:5], 0x0
	s_cselect_b32 s3, -1, 0
	s_wait_xcnt 0x0
	s_and_b32 s4, s21, 0x7fffffff
	s_delay_alu instid0(SALU_CYCLE_1) | instskip(SKIP_3) | instid1(SALU_CYCLE_1)
	s_cmp_eq_u32 s4, 0
	s_cselect_b32 s2, -1, 0
	s_cmp_lg_u32 s4, 0
	s_cselect_b32 s4, -1, 0
	s_or_b32 s3, s3, s4
	s_delay_alu instid0(SALU_CYCLE_1)
	s_and_b32 vcc_lo, exec_lo, s3
	s_cbranch_vccnz .LBB74_2
; %bb.1:
	s_cmp_lg_u32 s23, 0
	s_cselect_b32 s3, -1, 0
	s_wait_kmcnt 0x0
	s_cmp_neq_f32 s10, 0
	s_cselect_b32 s4, -1, 0
	s_cmp_neq_f32 s11, 0
	s_cselect_b32 s5, -1, 0
	s_delay_alu instid0(SALU_CYCLE_1) | instskip(NEXT) | instid1(SALU_CYCLE_1)
	s_or_b32 s4, s4, s5
	s_and_b32 s3, s3, s4
.LBB74_2:
	s_delay_alu instid0(SALU_CYCLE_1)
	s_and_not1_b32 vcc_lo, exec_lo, s3
	s_cbranch_vccnz .LBB74_35
; %bb.3:
	s_load_b32 s33, s[0:1], 0x60
	s_bfe_u32 s3, ttmp6, 0x40014
	s_lshr_b32 s4, ttmp7, 16
	s_add_co_i32 s3, s3, 1
	s_bfe_u32 s12, ttmp6, 0x40008
	s_mul_i32 s5, s4, s3
	s_getreg_b32 s3, hwreg(HW_REG_IB_STS2, 6, 4)
	s_add_co_i32 s12, s12, s5
	s_cmp_eq_u32 s3, 0
	s_mov_b32 s25, 0
	s_cselect_b32 s24, s4, s12
	s_wait_kmcnt 0x0
	s_cmp_ge_u32 s24, s33
	s_cbranch_scc1 .LBB74_35
; %bb.4:
	s_clause 0x4
	s_load_b32 s30, s[0:1], 0x18
	s_load_b32 s28, s[0:1], 0x30
	s_load_b96 s[16:18], s[0:1], 0x48
	s_load_b128 s[12:15], s[0:1], 0x20
	s_load_b64 s[26:27], s[0:1], 0x58
	s_wait_xcnt 0x0
	s_bfe_u32 s1, ttmp6, 0x4000c
	s_bfe_u32 s5, ttmp6, 0x40010
	v_and_b32_e32 v1, 0x3ff, v0
	v_bfe_u32 v8, v0, 10, 10
	s_and_b32 s4, ttmp7, 0xffff
	s_add_co_i32 s1, s1, 1
	s_add_co_i32 s5, s5, 1
	s_and_b32 s0, ttmp6, 15
	s_bfe_u32 s19, ttmp6, 0x40004
	s_mul_i32 s1, ttmp9, s1
	s_mul_i32 s5, s4, s5
	s_add_co_i32 s0, s0, s1
	s_add_co_i32 s19, s19, s5
	v_lshl_add_u32 v2, v8, 4, v1
	v_dual_mov_b32 v5, 0 :: v_dual_bitop2_b32 v6, 7, v0 bitop3:0x40
	s_wait_kmcnt 0x0
	s_ashr_i32 s31, s30, 31
	s_ashr_i32 s29, s28, 31
	;; [unrolled: 1-line block ×3, first 2 shown]
	s_cmp_eq_u32 s3, 0
	v_dual_lshrrev_b32 v4, 5, v2 :: v_dual_lshrrev_b32 v3, 3, v2
	s_cselect_b32 s1, s4, s19
	s_cselect_b32 s0, ttmp9, s0
	s_lshl_b32 s1, s1, 5
	s_delay_alu instid0(VALU_DEP_1) | instid1(SALU_CYCLE_1)
	v_dual_add_nc_u32 v2, s1, v3 :: v_dual_bitop2_b32 v7, 31, v2 bitop3:0x40
	s_lshl_b32 s3, s0, 5
	v_lshlrev_b32_e32 v9, 3, v6
	v_mul_u64_e32 v[20:21], s[30:31], v[4:5]
	s_delay_alu instid0(VALU_DEP_3) | instskip(SKIP_1) | instid1(VALU_DEP_4)
	v_dual_lshlrev_b32 v10, 3, v7 :: v_dual_bitop2_b32 v0, s3, v7 bitop3:0x54
	v_mov_b32_e32 v7, v5
	v_lshl_or_b32 v3, v3, 6, v9
	v_lshlrev_b32_e32 v27, 3, v1
	v_lshl_add_u32 v29, v8, 6, 0x800
	s_cmp_neq_f32 s10, 0
	v_mul_u64_e32 v[16:17], s[28:29], v[6:7]
	v_add_nc_u32_e32 v7, 0x800, v3
	v_dual_ashrrev_i32 v3, 31, v2 :: v_dual_add_nc_u32 v18, s1, v8
	v_add_nc_u32_e32 v8, s3, v1
	s_mov_b32 s4, s18
	v_lshl_or_b32 v25, v4, 8, v10
	s_cselect_b32 s0, -1, 0
	v_dual_add_nc_u32 v22, 16, v18 :: v_dual_ashrrev_i32 v19, 31, v18
	v_add_nc_u32_e32 v10, 16, v8
	s_cmp_neq_f32 s11, 0
	v_cmp_gt_i32_e32 vcc_lo, s22, v2
	s_delay_alu instid0(VALU_DEP_3)
	v_ashrrev_i32_e32 v23, 31, v22
	v_mul_u64_e32 v[12:13], s[4:5], v[18:19]
	s_cselect_b32 s18, -1, 0
	v_lshlrev_b64_e32 v[2:3], 3, v[2:3]
	s_or_b32 s18, s0, s18
	v_mul_u64_e32 v[14:15], s[4:5], v[22:23]
	v_ashrrev_i32_e32 v1, 31, v0
	s_cmp_gt_i32 s23, 0
	v_cmp_gt_i32_e64 s0, s22, v0
	s_cselect_b32 s19, -1, 0
	s_cmp_neq_f32 s20, 0
	v_lshlrev_b64_e32 v[0:1], 3, v[0:1]
	v_cmp_gt_i32_e64 s1, s22, v18
	v_cmp_le_i32_e64 s4, v8, v22
	s_cselect_b32 s3, -1, 0
	s_xor_b32 s34, s2, -1
	v_cmp_le_i32_e64 s2, v8, v18
	s_or_b32 s34, s3, s34
	v_lshl_add_u64 v[0:1], v[20:21], 3, v[0:1]
	v_lshl_add_u64 v[2:3], v[16:17], 3, v[2:3]
	v_cmp_gt_i32_e64 s3, s22, v22
	s_and_b32 s35, s1, s2
	v_cmp_le_i32_e64 s2, v10, v18
	v_add_nc_u64_e32 v[16:17], s[6:7], v[0:1]
	v_add_nc_u64_e32 v[2:3], s[14:15], v[2:3]
	v_dual_ashrrev_i32 v9, 31, v8 :: v_dual_ashrrev_i32 v11, 31, v10
	s_and_b32 s22, s1, s2
	v_cmp_le_i32_e64 s1, v10, v22
	s_and_b32 s36, s3, s4
	s_mov_b32 s2, s20
	v_add_nc_u64_e32 v[18:19], 4, v[2:3]
	s_mov_b32 s4, s11
	s_and_b32 s1, s3, s1
	s_mov_b32 s3, s20
	s_mov_b32 s20, s21
	;; [unrolled: 1-line block ×3, first 2 shown]
	s_lshl_b64 s[6:7], s[12:13], 3
	s_lshl_b64 s[12:13], s[30:31], 6
	s_and_b32 s30, s18, s19
	s_lshl_b64 s[8:9], s[8:9], 3
	s_lshl_b64 s[14:15], s[28:29], 6
	s_xor_b32 s28, vcc_lo, -1
	s_branch .LBB74_6
.LBB74_5:                               ;   in Loop: Header=BB74_6 Depth=1
	s_wait_xcnt 0x0
	s_or_b32 exec_lo, exec_lo, s18
	s_add_co_i32 s24, s24, 0x10000
	s_delay_alu instid0(SALU_CYCLE_1)
	s_cmp_lt_u32 s24, s33
	s_cbranch_scc0 .LBB74_35
.LBB74_6:                               ; =>This Loop Header: Depth=1
                                        ;     Child Loop BB74_9 Depth 2
	v_dual_mov_b32 v36, 0 :: v_dual_mov_b32 v38, 0
	v_dual_mov_b32 v32, 0 :: v_dual_mov_b32 v34, 0
	v_dual_mov_b32 v28, 0 :: v_dual_mov_b32 v30, 0
	v_dual_mov_b32 v24, 0 :: v_dual_mov_b32 v26, 0
	s_and_not1_b32 vcc_lo, exec_lo, s30
	s_cbranch_vccnz .LBB74_15
; %bb.7:                                ;   in Loop: Header=BB74_6 Depth=1
	v_mad_nc_u64_u32 v[20:21], s6, s24, v[16:17]
	v_mad_nc_u64_u32 v[22:23], s8, s24, v[18:19]
	v_dual_mov_b32 v26, 0 :: v_dual_mov_b32 v24, 0
	v_dual_mov_b32 v30, 0 :: v_dual_mov_b32 v28, 0
	;; [unrolled: 1-line block ×4, first 2 shown]
	s_mov_b32 s18, 0
	v_mad_u32 v21, s7, s24, v21
	v_mad_u32 v23, s9, s24, v23
	s_branch .LBB74_9
.LBB74_8:                               ;   in Loop: Header=BB74_9 Depth=2
	s_wait_xcnt 0x0
	s_or_b32 exec_lo, exec_lo, s19
	ds_store_b32 v7, v0 offset:4
	s_wait_dscnt 0x0
	s_barrier_signal -1
	s_barrier_wait -1
	ds_load_b128 v[40:43], v29
	ds_load_b128 v[44:47], v29 offset:16
	ds_load_b128 v[48:51], v29 offset:32
	;; [unrolled: 1-line block ×3, first 2 shown]
	ds_load_2addr_b64 v[52:55], v27 offset1:16
	v_add_nc_u64_e32 v[20:21], s[12:13], v[20:21]
	v_add_nc_u64_e32 v[22:23], s[14:15], v[22:23]
	s_add_co_i32 s18, s18, 8
	s_delay_alu instid0(SALU_CYCLE_1) | instskip(SKIP_2) | instid1(VALU_DEP_1)
	s_cmp_lt_i32 s18, s23
	s_wait_dscnt 0x0
	v_dual_mul_f32 v31, v41, v53 :: v_dual_mul_f32 v33, v40, v53
	v_dual_fma_f32 v31, v40, v52, -v31 :: v_dual_fmac_f32 v33, v41, v52
	s_delay_alu instid0(VALU_DEP_1) | instskip(SKIP_1) | instid1(VALU_DEP_1)
	v_dual_add_f32 v36, v36, v31 :: v_dual_add_f32 v37, v38, v33
	v_dual_mul_f32 v31, v41, v55 :: v_dual_mul_f32 v33, v40, v55
	v_dual_fma_f32 v31, v40, v54, -v31 :: v_dual_fmac_f32 v33, v41, v54
	s_delay_alu instid0(VALU_DEP_1) | instskip(SKIP_3) | instid1(VALU_DEP_1)
	v_dual_add_f32 v38, v32, v31 :: v_dual_add_f32 v39, v34, v33
	ds_load_b128 v[32:35], v29 offset:1024
	s_wait_dscnt 0x0
	v_dual_mul_f32 v31, v33, v53 :: v_dual_mul_f32 v40, v32, v53
	v_dual_fma_f32 v31, v32, v52, -v31 :: v_dual_fmac_f32 v40, v33, v52
	s_delay_alu instid0(VALU_DEP_1) | instskip(SKIP_1) | instid1(VALU_DEP_1)
	v_dual_add_f32 v28, v28, v31 :: v_dual_add_f32 v40, v30, v40
	v_dual_mul_f32 v30, v33, v55 :: v_dual_mul_f32 v31, v32, v55
	v_dual_fma_f32 v30, v32, v54, -v30 :: v_dual_fmac_f32 v31, v33, v54
	s_delay_alu instid0(VALU_DEP_1) | instskip(SKIP_3) | instid1(VALU_DEP_1)
	v_dual_add_f32 v24, v24, v30 :: v_dual_add_f32 v26, v26, v31
	ds_load_2addr_b64 v[30:33], v27 offset0:32 offset1:48
	s_wait_dscnt 0x0
	v_dual_mul_f32 v41, v43, v31 :: v_dual_mul_f32 v52, v42, v31
	v_dual_fma_f32 v41, v42, v30, -v41 :: v_dual_fmac_f32 v52, v43, v30
	s_delay_alu instid0(VALU_DEP_1) | instskip(SKIP_1) | instid1(VALU_DEP_1)
	v_dual_add_f32 v36, v36, v41 :: v_dual_add_f32 v37, v37, v52
	v_mul_f32_e32 v41, v43, v33
	v_dual_fma_f32 v41, v42, v32, -v41 :: v_dual_mul_f32 v42, v42, v33
	s_delay_alu instid0(VALU_DEP_1) | instskip(SKIP_1) | instid1(VALU_DEP_2)
	v_dual_fmac_f32 v42, v43, v32 :: v_dual_add_f32 v38, v38, v41
	v_dual_mul_f32 v41, v35, v31 :: v_dual_mul_f32 v31, v34, v31
	v_add_f32_e32 v39, v39, v42
	s_delay_alu instid0(VALU_DEP_2) | instskip(SKIP_1) | instid1(VALU_DEP_2)
	v_dual_fma_f32 v41, v34, v30, -v41 :: v_dual_fmac_f32 v31, v35, v30
	v_mul_f32_e32 v30, v35, v33
	v_add_f32_e32 v28, v28, v41
	s_delay_alu instid0(VALU_DEP_2) | instskip(NEXT) | instid1(VALU_DEP_1)
	v_dual_add_f32 v40, v40, v31 :: v_dual_fma_f32 v30, v34, v32, -v30
	v_dual_mul_f32 v31, v34, v33 :: v_dual_add_f32 v24, v24, v30
	s_delay_alu instid0(VALU_DEP_1) | instskip(NEXT) | instid1(VALU_DEP_1)
	v_fmac_f32_e32 v31, v35, v32
	v_add_f32_e32 v26, v26, v31
	ds_load_2addr_b64 v[30:33], v27 offset0:64 offset1:80
	s_wait_dscnt 0x0
	v_dual_mul_f32 v34, v45, v31 :: v_dual_mul_f32 v35, v44, v31
	s_delay_alu instid0(VALU_DEP_1) | instskip(NEXT) | instid1(VALU_DEP_1)
	v_fma_f32 v34, v44, v30, -v34
	v_dual_add_f32 v41, v36, v34 :: v_dual_mul_f32 v34, v45, v33
	s_delay_alu instid0(VALU_DEP_1) | instskip(NEXT) | instid1(VALU_DEP_1)
	v_dual_fmac_f32 v35, v45, v30 :: v_dual_fma_f32 v34, v44, v32, -v34
	v_dual_add_f32 v42, v37, v35 :: v_dual_mul_f32 v35, v44, v33
	s_delay_alu instid0(VALU_DEP_1) | instskip(NEXT) | instid1(VALU_DEP_1)
	v_dual_add_f32 v38, v38, v34 :: v_dual_fmac_f32 v35, v45, v32
	v_add_f32_e32 v39, v39, v35
	ds_load_b128 v[34:37], v29 offset:1040
	s_wait_dscnt 0x0
	v_dual_mul_f32 v43, v35, v31 :: v_dual_mul_f32 v31, v34, v31
	s_delay_alu instid0(VALU_DEP_1) | instskip(NEXT) | instid1(VALU_DEP_2)
	v_fmac_f32_e32 v31, v35, v30
	v_dual_fma_f32 v43, v34, v30, -v43 :: v_dual_mul_f32 v30, v35, v33
	s_delay_alu instid0(VALU_DEP_2) | instskip(NEXT) | instid1(VALU_DEP_2)
	v_add_f32_e32 v40, v40, v31
	v_dual_add_f32 v28, v28, v43 :: v_dual_fma_f32 v30, v34, v32, -v30
	s_delay_alu instid0(VALU_DEP_1) | instskip(NEXT) | instid1(VALU_DEP_1)
	v_dual_mul_f32 v31, v34, v33 :: v_dual_add_f32 v24, v24, v30
	v_fmac_f32_e32 v31, v35, v32
	s_delay_alu instid0(VALU_DEP_1) | instskip(SKIP_3) | instid1(VALU_DEP_1)
	v_add_f32_e32 v26, v26, v31
	ds_load_2addr_b64 v[30:33], v27 offset0:96 offset1:112
	s_wait_dscnt 0x0
	v_mul_f32_e32 v34, v47, v31
	v_dual_fma_f32 v34, v46, v30, -v34 :: v_dual_mul_f32 v35, v46, v31
	s_delay_alu instid0(VALU_DEP_1) | instskip(NEXT) | instid1(VALU_DEP_2)
	v_add_f32_e32 v34, v41, v34
	v_dual_fmac_f32 v35, v47, v30 :: v_dual_mul_f32 v41, v47, v33
	s_delay_alu instid0(VALU_DEP_1) | instskip(NEXT) | instid1(VALU_DEP_2)
	v_add_f32_e32 v35, v42, v35
	v_dual_fma_f32 v41, v46, v32, -v41 :: v_dual_mul_f32 v42, v46, v33
	s_delay_alu instid0(VALU_DEP_1) | instskip(SKIP_1) | instid1(VALU_DEP_2)
	v_dual_fmac_f32 v42, v47, v32 :: v_dual_add_f32 v38, v38, v41
	v_dual_mul_f32 v41, v37, v31 :: v_dual_mul_f32 v31, v36, v31
	v_add_f32_e32 v39, v39, v42
	s_delay_alu instid0(VALU_DEP_2) | instskip(NEXT) | instid1(VALU_DEP_1)
	v_dual_fma_f32 v41, v36, v30, -v41 :: v_dual_fmac_f32 v31, v37, v30
	v_dual_mul_f32 v30, v37, v33 :: v_dual_add_f32 v40, v40, v31
	s_delay_alu instid0(VALU_DEP_1) | instskip(NEXT) | instid1(VALU_DEP_1)
	v_dual_fma_f32 v30, v36, v32, -v30 :: v_dual_mul_f32 v31, v36, v33
	v_dual_add_f32 v28, v28, v41 :: v_dual_fmac_f32 v31, v37, v32
	s_delay_alu instid0(VALU_DEP_1) | instskip(SKIP_3) | instid1(VALU_DEP_1)
	v_dual_add_f32 v24, v24, v30 :: v_dual_add_f32 v26, v26, v31
	ds_load_2addr_b64 v[30:33], v27 offset0:128 offset1:144
	s_wait_dscnt 0x0
	v_dual_mul_f32 v36, v49, v31 :: v_dual_mul_f32 v37, v48, v31
	v_dual_fma_f32 v36, v48, v30, -v36 :: v_dual_fmac_f32 v37, v49, v30
	s_delay_alu instid0(VALU_DEP_1) | instskip(SKIP_1) | instid1(VALU_DEP_1)
	v_dual_add_f32 v41, v34, v36 :: v_dual_add_f32 v42, v35, v37
	v_dual_mul_f32 v34, v49, v33 :: v_dual_mul_f32 v35, v48, v33
	v_dual_fma_f32 v34, v48, v32, -v34 :: v_dual_fmac_f32 v35, v49, v32
	s_delay_alu instid0(VALU_DEP_1) | instskip(SKIP_3) | instid1(VALU_DEP_1)
	v_dual_add_f32 v38, v38, v34 :: v_dual_add_f32 v39, v39, v35
	ds_load_b128 v[34:37], v29 offset:1056
	s_wait_dscnt 0x0
	v_dual_mul_f32 v43, v35, v31 :: v_dual_mul_f32 v31, v34, v31
	v_fmac_f32_e32 v31, v35, v30
	s_delay_alu instid0(VALU_DEP_2) | instskip(NEXT) | instid1(VALU_DEP_2)
	v_dual_fma_f32 v43, v34, v30, -v43 :: v_dual_mul_f32 v30, v35, v33
	v_dual_add_f32 v40, v40, v31 :: v_dual_mul_f32 v31, v34, v33
	s_delay_alu instid0(VALU_DEP_2) | instskip(NEXT) | instid1(VALU_DEP_1)
	v_dual_fma_f32 v30, v34, v32, -v30 :: v_dual_add_f32 v28, v28, v43
	v_dual_fmac_f32 v31, v35, v32 :: v_dual_add_f32 v24, v24, v30
	s_delay_alu instid0(VALU_DEP_1) | instskip(SKIP_3) | instid1(VALU_DEP_1)
	v_add_f32_e32 v26, v26, v31
	ds_load_2addr_b64 v[30:33], v27 offset0:160 offset1:176
	s_wait_dscnt 0x0
	v_dual_mul_f32 v34, v51, v31 :: v_dual_mul_f32 v35, v50, v31
	v_dual_fma_f32 v34, v50, v30, -v34 :: v_dual_fmac_f32 v35, v51, v30
	s_delay_alu instid0(VALU_DEP_1) | instskip(SKIP_1) | instid1(VALU_DEP_1)
	v_dual_add_f32 v34, v41, v34 :: v_dual_add_f32 v35, v42, v35
	v_dual_mul_f32 v41, v51, v33 :: v_dual_mul_f32 v42, v50, v33
	v_dual_fma_f32 v41, v50, v32, -v41 :: v_dual_fmac_f32 v42, v51, v32
	s_delay_alu instid0(VALU_DEP_1) | instskip(SKIP_1) | instid1(VALU_DEP_1)
	v_dual_add_f32 v38, v38, v41 :: v_dual_add_f32 v39, v39, v42
	v_dual_mul_f32 v41, v37, v31 :: v_dual_mul_f32 v31, v36, v31
	v_dual_fma_f32 v41, v36, v30, -v41 :: v_dual_fmac_f32 v31, v37, v30
	s_delay_alu instid0(VALU_DEP_1) | instskip(NEXT) | instid1(VALU_DEP_1)
	v_dual_mul_f32 v30, v37, v33 :: v_dual_add_f32 v42, v40, v31
	v_dual_fma_f32 v30, v36, v32, -v30 :: v_dual_mul_f32 v31, v36, v33
	s_delay_alu instid0(VALU_DEP_1) | instskip(NEXT) | instid1(VALU_DEP_1)
	v_dual_add_f32 v28, v28, v41 :: v_dual_fmac_f32 v31, v37, v32
	v_dual_add_f32 v24, v24, v30 :: v_dual_add_f32 v26, v26, v31
	ds_load_2addr_b64 v[30:33], v27 offset0:192 offset1:208
	s_wait_dscnt 0x0
	v_dual_mul_f32 v36, v1, v31 :: v_dual_mul_f32 v37, v0, v31
	s_delay_alu instid0(VALU_DEP_1) | instskip(NEXT) | instid1(VALU_DEP_1)
	v_dual_fma_f32 v36, v0, v30, -v36 :: v_dual_fmac_f32 v37, v1, v30
	v_dual_add_f32 v34, v34, v36 :: v_dual_add_f32 v35, v35, v37
	v_mul_f32_e32 v36, v1, v33
	s_delay_alu instid0(VALU_DEP_1) | instskip(NEXT) | instid1(VALU_DEP_1)
	v_dual_fma_f32 v36, v0, v32, -v36 :: v_dual_mul_f32 v0, v0, v33
	v_fmac_f32_e32 v0, v1, v32
	s_delay_alu instid0(VALU_DEP_2) | instskip(NEXT) | instid1(VALU_DEP_2)
	v_add_f32_e32 v1, v38, v36
	v_add_f32_e32 v0, v39, v0
	ds_load_b128 v[38:41], v29 offset:1072
	s_wait_dscnt 0x0
	v_dual_mul_f32 v36, v39, v31 :: v_dual_mul_f32 v31, v38, v31
	s_delay_alu instid0(VALU_DEP_1) | instskip(NEXT) | instid1(VALU_DEP_1)
	v_dual_fma_f32 v36, v38, v30, -v36 :: v_dual_fmac_f32 v31, v39, v30
	v_dual_add_f32 v28, v28, v36 :: v_dual_add_f32 v30, v42, v31
	ds_load_2addr_b64 v[42:45], v27 offset0:224 offset1:240
	v_dual_mul_f32 v31, v39, v33 :: v_dual_mul_f32 v33, v38, v33
	s_wait_dscnt 0x0
	s_barrier_signal -1
	s_barrier_wait -1
	s_delay_alu instid0(VALU_DEP_1) | instskip(NEXT) | instid1(VALU_DEP_1)
	v_dual_fma_f32 v31, v38, v32, -v31 :: v_dual_fmac_f32 v33, v39, v32
	v_dual_add_f32 v24, v24, v31 :: v_dual_add_f32 v26, v26, v33
	v_dual_mul_f32 v31, v3, v43 :: v_dual_mul_f32 v32, v2, v43
	s_delay_alu instid0(VALU_DEP_1) | instskip(NEXT) | instid1(VALU_DEP_1)
	v_dual_fma_f32 v31, v2, v42, -v31 :: v_dual_fmac_f32 v32, v3, v42
	v_dual_add_f32 v36, v34, v31 :: v_dual_add_f32 v38, v35, v32
	v_mul_f32_e32 v31, v3, v45
	s_delay_alu instid0(VALU_DEP_1) | instskip(NEXT) | instid1(VALU_DEP_1)
	v_dual_fma_f32 v31, v2, v44, -v31 :: v_dual_mul_f32 v2, v2, v45
	v_dual_fmac_f32 v2, v3, v44 :: v_dual_add_f32 v32, v1, v31
	v_mul_f32_e32 v1, v40, v43
	s_delay_alu instid0(VALU_DEP_2) | instskip(NEXT) | instid1(VALU_DEP_1)
	v_dual_add_f32 v34, v0, v2 :: v_dual_mul_f32 v0, v41, v43
	v_dual_fmac_f32 v1, v41, v42 :: v_dual_fma_f32 v0, v40, v42, -v0
	s_delay_alu instid0(VALU_DEP_1) | instskip(SKIP_1) | instid1(VALU_DEP_3)
	v_add_f32_e32 v30, v30, v1
	v_mul_f32_e32 v1, v40, v45
	v_dual_add_f32 v28, v28, v0 :: v_dual_mul_f32 v0, v41, v45
	s_delay_alu instid0(VALU_DEP_1) | instskip(NEXT) | instid1(VALU_DEP_1)
	v_dual_fmac_f32 v1, v41, v44 :: v_dual_fma_f32 v0, v40, v44, -v0
	v_dual_add_f32 v26, v26, v1 :: v_dual_add_f32 v24, v24, v0
	s_cbranch_scc0 .LBB74_15
.LBB74_9:                               ;   Parent Loop BB74_6 Depth=1
                                        ; =>  This Inner Loop Header: Depth=2
	v_dual_mov_b32 v1, 0 :: v_dual_add_nc_u32 v0, s18, v4
	s_delay_alu instid0(VALU_DEP_1) | instskip(SKIP_2) | instid1(SALU_CYCLE_1)
	v_cmp_gt_i32_e32 vcc_lo, s23, v0
	v_mov_b32_e32 v0, 0
	s_and_b32 s29, s0, vcc_lo
	s_and_saveexec_b32 s19, s29
	s_cbranch_execz .LBB74_11
; %bb.10:                               ;   in Loop: Header=BB74_9 Depth=2
	global_load_b64 v[0:1], v[20:21], off
.LBB74_11:                              ;   in Loop: Header=BB74_9 Depth=2
	s_wait_xcnt 0x0
	s_or_b32 exec_lo, exec_lo, s19
	v_add_nc_u32_e32 v2, s18, v6
	s_wait_loadcnt 0x0
	ds_store_b64 v25, v[0:1]
	v_cmp_le_i32_e32 vcc_lo, s23, v2
	s_or_b32 s19, vcc_lo, s28
	s_delay_alu instid0(SALU_CYCLE_1) | instskip(NEXT) | instid1(SALU_CYCLE_1)
	s_and_saveexec_b32 s29, s19
	s_xor_b32 s19, exec_lo, s29
; %bb.12:                               ;   in Loop: Header=BB74_9 Depth=2
	ds_store_b32 v7, v5
; %bb.13:                               ;   in Loop: Header=BB74_9 Depth=2
	s_or_saveexec_b32 s19, s19
	v_mov_b32_e32 v0, 0
	s_xor_b32 exec_lo, exec_lo, s19
	s_cbranch_execz .LBB74_8
; %bb.14:                               ;   in Loop: Header=BB74_9 Depth=2
	global_load_b64 v[2:3], v[22:23], off offset:-4
	s_wait_loadcnt 0x0
	v_xor_b32_e32 v0, 0x80000000, v3
	ds_store_b32 v7, v2
	s_branch .LBB74_8
.LBB74_15:                              ;   in Loop: Header=BB74_6 Depth=1
	s_mul_u64 s[18:19], s[26:27], s[24:25]
	s_delay_alu instid0(SALU_CYCLE_1) | instskip(NEXT) | instid1(SALU_CYCLE_1)
	s_lshl_b64 s[18:19], s[18:19], 3
	s_add_nc_u64 s[18:19], s[16:17], s[18:19]
	s_delay_alu instid0(SALU_CYCLE_1)
	v_lshl_add_u64 v[0:1], v[12:13], 3, s[18:19]
	s_and_saveexec_b32 s29, s35
	s_cbranch_execz .LBB74_20
; %bb.16:                               ;   in Loop: Header=BB74_6 Depth=1
	v_mov_b64_e32 v[2:3], s[4:5]
	v_mov_b64_e32 v[20:21], s[10:11]
	s_and_b32 vcc_lo, exec_lo, s34
	s_mov_b32 s31, -1
	s_delay_alu instid0(VALU_DEP_2) | instskip(NEXT) | instid1(VALU_DEP_1)
	v_pk_mul_f32 v[2:3], v[38:39], v[2:3] op_sel_hi:[0,1]
	v_pk_fma_f32 v[22:23], v[36:37], v[20:21], v[2:3] op_sel_hi:[0,1,1]
	v_pk_fma_f32 v[2:3], v[36:37], v[20:21], v[2:3] neg_lo:[0,0,1] neg_hi:[0,0,1]
	v_lshl_add_u64 v[20:21], v[8:9], 3, v[0:1]
	s_delay_alu instid0(VALU_DEP_3)
	v_mov_b32_e32 v3, v23
	s_cbranch_vccz .LBB74_18
; %bb.17:                               ;   in Loop: Header=BB74_6 Depth=1
	global_load_b64 v[22:23], v[20:21], off
	v_mov_b64_e32 v[36:37], s[20:21]
	v_mov_b64_e32 v[38:39], s[2:3]
	s_mov_b32 s31, 0
	s_wait_loadcnt 0x0
	s_delay_alu instid0(VALU_DEP_2) | instskip(NEXT) | instid1(VALU_DEP_1)
	v_pk_mul_f32 v[36:37], v[22:23], v[36:37]
	v_pk_fma_f32 v[40:41], v[22:23], v[38:39], v[36:37] op_sel:[0,0,1] op_sel_hi:[1,1,0]
	v_pk_fma_f32 v[22:23], v[22:23], v[38:39], v[36:37] op_sel:[0,0,1] op_sel_hi:[1,1,0] neg_lo:[0,0,1] neg_hi:[0,0,1]
	s_delay_alu instid0(VALU_DEP_2) | instskip(NEXT) | instid1(VALU_DEP_1)
	v_mov_b32_e32 v23, v41
	v_pk_add_f32 v[22:23], v[2:3], v[22:23]
	global_store_b64 v[20:21], v[22:23], off
.LBB74_18:                              ;   in Loop: Header=BB74_6 Depth=1
	s_and_not1_b32 vcc_lo, exec_lo, s31
	s_cbranch_vccnz .LBB74_20
; %bb.19:                               ;   in Loop: Header=BB74_6 Depth=1
	global_store_b64 v[20:21], v[2:3], off
.LBB74_20:                              ;   in Loop: Header=BB74_6 Depth=1
	s_wait_xcnt 0x0
	s_or_b32 exec_lo, exec_lo, s29
	s_and_saveexec_b32 s29, s22
	s_cbranch_execz .LBB74_25
; %bb.21:                               ;   in Loop: Header=BB74_6 Depth=1
	v_mov_b64_e32 v[2:3], s[4:5]
	v_mov_b64_e32 v[20:21], s[10:11]
	v_lshl_add_u64 v[0:1], v[10:11], 3, v[0:1]
	s_and_not1_b32 vcc_lo, exec_lo, s34
	s_mov_b32 s31, -1
	s_delay_alu instid0(VALU_DEP_3) | instskip(NEXT) | instid1(VALU_DEP_1)
	v_pk_mul_f32 v[2:3], v[34:35], v[2:3] op_sel_hi:[0,1]
	v_pk_fma_f32 v[22:23], v[32:33], v[20:21], v[2:3] op_sel_hi:[0,1,1]
	v_pk_fma_f32 v[2:3], v[32:33], v[20:21], v[2:3] neg_lo:[0,0,1] neg_hi:[0,0,1]
	s_delay_alu instid0(VALU_DEP_2)
	v_mov_b32_e32 v3, v23
	s_cbranch_vccnz .LBB74_23
; %bb.22:                               ;   in Loop: Header=BB74_6 Depth=1
	global_load_b64 v[20:21], v[0:1], off
	v_mov_b64_e32 v[22:23], s[20:21]
	v_mov_b64_e32 v[32:33], s[2:3]
	s_mov_b32 s31, 0
	s_wait_loadcnt 0x0
	s_delay_alu instid0(VALU_DEP_2) | instskip(NEXT) | instid1(VALU_DEP_1)
	v_pk_mul_f32 v[22:23], v[20:21], v[22:23]
	v_pk_fma_f32 v[34:35], v[20:21], v[32:33], v[22:23] op_sel:[0,0,1] op_sel_hi:[1,1,0]
	v_pk_fma_f32 v[20:21], v[20:21], v[32:33], v[22:23] op_sel:[0,0,1] op_sel_hi:[1,1,0] neg_lo:[0,0,1] neg_hi:[0,0,1]
	s_delay_alu instid0(VALU_DEP_2) | instskip(NEXT) | instid1(VALU_DEP_1)
	v_mov_b32_e32 v21, v35
	v_pk_add_f32 v[20:21], v[2:3], v[20:21]
	global_store_b64 v[0:1], v[20:21], off
.LBB74_23:                              ;   in Loop: Header=BB74_6 Depth=1
	s_and_not1_b32 vcc_lo, exec_lo, s31
	s_cbranch_vccnz .LBB74_25
; %bb.24:                               ;   in Loop: Header=BB74_6 Depth=1
	global_store_b64 v[0:1], v[2:3], off
.LBB74_25:                              ;   in Loop: Header=BB74_6 Depth=1
	s_wait_xcnt 0x0
	s_or_b32 exec_lo, exec_lo, s29
	v_lshl_add_u64 v[0:1], v[14:15], 3, s[18:19]
	s_and_saveexec_b32 s18, s36
	s_cbranch_execz .LBB74_30
; %bb.26:                               ;   in Loop: Header=BB74_6 Depth=1
	v_mov_b64_e32 v[2:3], s[4:5]
	v_mov_b64_e32 v[20:21], s[10:11]
	s_and_not1_b32 vcc_lo, exec_lo, s34
	s_mov_b32 s19, -1
	s_delay_alu instid0(VALU_DEP_2) | instskip(NEXT) | instid1(VALU_DEP_1)
	v_pk_mul_f32 v[2:3], v[30:31], v[2:3] op_sel_hi:[0,1]
	v_pk_fma_f32 v[22:23], v[28:29], v[20:21], v[2:3] op_sel_hi:[0,1,1]
	v_pk_fma_f32 v[2:3], v[28:29], v[20:21], v[2:3] neg_lo:[0,0,1] neg_hi:[0,0,1]
	v_lshl_add_u64 v[20:21], v[8:9], 3, v[0:1]
	s_delay_alu instid0(VALU_DEP_3)
	v_mov_b32_e32 v3, v23
	s_cbranch_vccnz .LBB74_28
; %bb.27:                               ;   in Loop: Header=BB74_6 Depth=1
	global_load_b64 v[22:23], v[20:21], off
	v_mov_b64_e32 v[30:31], s[20:21]
	v_mov_b64_e32 v[32:33], s[2:3]
	s_mov_b32 s19, 0
	s_wait_loadcnt 0x0
	s_delay_alu instid0(VALU_DEP_2) | instskip(NEXT) | instid1(VALU_DEP_1)
	v_pk_mul_f32 v[30:31], v[22:23], v[30:31]
	v_pk_fma_f32 v[34:35], v[22:23], v[32:33], v[30:31] op_sel:[0,0,1] op_sel_hi:[1,1,0]
	v_pk_fma_f32 v[22:23], v[22:23], v[32:33], v[30:31] op_sel:[0,0,1] op_sel_hi:[1,1,0] neg_lo:[0,0,1] neg_hi:[0,0,1]
	s_delay_alu instid0(VALU_DEP_2) | instskip(NEXT) | instid1(VALU_DEP_1)
	v_mov_b32_e32 v23, v35
	v_pk_add_f32 v[22:23], v[2:3], v[22:23]
	global_store_b64 v[20:21], v[22:23], off
.LBB74_28:                              ;   in Loop: Header=BB74_6 Depth=1
	s_and_not1_b32 vcc_lo, exec_lo, s19
	s_cbranch_vccnz .LBB74_30
; %bb.29:                               ;   in Loop: Header=BB74_6 Depth=1
	global_store_b64 v[20:21], v[2:3], off
.LBB74_30:                              ;   in Loop: Header=BB74_6 Depth=1
	s_wait_xcnt 0x0
	s_or_b32 exec_lo, exec_lo, s18
	s_and_saveexec_b32 s18, s1
	s_cbranch_execz .LBB74_5
; %bb.31:                               ;   in Loop: Header=BB74_6 Depth=1
	v_mov_b64_e32 v[2:3], s[4:5]
	v_mov_b64_e32 v[20:21], s[10:11]
	v_lshl_add_u64 v[0:1], v[10:11], 3, v[0:1]
	s_and_not1_b32 vcc_lo, exec_lo, s34
	s_mov_b32 s19, -1
	s_delay_alu instid0(VALU_DEP_3) | instskip(NEXT) | instid1(VALU_DEP_1)
	v_pk_mul_f32 v[2:3], v[26:27], v[2:3] op_sel_hi:[0,1]
	v_pk_fma_f32 v[22:23], v[24:25], v[20:21], v[2:3] op_sel_hi:[0,1,1]
	v_pk_fma_f32 v[2:3], v[24:25], v[20:21], v[2:3] neg_lo:[0,0,1] neg_hi:[0,0,1]
	s_delay_alu instid0(VALU_DEP_2)
	v_mov_b32_e32 v3, v23
	s_cbranch_vccnz .LBB74_33
; %bb.32:                               ;   in Loop: Header=BB74_6 Depth=1
	global_load_b64 v[20:21], v[0:1], off
	v_mov_b64_e32 v[22:23], s[20:21]
	v_mov_b64_e32 v[30:31], s[2:3]
	s_mov_b32 s19, 0
	s_wait_loadcnt 0x0
	s_delay_alu instid0(VALU_DEP_2) | instskip(NEXT) | instid1(VALU_DEP_1)
	v_pk_mul_f32 v[22:23], v[20:21], v[22:23]
	v_pk_fma_f32 v[32:33], v[20:21], v[30:31], v[22:23] op_sel:[0,0,1] op_sel_hi:[1,1,0]
	v_pk_fma_f32 v[20:21], v[20:21], v[30:31], v[22:23] op_sel:[0,0,1] op_sel_hi:[1,1,0] neg_lo:[0,0,1] neg_hi:[0,0,1]
	s_delay_alu instid0(VALU_DEP_2) | instskip(NEXT) | instid1(VALU_DEP_1)
	v_mov_b32_e32 v21, v33
	v_pk_add_f32 v[20:21], v[2:3], v[20:21]
	global_store_b64 v[0:1], v[20:21], off
.LBB74_33:                              ;   in Loop: Header=BB74_6 Depth=1
	s_and_not1_b32 vcc_lo, exec_lo, s19
	s_cbranch_vccnz .LBB74_5
; %bb.34:                               ;   in Loop: Header=BB74_6 Depth=1
	global_store_b64 v[0:1], v[2:3], off
	s_branch .LBB74_5
.LBB74_35:
	s_endpgm
	.section	.rodata,"a",@progbits
	.p2align	6, 0x0
	.amdhsa_kernel _ZL29rocblas_internal_gemmt_kernelIiLi16ELi32ELi8ELc78ELc67ELc85ELb0ELb1E19rocblas_complex_numIfEPKS1_S3_PS1_EviT_T9_T10_S5_lS7_S5_lS6_T11_S5_li
		.amdhsa_group_segment_fixed_size 4096
		.amdhsa_private_segment_fixed_size 0
		.amdhsa_kernarg_size 100
		.amdhsa_user_sgpr_count 2
		.amdhsa_user_sgpr_dispatch_ptr 0
		.amdhsa_user_sgpr_queue_ptr 0
		.amdhsa_user_sgpr_kernarg_segment_ptr 1
		.amdhsa_user_sgpr_dispatch_id 0
		.amdhsa_user_sgpr_kernarg_preload_length 0
		.amdhsa_user_sgpr_kernarg_preload_offset 0
		.amdhsa_user_sgpr_private_segment_size 0
		.amdhsa_wavefront_size32 1
		.amdhsa_uses_dynamic_stack 0
		.amdhsa_enable_private_segment 0
		.amdhsa_system_sgpr_workgroup_id_x 1
		.amdhsa_system_sgpr_workgroup_id_y 1
		.amdhsa_system_sgpr_workgroup_id_z 1
		.amdhsa_system_sgpr_workgroup_info 0
		.amdhsa_system_vgpr_workitem_id 1
		.amdhsa_next_free_vgpr 56
		.amdhsa_next_free_sgpr 37
		.amdhsa_named_barrier_count 0
		.amdhsa_reserve_vcc 1
		.amdhsa_float_round_mode_32 0
		.amdhsa_float_round_mode_16_64 0
		.amdhsa_float_denorm_mode_32 3
		.amdhsa_float_denorm_mode_16_64 3
		.amdhsa_fp16_overflow 0
		.amdhsa_memory_ordered 1
		.amdhsa_forward_progress 1
		.amdhsa_inst_pref_size 26
		.amdhsa_round_robin_scheduling 0
		.amdhsa_exception_fp_ieee_invalid_op 0
		.amdhsa_exception_fp_denorm_src 0
		.amdhsa_exception_fp_ieee_div_zero 0
		.amdhsa_exception_fp_ieee_overflow 0
		.amdhsa_exception_fp_ieee_underflow 0
		.amdhsa_exception_fp_ieee_inexact 0
		.amdhsa_exception_int_div_zero 0
	.end_amdhsa_kernel
	.section	.text._ZL29rocblas_internal_gemmt_kernelIiLi16ELi32ELi8ELc78ELc67ELc85ELb0ELb1E19rocblas_complex_numIfEPKS1_S3_PS1_EviT_T9_T10_S5_lS7_S5_lS6_T11_S5_li,"axG",@progbits,_ZL29rocblas_internal_gemmt_kernelIiLi16ELi32ELi8ELc78ELc67ELc85ELb0ELb1E19rocblas_complex_numIfEPKS1_S3_PS1_EviT_T9_T10_S5_lS7_S5_lS6_T11_S5_li,comdat
.Lfunc_end74:
	.size	_ZL29rocblas_internal_gemmt_kernelIiLi16ELi32ELi8ELc78ELc67ELc85ELb0ELb1E19rocblas_complex_numIfEPKS1_S3_PS1_EviT_T9_T10_S5_lS7_S5_lS6_T11_S5_li, .Lfunc_end74-_ZL29rocblas_internal_gemmt_kernelIiLi16ELi32ELi8ELc78ELc67ELc85ELb0ELb1E19rocblas_complex_numIfEPKS1_S3_PS1_EviT_T9_T10_S5_lS7_S5_lS6_T11_S5_li
                                        ; -- End function
	.set _ZL29rocblas_internal_gemmt_kernelIiLi16ELi32ELi8ELc78ELc67ELc85ELb0ELb1E19rocblas_complex_numIfEPKS1_S3_PS1_EviT_T9_T10_S5_lS7_S5_lS6_T11_S5_li.num_vgpr, 56
	.set _ZL29rocblas_internal_gemmt_kernelIiLi16ELi32ELi8ELc78ELc67ELc85ELb0ELb1E19rocblas_complex_numIfEPKS1_S3_PS1_EviT_T9_T10_S5_lS7_S5_lS6_T11_S5_li.num_agpr, 0
	.set _ZL29rocblas_internal_gemmt_kernelIiLi16ELi32ELi8ELc78ELc67ELc85ELb0ELb1E19rocblas_complex_numIfEPKS1_S3_PS1_EviT_T9_T10_S5_lS7_S5_lS6_T11_S5_li.numbered_sgpr, 37
	.set _ZL29rocblas_internal_gemmt_kernelIiLi16ELi32ELi8ELc78ELc67ELc85ELb0ELb1E19rocblas_complex_numIfEPKS1_S3_PS1_EviT_T9_T10_S5_lS7_S5_lS6_T11_S5_li.num_named_barrier, 0
	.set _ZL29rocblas_internal_gemmt_kernelIiLi16ELi32ELi8ELc78ELc67ELc85ELb0ELb1E19rocblas_complex_numIfEPKS1_S3_PS1_EviT_T9_T10_S5_lS7_S5_lS6_T11_S5_li.private_seg_size, 0
	.set _ZL29rocblas_internal_gemmt_kernelIiLi16ELi32ELi8ELc78ELc67ELc85ELb0ELb1E19rocblas_complex_numIfEPKS1_S3_PS1_EviT_T9_T10_S5_lS7_S5_lS6_T11_S5_li.uses_vcc, 1
	.set _ZL29rocblas_internal_gemmt_kernelIiLi16ELi32ELi8ELc78ELc67ELc85ELb0ELb1E19rocblas_complex_numIfEPKS1_S3_PS1_EviT_T9_T10_S5_lS7_S5_lS6_T11_S5_li.uses_flat_scratch, 0
	.set _ZL29rocblas_internal_gemmt_kernelIiLi16ELi32ELi8ELc78ELc67ELc85ELb0ELb1E19rocblas_complex_numIfEPKS1_S3_PS1_EviT_T9_T10_S5_lS7_S5_lS6_T11_S5_li.has_dyn_sized_stack, 0
	.set _ZL29rocblas_internal_gemmt_kernelIiLi16ELi32ELi8ELc78ELc67ELc85ELb0ELb1E19rocblas_complex_numIfEPKS1_S3_PS1_EviT_T9_T10_S5_lS7_S5_lS6_T11_S5_li.has_recursion, 0
	.set _ZL29rocblas_internal_gemmt_kernelIiLi16ELi32ELi8ELc78ELc67ELc85ELb0ELb1E19rocblas_complex_numIfEPKS1_S3_PS1_EviT_T9_T10_S5_lS7_S5_lS6_T11_S5_li.has_indirect_call, 0
	.section	.AMDGPU.csdata,"",@progbits
; Kernel info:
; codeLenInByte = 3264
; TotalNumSgprs: 39
; NumVgprs: 56
; ScratchSize: 0
; MemoryBound: 0
; FloatMode: 240
; IeeeMode: 1
; LDSByteSize: 4096 bytes/workgroup (compile time only)
; SGPRBlocks: 0
; VGPRBlocks: 3
; NumSGPRsForWavesPerEU: 39
; NumVGPRsForWavesPerEU: 56
; NamedBarCnt: 0
; Occupancy: 16
; WaveLimiterHint : 0
; COMPUTE_PGM_RSRC2:SCRATCH_EN: 0
; COMPUTE_PGM_RSRC2:USER_SGPR: 2
; COMPUTE_PGM_RSRC2:TRAP_HANDLER: 0
; COMPUTE_PGM_RSRC2:TGID_X_EN: 1
; COMPUTE_PGM_RSRC2:TGID_Y_EN: 1
; COMPUTE_PGM_RSRC2:TGID_Z_EN: 1
; COMPUTE_PGM_RSRC2:TIDIG_COMP_CNT: 1
	.section	.text._ZL29rocblas_internal_gemmt_kernelIiLi16ELi32ELi8ELc84ELc78ELc85ELb0ELb0E19rocblas_complex_numIfEPKS1_S3_PS1_EviT_T9_T10_S5_lS7_S5_lS6_T11_S5_li,"axG",@progbits,_ZL29rocblas_internal_gemmt_kernelIiLi16ELi32ELi8ELc84ELc78ELc85ELb0ELb0E19rocblas_complex_numIfEPKS1_S3_PS1_EviT_T9_T10_S5_lS7_S5_lS6_T11_S5_li,comdat
	.globl	_ZL29rocblas_internal_gemmt_kernelIiLi16ELi32ELi8ELc84ELc78ELc85ELb0ELb0E19rocblas_complex_numIfEPKS1_S3_PS1_EviT_T9_T10_S5_lS7_S5_lS6_T11_S5_li ; -- Begin function _ZL29rocblas_internal_gemmt_kernelIiLi16ELi32ELi8ELc84ELc78ELc85ELb0ELb0E19rocblas_complex_numIfEPKS1_S3_PS1_EviT_T9_T10_S5_lS7_S5_lS6_T11_S5_li
	.p2align	8
	.type	_ZL29rocblas_internal_gemmt_kernelIiLi16ELi32ELi8ELc84ELc78ELc85ELb0ELb0E19rocblas_complex_numIfEPKS1_S3_PS1_EviT_T9_T10_S5_lS7_S5_lS6_T11_S5_li,@function
_ZL29rocblas_internal_gemmt_kernelIiLi16ELi32ELi8ELc84ELc78ELc85ELb0ELb0E19rocblas_complex_numIfEPKS1_S3_PS1_EviT_T9_T10_S5_lS7_S5_lS6_T11_S5_li: ; @_ZL29rocblas_internal_gemmt_kernelIiLi16ELi32ELi8ELc84ELc78ELc85ELb0ELb0E19rocblas_complex_numIfEPKS1_S3_PS1_EviT_T9_T10_S5_lS7_S5_lS6_T11_S5_li
; %bb.0:
	s_load_b128 s[4:7], s[0:1], 0x38
	s_wait_kmcnt 0x0
	s_load_b64 s[20:21], s[6:7], 0x0
	s_clause 0x1
	s_load_b128 s[8:11], s[0:1], 0x8
	s_load_b64 s[22:23], s[0:1], 0x0
	s_wait_kmcnt 0x0
	s_cmp_neq_f32 s20, 1.0
	s_load_b64 s[6:7], s[8:9], 0x0
	s_cselect_b32 s2, -1, 0
	s_and_b32 s3, s21, 0x7fffffff
	s_delay_alu instid0(SALU_CYCLE_1) | instskip(SKIP_3) | instid1(SALU_CYCLE_1)
	s_cmp_eq_u32 s3, 0
	s_cselect_b32 s29, -1, 0
	s_cmp_lg_u32 s3, 0
	s_cselect_b32 s3, -1, 0
	s_or_b32 s2, s2, s3
	s_delay_alu instid0(SALU_CYCLE_1)
	s_and_b32 vcc_lo, exec_lo, s2
	s_cbranch_vccnz .LBB75_2
; %bb.1:
	s_cmp_lg_u32 s23, 0
	s_cselect_b32 s2, -1, 0
	s_wait_kmcnt 0x0
	s_cmp_neq_f32 s6, 0
	s_cselect_b32 s3, -1, 0
	s_cmp_neq_f32 s7, 0
	s_cselect_b32 s8, -1, 0
	s_delay_alu instid0(SALU_CYCLE_1) | instskip(NEXT) | instid1(SALU_CYCLE_1)
	s_or_b32 s3, s3, s8
	s_and_b32 s2, s2, s3
.LBB75_2:
	s_delay_alu instid0(SALU_CYCLE_1)
	s_and_not1_b32 vcc_lo, exec_lo, s2
	s_cbranch_vccnz .LBB75_33
; %bb.3:
	s_load_b32 s28, s[0:1], 0x60
	s_bfe_u32 s2, ttmp6, 0x40014
	s_lshr_b32 s3, ttmp7, 16
	s_add_co_i32 s2, s2, 1
	s_wait_xcnt 0x0
	s_bfe_u32 s8, ttmp6, 0x40008
	s_mul_i32 s2, s3, s2
	s_getreg_b32 s30, hwreg(HW_REG_IB_STS2, 6, 4)
	s_add_co_i32 s8, s8, s2
	s_cmp_eq_u32 s30, 0
	s_mov_b32 s9, 0
	s_cselect_b32 s8, s3, s8
	s_wait_kmcnt 0x0
	s_cmp_ge_u32 s8, s28
	s_cbranch_scc1 .LBB75_33
; %bb.4:
	s_clause 0x3
	s_load_b32 s26, s[0:1], 0x18
	s_load_b32 s2, s[0:1], 0x30
	s_load_b96 s[16:18], s[0:1], 0x48
	s_load_b128 s[12:15], s[0:1], 0x20
	v_and_b32_e32 v4, 0x3ff, v0
	v_bfe_u32 v5, v0, 10, 10
	s_load_b64 s[24:25], s[0:1], 0x58
	s_wait_xcnt 0x0
	s_bfe_u32 s1, ttmp6, 0x4000c
	s_bfe_u32 s3, ttmp6, 0x40010
	s_and_b32 s31, ttmp7, 0xffff
	s_add_co_i32 s1, s1, 1
	s_add_co_i32 s3, s3, 1
	v_lshl_add_u32 v1, v5, 4, v4
	s_and_b32 s0, ttmp6, 15
	s_bfe_u32 s19, ttmp6, 0x40004
	s_mul_i32 s1, ttmp9, s1
	s_mul_i32 s3, s31, s3
	s_add_co_i32 s0, s0, s1
	s_add_co_i32 s1, s19, s3
	v_dual_lshrrev_b32 v21, 5, v1 :: v_dual_bitop2_b32 v2, 31, v1 bitop3:0x40
	s_wait_kmcnt 0x0
	s_ashr_i32 s27, s26, 31
	s_ashr_i32 s3, s2, 31
	;; [unrolled: 1-line block ×3, first 2 shown]
	s_cmp_eq_u32 s30, 0
	v_dual_lshrrev_b32 v6, 3, v1 :: v_dual_bitop2_b32 v23, 7, v0 bitop3:0x40
	s_cselect_b32 s0, ttmp9, s0
	s_cselect_b32 s1, s31, s1
	s_lshl_b32 s30, s0, 5
	s_lshl_b32 s1, s1, 5
	s_cmp_neq_f32 s6, 0
	v_dual_lshlrev_b32 v1, 3, v2 :: v_dual_bitop2_b32 v0, s30, v2 bitop3:0x54
	v_dual_add_nc_u32 v2, s1, v6 :: v_dual_lshlrev_b32 v12, 3, v23
	s_cselect_b32 s0, -1, 0
	s_cmp_neq_f32 s7, 0
	s_delay_alu instid0(VALU_DEP_2) | instskip(NEXT) | instid1(VALU_DEP_2)
	v_lshl_or_b32 v25, v21, 8, v1
	v_dual_ashrrev_i32 v1, 31, v0 :: v_dual_ashrrev_i32 v3, 31, v2
	v_dual_add_nc_u32 v14, s1, v5 :: v_dual_lshlrev_b32 v29, 3, v4
	s_cselect_b32 s31, -1, 0
	v_cmp_gt_i32_e64 s1, s22, v2
	s_or_b32 s31, s0, s31
	v_cmp_gt_i32_e64 s0, s22, v0
	v_mul_u64_e32 v[0:1], s[26:27], v[0:1]
	v_mul_u64_e32 v[2:3], s[2:3], v[2:3]
	v_dual_add_nc_u32 v16, 16, v14 :: v_dual_add_nc_u32 v4, s30, v4
	v_ashrrev_i32_e32 v15, 31, v14
	v_lshl_or_b32 v6, v6, 6, v12
	v_lshl_add_u32 v31, v5, 6, 0x800
	s_delay_alu instid0(VALU_DEP_4)
	v_ashrrev_i32_e32 v17, 31, v16
	v_ashrrev_i32_e32 v5, 31, v4
	v_mul_u64_e32 v[8:9], s[18:19], v[14:15]
	v_add_nc_u32_e32 v27, 0x800, v6
	v_add_nc_u32_e32 v6, 16, v4
	v_mul_u64_e32 v[10:11], s[18:19], v[16:17]
	v_mov_b32_e32 v15, 0
	v_cmp_gt_i32_e32 vcc_lo, s22, v14
	v_cmp_le_i32_e64 s2, v4, v14
	v_cmp_le_i32_e64 s3, v6, v14
	v_dual_ashrrev_i32 v7, 31, v6 :: v_dual_lshlrev_b32 v14, 3, v21
	v_mov_b32_e32 v13, v15
	s_cmp_gt_i32 s23, 0
	s_mov_b32 s19, s6
	s_cselect_b32 s33, -1, 0
	s_cmp_neq_f32 s20, 0
	s_cselect_b32 s26, -1, 0
	s_xor_b32 s18, s29, -1
	s_and_b32 s27, vcc_lo, s2
	s_and_b32 s29, vcc_lo, s3
	v_cmp_gt_i32_e32 vcc_lo, s22, v16
	v_lshl_add_u64 v[0:1], v[0:1], 3, v[14:15]
	v_lshl_add_u64 v[2:3], v[2:3], 3, v[12:13]
	v_cmp_le_i32_e64 s2, v4, v16
	v_cmp_le_i32_e64 s3, v6, v16
	s_or_b32 s26, s26, s18
	v_add_nc_u64_e32 v[12:13], s[10:11], v[0:1]
	v_add_nc_u64_e32 v[14:15], s[14:15], v[2:3]
	s_and_b32 s22, vcc_lo, s2
	s_and_b32 s30, vcc_lo, s3
	s_mov_b32 s2, s20
	s_mov_b32 s3, s20
	;; [unrolled: 1-line block ×4, first 2 shown]
	s_and_b32 s14, s31, s33
	s_lshl_b64 s[10:11], s[12:13], 3
	s_lshl_b64 s[4:5], s[4:5], 3
	s_branch .LBB75_6
.LBB75_5:                               ;   in Loop: Header=BB75_6 Depth=1
	s_wait_xcnt 0x0
	s_or_b32 exec_lo, exec_lo, s12
	s_add_co_i32 s8, s8, 0x10000
	s_delay_alu instid0(SALU_CYCLE_1)
	s_cmp_lt_u32 s8, s28
	s_cbranch_scc0 .LBB75_33
.LBB75_6:                               ; =>This Loop Header: Depth=1
                                        ;     Child Loop BB75_9 Depth 2
	v_dual_mov_b32 v32, 0 :: v_dual_mov_b32 v34, 0
	v_dual_mov_b32 v28, 0 :: v_dual_mov_b32 v30, 0
	;; [unrolled: 1-line block ×4, first 2 shown]
	s_and_not1_b32 vcc_lo, exec_lo, s14
	s_cbranch_vccnz .LBB75_13
; %bb.7:                                ;   in Loop: Header=BB75_6 Depth=1
	v_mad_nc_u64_u32 v[16:17], s10, s8, v[12:13]
	v_mad_nc_u64_u32 v[18:19], s4, s8, v[14:15]
	v_dual_mov_b32 v22, 0 :: v_dual_mov_b32 v20, 0
	v_dual_mov_b32 v26, 0 :: v_dual_mov_b32 v24, 0
	;; [unrolled: 1-line block ×4, first 2 shown]
	s_mov_b32 s12, 0
	v_mad_u32 v17, s11, s8, v17
	v_mad_u32 v19, s5, s8, v19
	s_branch .LBB75_9
.LBB75_8:                               ;   in Loop: Header=BB75_9 Depth=2
	s_wait_xcnt 0x0
	s_or_b32 exec_lo, exec_lo, s13
	s_wait_loadcnt 0x0
	ds_store_b64 v27, v[2:3]
	s_wait_dscnt 0x0
	s_barrier_signal -1
	s_barrier_wait -1
	ds_load_b128 v[36:39], v31
	ds_load_b128 v[40:43], v31 offset:16
	ds_load_b128 v[44:47], v31 offset:32
	;; [unrolled: 1-line block ×3, first 2 shown]
	ds_load_2addr_b64 v[48:51], v29 offset1:16
	v_add_nc_u64_e32 v[16:17], 64, v[16:17]
	v_add_nc_u64_e32 v[18:19], 64, v[18:19]
	s_add_co_i32 s12, s12, 8
	s_delay_alu instid0(SALU_CYCLE_1) | instskip(SKIP_2) | instid1(VALU_DEP_1)
	s_cmp_lt_i32 s12, s23
	s_wait_dscnt 0x0
	v_dual_mul_f32 v33, v37, v49 :: v_dual_mul_f32 v35, v36, v49
	v_dual_fma_f32 v33, v36, v48, -v33 :: v_dual_fmac_f32 v35, v37, v48
	s_delay_alu instid0(VALU_DEP_1) | instskip(SKIP_1) | instid1(VALU_DEP_1)
	v_dual_add_f32 v52, v32, v33 :: v_dual_add_f32 v53, v34, v35
	v_dual_mul_f32 v32, v37, v51 :: v_dual_mul_f32 v33, v36, v51
	v_dual_fma_f32 v32, v36, v50, -v32 :: v_dual_fmac_f32 v33, v37, v50
	s_delay_alu instid0(VALU_DEP_1) | instskip(SKIP_3) | instid1(VALU_DEP_1)
	v_dual_add_f32 v28, v28, v32 :: v_dual_add_f32 v30, v30, v33
	ds_load_b128 v[32:35], v31 offset:1024
	s_wait_dscnt 0x0
	v_dual_mul_f32 v36, v33, v49 :: v_dual_mul_f32 v37, v32, v49
	v_dual_fma_f32 v36, v32, v48, -v36 :: v_dual_fmac_f32 v37, v33, v48
	s_delay_alu instid0(VALU_DEP_1) | instskip(SKIP_1) | instid1(VALU_DEP_1)
	v_dual_add_f32 v24, v24, v36 :: v_dual_add_f32 v26, v26, v37
	v_mul_f32_e32 v36, v33, v51
	v_dual_fma_f32 v36, v32, v50, -v36 :: v_dual_mul_f32 v32, v32, v51
	s_delay_alu instid0(VALU_DEP_1) | instskip(SKIP_4) | instid1(VALU_DEP_1)
	v_fmac_f32_e32 v32, v33, v50
	ds_load_2addr_b64 v[48:51], v29 offset0:32 offset1:48
	v_add_f32_e32 v22, v22, v32
	s_wait_dscnt 0x0
	v_dual_add_f32 v20, v20, v36 :: v_dual_mul_f32 v32, v39, v49
	v_dual_mul_f32 v33, v38, v49 :: v_dual_fma_f32 v32, v38, v48, -v32
	s_delay_alu instid0(VALU_DEP_1) | instskip(NEXT) | instid1(VALU_DEP_1)
	v_fmac_f32_e32 v33, v39, v48
	v_dual_add_f32 v36, v52, v32 :: v_dual_add_f32 v37, v53, v33
	v_dual_mul_f32 v32, v39, v51 :: v_dual_mul_f32 v33, v38, v51
	s_delay_alu instid0(VALU_DEP_1) | instskip(NEXT) | instid1(VALU_DEP_1)
	v_dual_fma_f32 v32, v38, v50, -v32 :: v_dual_fmac_f32 v33, v39, v50
	v_dual_add_f32 v28, v28, v32 :: v_dual_add_f32 v30, v30, v33
	v_dual_mul_f32 v32, v35, v49 :: v_dual_mul_f32 v33, v34, v49
	s_delay_alu instid0(VALU_DEP_1) | instskip(NEXT) | instid1(VALU_DEP_1)
	v_dual_fma_f32 v32, v34, v48, -v32 :: v_dual_fmac_f32 v33, v35, v48
	v_dual_add_f32 v24, v24, v32 :: v_dual_add_f32 v26, v26, v33
	v_dual_mul_f32 v32, v35, v51 :: v_dual_mul_f32 v33, v34, v51
	s_delay_alu instid0(VALU_DEP_1) | instskip(NEXT) | instid1(VALU_DEP_1)
	v_dual_fma_f32 v32, v34, v50, -v32 :: v_dual_fmac_f32 v33, v35, v50
	v_dual_add_f32 v20, v20, v32 :: v_dual_add_f32 v22, v22, v33
	ds_load_2addr_b64 v[32:35], v29 offset0:64 offset1:80
	s_wait_dscnt 0x0
	v_dual_mul_f32 v38, v41, v33 :: v_dual_mul_f32 v39, v40, v33
	s_delay_alu instid0(VALU_DEP_1) | instskip(NEXT) | instid1(VALU_DEP_1)
	v_dual_fma_f32 v38, v40, v32, -v38 :: v_dual_fmac_f32 v39, v41, v32
	v_dual_add_f32 v48, v36, v38 :: v_dual_add_f32 v49, v37, v39
	v_dual_mul_f32 v36, v41, v35 :: v_dual_mul_f32 v37, v40, v35
	s_delay_alu instid0(VALU_DEP_1) | instskip(NEXT) | instid1(VALU_DEP_1)
	v_dual_fma_f32 v36, v40, v34, -v36 :: v_dual_fmac_f32 v37, v41, v34
	v_dual_add_f32 v28, v28, v36 :: v_dual_add_f32 v30, v30, v37
	ds_load_b128 v[36:39], v31 offset:1040
	s_wait_dscnt 0x0
	v_dual_mul_f32 v40, v37, v33 :: v_dual_mul_f32 v33, v36, v33
	s_delay_alu instid0(VALU_DEP_1) | instskip(NEXT) | instid1(VALU_DEP_1)
	v_dual_fma_f32 v40, v36, v32, -v40 :: v_dual_fmac_f32 v33, v37, v32
	v_dual_mul_f32 v32, v37, v35 :: v_dual_add_f32 v24, v24, v40
	s_delay_alu instid0(VALU_DEP_2) | instskip(NEXT) | instid1(VALU_DEP_1)
	v_dual_add_f32 v26, v26, v33 :: v_dual_mul_f32 v33, v36, v35
	v_dual_fma_f32 v32, v36, v34, -v32 :: v_dual_fmac_f32 v33, v37, v34
	s_delay_alu instid0(VALU_DEP_1) | instskip(SKIP_4) | instid1(VALU_DEP_2)
	v_dual_add_f32 v20, v20, v32 :: v_dual_add_f32 v22, v22, v33
	ds_load_2addr_b64 v[32:35], v29 offset0:96 offset1:112
	s_wait_dscnt 0x0
	v_dual_mul_f32 v40, v43, v35 :: v_dual_mul_f32 v41, v42, v35
	v_dual_mul_f32 v36, v43, v33 :: v_dual_mul_f32 v37, v42, v33
	v_dual_fma_f32 v40, v42, v34, -v40 :: v_dual_fmac_f32 v41, v43, v34
	s_delay_alu instid0(VALU_DEP_2) | instskip(NEXT) | instid1(VALU_DEP_2)
	v_dual_fma_f32 v36, v42, v32, -v36 :: v_dual_fmac_f32 v37, v43, v32
	v_dual_add_f32 v28, v28, v40 :: v_dual_add_f32 v30, v30, v41
	v_dual_mul_f32 v40, v39, v33 :: v_dual_mul_f32 v33, v38, v33
	s_delay_alu instid0(VALU_DEP_3) | instskip(NEXT) | instid1(VALU_DEP_2)
	v_dual_add_f32 v36, v48, v36 :: v_dual_add_f32 v37, v49, v37
	v_dual_fma_f32 v40, v38, v32, -v40 :: v_dual_fmac_f32 v33, v39, v32
	s_delay_alu instid0(VALU_DEP_1) | instskip(NEXT) | instid1(VALU_DEP_2)
	v_dual_mul_f32 v32, v39, v35 :: v_dual_add_f32 v24, v24, v40
	v_add_f32_e32 v26, v26, v33
	s_delay_alu instid0(VALU_DEP_2) | instskip(NEXT) | instid1(VALU_DEP_1)
	v_dual_mul_f32 v33, v38, v35 :: v_dual_fma_f32 v32, v38, v34, -v32
	v_dual_fmac_f32 v33, v39, v34 :: v_dual_add_f32 v20, v20, v32
	s_delay_alu instid0(VALU_DEP_1) | instskip(SKIP_3) | instid1(VALU_DEP_1)
	v_add_f32_e32 v22, v22, v33
	ds_load_2addr_b64 v[32:35], v29 offset0:128 offset1:144
	s_wait_dscnt 0x0
	v_dual_mul_f32 v38, v45, v33 :: v_dual_mul_f32 v39, v44, v33
	v_dual_fma_f32 v38, v44, v32, -v38 :: v_dual_fmac_f32 v39, v45, v32
	s_delay_alu instid0(VALU_DEP_1) | instskip(SKIP_1) | instid1(VALU_DEP_1)
	v_dual_add_f32 v40, v36, v38 :: v_dual_add_f32 v41, v37, v39
	v_dual_mul_f32 v36, v45, v35 :: v_dual_mul_f32 v37, v44, v35
	v_dual_fma_f32 v36, v44, v34, -v36 :: v_dual_fmac_f32 v37, v45, v34
	s_delay_alu instid0(VALU_DEP_1) | instskip(SKIP_3) | instid1(VALU_DEP_1)
	v_dual_add_f32 v28, v28, v36 :: v_dual_add_f32 v30, v30, v37
	ds_load_b128 v[36:39], v31 offset:1056
	s_wait_dscnt 0x0
	v_dual_mul_f32 v42, v37, v33 :: v_dual_mul_f32 v33, v36, v33
	v_dual_fma_f32 v42, v36, v32, -v42 :: v_dual_fmac_f32 v33, v37, v32
	s_delay_alu instid0(VALU_DEP_1) | instskip(NEXT) | instid1(VALU_DEP_2)
	v_dual_mul_f32 v32, v37, v35 :: v_dual_add_f32 v24, v24, v42
	v_dual_add_f32 v26, v26, v33 :: v_dual_mul_f32 v33, v36, v35
	s_delay_alu instid0(VALU_DEP_1) | instskip(NEXT) | instid1(VALU_DEP_1)
	v_dual_fma_f32 v32, v36, v34, -v32 :: v_dual_fmac_f32 v33, v37, v34
	v_dual_add_f32 v20, v20, v32 :: v_dual_add_f32 v22, v22, v33
	ds_load_2addr_b64 v[32:35], v29 offset0:160 offset1:176
	s_wait_dscnt 0x0
	v_dual_mul_f32 v36, v47, v33 :: v_dual_mul_f32 v37, v46, v33
	s_delay_alu instid0(VALU_DEP_1) | instskip(NEXT) | instid1(VALU_DEP_1)
	v_dual_fma_f32 v36, v46, v32, -v36 :: v_dual_fmac_f32 v37, v47, v32
	v_dual_add_f32 v36, v40, v36 :: v_dual_add_f32 v37, v41, v37
	v_dual_mul_f32 v40, v47, v35 :: v_dual_mul_f32 v41, v46, v35
	s_delay_alu instid0(VALU_DEP_1) | instskip(NEXT) | instid1(VALU_DEP_1)
	v_dual_fma_f32 v40, v46, v34, -v40 :: v_dual_fmac_f32 v41, v47, v34
	v_dual_add_f32 v28, v28, v40 :: v_dual_add_f32 v30, v30, v41
	v_dual_mul_f32 v40, v39, v33 :: v_dual_mul_f32 v33, v38, v33
	s_delay_alu instid0(VALU_DEP_1) | instskip(NEXT) | instid1(VALU_DEP_1)
	v_dual_fma_f32 v40, v38, v32, -v40 :: v_dual_fmac_f32 v33, v39, v32
	v_dual_mul_f32 v32, v39, v35 :: v_dual_add_f32 v24, v24, v40
	s_delay_alu instid0(VALU_DEP_2) | instskip(NEXT) | instid1(VALU_DEP_2)
	v_add_f32_e32 v26, v26, v33
	v_dual_mul_f32 v33, v38, v35 :: v_dual_fma_f32 v32, v38, v34, -v32
	ds_load_2addr_b64 v[40:43], v29 offset0:224 offset1:240
	v_dual_fmac_f32 v33, v39, v34 :: v_dual_add_f32 v20, v20, v32
	s_delay_alu instid0(VALU_DEP_1) | instskip(SKIP_3) | instid1(VALU_DEP_1)
	v_add_f32_e32 v22, v22, v33
	ds_load_2addr_b64 v[32:35], v29 offset0:192 offset1:208
	s_wait_dscnt 0x0
	v_dual_mul_f32 v38, v1, v33 :: v_dual_mul_f32 v39, v0, v33
	v_dual_fma_f32 v38, v0, v32, -v38 :: v_dual_fmac_f32 v39, v1, v32
	s_delay_alu instid0(VALU_DEP_1) | instskip(SKIP_1) | instid1(VALU_DEP_1)
	v_dual_add_f32 v44, v36, v38 :: v_dual_add_f32 v45, v37, v39
	v_mul_f32_e32 v36, v1, v35
	v_dual_fma_f32 v36, v0, v34, -v36 :: v_dual_mul_f32 v0, v0, v35
	s_delay_alu instid0(VALU_DEP_1) | instskip(NEXT) | instid1(VALU_DEP_1)
	v_fmac_f32_e32 v0, v1, v34
	v_add_f32_e32 v0, v30, v0
	s_delay_alu instid0(VALU_DEP_3)
	v_add_f32_e32 v1, v28, v36
	ds_load_b128 v[36:39], v31 offset:1072
	s_wait_dscnt 0x0
	s_barrier_signal -1
	s_barrier_wait -1
	v_dual_mul_f32 v28, v37, v33 :: v_dual_mul_f32 v30, v36, v33
	s_delay_alu instid0(VALU_DEP_1) | instskip(NEXT) | instid1(VALU_DEP_1)
	v_dual_fma_f32 v28, v36, v32, -v28 :: v_dual_fmac_f32 v30, v37, v32
	v_dual_add_f32 v24, v24, v28 :: v_dual_add_f32 v26, v26, v30
	v_dual_mul_f32 v28, v37, v35 :: v_dual_mul_f32 v30, v36, v35
	s_delay_alu instid0(VALU_DEP_1) | instskip(NEXT) | instid1(VALU_DEP_1)
	v_dual_fma_f32 v28, v36, v34, -v28 :: v_dual_fmac_f32 v30, v37, v34
	v_dual_add_f32 v20, v20, v28 :: v_dual_add_f32 v22, v22, v30
	;; [unrolled: 4-line block ×3, first 2 shown]
	v_mul_f32_e32 v28, v3, v43
	s_delay_alu instid0(VALU_DEP_1) | instskip(NEXT) | instid1(VALU_DEP_1)
	v_dual_fma_f32 v28, v2, v42, -v28 :: v_dual_mul_f32 v2, v2, v43
	v_dual_fmac_f32 v2, v3, v42 :: v_dual_add_f32 v28, v1, v28
	s_delay_alu instid0(VALU_DEP_1) | instskip(NEXT) | instid1(VALU_DEP_1)
	v_dual_mul_f32 v1, v38, v41 :: v_dual_add_f32 v30, v0, v2
	v_dual_mul_f32 v0, v39, v41 :: v_dual_fmac_f32 v1, v39, v40
	s_delay_alu instid0(VALU_DEP_1) | instskip(NEXT) | instid1(VALU_DEP_2)
	v_fma_f32 v0, v38, v40, -v0
	v_add_f32_e32 v26, v26, v1
	s_delay_alu instid0(VALU_DEP_2) | instskip(NEXT) | instid1(VALU_DEP_1)
	v_dual_mul_f32 v1, v38, v43 :: v_dual_add_f32 v24, v24, v0
	v_dual_mul_f32 v0, v39, v43 :: v_dual_fmac_f32 v1, v39, v42
	s_delay_alu instid0(VALU_DEP_1) | instskip(NEXT) | instid1(VALU_DEP_1)
	v_fma_f32 v0, v38, v42, -v0
	v_dual_add_f32 v22, v22, v1 :: v_dual_add_f32 v20, v20, v0
	s_cbranch_scc0 .LBB75_13
.LBB75_9:                               ;   Parent Loop BB75_6 Depth=1
                                        ; =>  This Inner Loop Header: Depth=2
	v_dual_mov_b32 v1, 0 :: v_dual_add_nc_u32 v0, s12, v21
	s_delay_alu instid0(VALU_DEP_1) | instskip(SKIP_2) | instid1(SALU_CYCLE_1)
	v_cmp_gt_i32_e32 vcc_lo, s23, v0
	v_mov_b32_e32 v0, 0
	s_and_b32 s15, s0, vcc_lo
	s_and_saveexec_b32 s13, s15
	s_cbranch_execz .LBB75_11
; %bb.10:                               ;   in Loop: Header=BB75_9 Depth=2
	global_load_b64 v[0:1], v[16:17], off
.LBB75_11:                              ;   in Loop: Header=BB75_9 Depth=2
	s_wait_xcnt 0x0
	s_or_b32 exec_lo, exec_lo, s13
	v_dual_mov_b32 v3, 0 :: v_dual_add_nc_u32 v2, s12, v23
	s_wait_loadcnt 0x0
	ds_store_b64 v25, v[0:1]
	v_cmp_gt_i32_e32 vcc_lo, s23, v2
	v_mov_b32_e32 v2, 0
	s_and_b32 s15, vcc_lo, s1
	s_delay_alu instid0(SALU_CYCLE_1)
	s_and_saveexec_b32 s13, s15
	s_cbranch_execz .LBB75_8
; %bb.12:                               ;   in Loop: Header=BB75_9 Depth=2
	global_load_b64 v[2:3], v[18:19], off
	s_branch .LBB75_8
.LBB75_13:                              ;   in Loop: Header=BB75_6 Depth=1
	s_mul_u64 s[12:13], s[24:25], s[8:9]
	s_delay_alu instid0(SALU_CYCLE_1) | instskip(NEXT) | instid1(SALU_CYCLE_1)
	s_lshl_b64 s[12:13], s[12:13], 3
	s_add_nc_u64 s[12:13], s[16:17], s[12:13]
	s_delay_alu instid0(SALU_CYCLE_1)
	v_lshl_add_u64 v[0:1], v[8:9], 3, s[12:13]
	s_and_saveexec_b32 s15, s27
	s_cbranch_execz .LBB75_18
; %bb.14:                               ;   in Loop: Header=BB75_6 Depth=1
	v_mov_b64_e32 v[2:3], s[18:19]
	v_mov_b64_e32 v[16:17], s[6:7]
	s_and_b32 vcc_lo, exec_lo, s26
	s_mov_b32 s31, -1
	s_delay_alu instid0(VALU_DEP_2) | instskip(NEXT) | instid1(VALU_DEP_1)
	v_pk_mul_f32 v[2:3], v[34:35], v[2:3] op_sel_hi:[0,1]
	v_pk_fma_f32 v[18:19], v[32:33], v[16:17], v[2:3] op_sel_hi:[0,1,1]
	v_pk_fma_f32 v[2:3], v[32:33], v[16:17], v[2:3] neg_lo:[0,0,1] neg_hi:[0,0,1]
	v_lshl_add_u64 v[16:17], v[4:5], 3, v[0:1]
	s_delay_alu instid0(VALU_DEP_3)
	v_mov_b32_e32 v3, v19
	s_cbranch_vccz .LBB75_16
; %bb.15:                               ;   in Loop: Header=BB75_6 Depth=1
	global_load_b64 v[18:19], v[16:17], off
	v_mov_b64_e32 v[32:33], s[20:21]
	v_mov_b64_e32 v[34:35], s[2:3]
	s_mov_b32 s31, 0
	s_wait_loadcnt 0x0
	s_delay_alu instid0(VALU_DEP_2) | instskip(NEXT) | instid1(VALU_DEP_1)
	v_pk_mul_f32 v[32:33], v[18:19], v[32:33]
	v_pk_fma_f32 v[36:37], v[18:19], v[34:35], v[32:33] op_sel:[0,0,1] op_sel_hi:[1,1,0]
	v_pk_fma_f32 v[18:19], v[18:19], v[34:35], v[32:33] op_sel:[0,0,1] op_sel_hi:[1,1,0] neg_lo:[0,0,1] neg_hi:[0,0,1]
	s_delay_alu instid0(VALU_DEP_2) | instskip(NEXT) | instid1(VALU_DEP_1)
	v_mov_b32_e32 v19, v37
	v_pk_add_f32 v[18:19], v[2:3], v[18:19]
	global_store_b64 v[16:17], v[18:19], off
.LBB75_16:                              ;   in Loop: Header=BB75_6 Depth=1
	s_and_not1_b32 vcc_lo, exec_lo, s31
	s_cbranch_vccnz .LBB75_18
; %bb.17:                               ;   in Loop: Header=BB75_6 Depth=1
	global_store_b64 v[16:17], v[2:3], off
.LBB75_18:                              ;   in Loop: Header=BB75_6 Depth=1
	s_wait_xcnt 0x0
	s_or_b32 exec_lo, exec_lo, s15
	s_and_saveexec_b32 s15, s29
	s_cbranch_execz .LBB75_23
; %bb.19:                               ;   in Loop: Header=BB75_6 Depth=1
	v_mov_b64_e32 v[2:3], s[18:19]
	v_mov_b64_e32 v[16:17], s[6:7]
	v_lshl_add_u64 v[0:1], v[6:7], 3, v[0:1]
	s_and_not1_b32 vcc_lo, exec_lo, s26
	s_mov_b32 s31, -1
	s_delay_alu instid0(VALU_DEP_3) | instskip(NEXT) | instid1(VALU_DEP_1)
	v_pk_mul_f32 v[2:3], v[30:31], v[2:3] op_sel_hi:[0,1]
	v_pk_fma_f32 v[18:19], v[28:29], v[16:17], v[2:3] op_sel_hi:[0,1,1]
	v_pk_fma_f32 v[2:3], v[28:29], v[16:17], v[2:3] neg_lo:[0,0,1] neg_hi:[0,0,1]
	s_delay_alu instid0(VALU_DEP_2)
	v_mov_b32_e32 v3, v19
	s_cbranch_vccnz .LBB75_21
; %bb.20:                               ;   in Loop: Header=BB75_6 Depth=1
	global_load_b64 v[16:17], v[0:1], off
	v_mov_b64_e32 v[18:19], s[20:21]
	v_mov_b64_e32 v[32:33], s[2:3]
	s_mov_b32 s31, 0
	s_wait_loadcnt 0x0
	s_delay_alu instid0(VALU_DEP_2) | instskip(NEXT) | instid1(VALU_DEP_1)
	v_pk_mul_f32 v[18:19], v[16:17], v[18:19]
	v_pk_fma_f32 v[34:35], v[16:17], v[32:33], v[18:19] op_sel:[0,0,1] op_sel_hi:[1,1,0]
	v_pk_fma_f32 v[16:17], v[16:17], v[32:33], v[18:19] op_sel:[0,0,1] op_sel_hi:[1,1,0] neg_lo:[0,0,1] neg_hi:[0,0,1]
	s_delay_alu instid0(VALU_DEP_2) | instskip(NEXT) | instid1(VALU_DEP_1)
	v_mov_b32_e32 v17, v35
	v_pk_add_f32 v[16:17], v[2:3], v[16:17]
	global_store_b64 v[0:1], v[16:17], off
.LBB75_21:                              ;   in Loop: Header=BB75_6 Depth=1
	s_and_not1_b32 vcc_lo, exec_lo, s31
	s_cbranch_vccnz .LBB75_23
; %bb.22:                               ;   in Loop: Header=BB75_6 Depth=1
	global_store_b64 v[0:1], v[2:3], off
.LBB75_23:                              ;   in Loop: Header=BB75_6 Depth=1
	s_wait_xcnt 0x0
	s_or_b32 exec_lo, exec_lo, s15
	v_lshl_add_u64 v[0:1], v[10:11], 3, s[12:13]
	s_and_saveexec_b32 s12, s22
	s_cbranch_execz .LBB75_28
; %bb.24:                               ;   in Loop: Header=BB75_6 Depth=1
	v_mov_b64_e32 v[2:3], s[18:19]
	v_mov_b64_e32 v[16:17], s[6:7]
	s_and_not1_b32 vcc_lo, exec_lo, s26
	s_mov_b32 s13, -1
	s_delay_alu instid0(VALU_DEP_2) | instskip(NEXT) | instid1(VALU_DEP_1)
	v_pk_mul_f32 v[2:3], v[26:27], v[2:3] op_sel_hi:[0,1]
	v_pk_fma_f32 v[18:19], v[24:25], v[16:17], v[2:3] op_sel_hi:[0,1,1]
	v_pk_fma_f32 v[2:3], v[24:25], v[16:17], v[2:3] neg_lo:[0,0,1] neg_hi:[0,0,1]
	v_lshl_add_u64 v[16:17], v[4:5], 3, v[0:1]
	s_delay_alu instid0(VALU_DEP_3)
	v_mov_b32_e32 v3, v19
	s_cbranch_vccnz .LBB75_26
; %bb.25:                               ;   in Loop: Header=BB75_6 Depth=1
	global_load_b64 v[18:19], v[16:17], off
	v_mov_b64_e32 v[32:33], s[20:21]
	v_mov_b64_e32 v[34:35], s[2:3]
	s_mov_b32 s13, 0
	s_wait_loadcnt 0x0
	s_delay_alu instid0(VALU_DEP_2) | instskip(NEXT) | instid1(VALU_DEP_1)
	v_pk_mul_f32 v[32:33], v[18:19], v[32:33]
	v_pk_fma_f32 v[36:37], v[18:19], v[34:35], v[32:33] op_sel:[0,0,1] op_sel_hi:[1,1,0]
	v_pk_fma_f32 v[18:19], v[18:19], v[34:35], v[32:33] op_sel:[0,0,1] op_sel_hi:[1,1,0] neg_lo:[0,0,1] neg_hi:[0,0,1]
	s_delay_alu instid0(VALU_DEP_2) | instskip(NEXT) | instid1(VALU_DEP_1)
	v_mov_b32_e32 v19, v37
	v_pk_add_f32 v[18:19], v[2:3], v[18:19]
	global_store_b64 v[16:17], v[18:19], off
.LBB75_26:                              ;   in Loop: Header=BB75_6 Depth=1
	s_and_not1_b32 vcc_lo, exec_lo, s13
	s_cbranch_vccnz .LBB75_28
; %bb.27:                               ;   in Loop: Header=BB75_6 Depth=1
	global_store_b64 v[16:17], v[2:3], off
.LBB75_28:                              ;   in Loop: Header=BB75_6 Depth=1
	s_wait_xcnt 0x0
	s_or_b32 exec_lo, exec_lo, s12
	s_and_saveexec_b32 s12, s30
	s_cbranch_execz .LBB75_5
; %bb.29:                               ;   in Loop: Header=BB75_6 Depth=1
	v_mov_b64_e32 v[2:3], s[18:19]
	v_mov_b64_e32 v[16:17], s[6:7]
	v_lshl_add_u64 v[0:1], v[6:7], 3, v[0:1]
	s_and_not1_b32 vcc_lo, exec_lo, s26
	s_mov_b32 s13, -1
	s_delay_alu instid0(VALU_DEP_3) | instskip(NEXT) | instid1(VALU_DEP_1)
	v_pk_mul_f32 v[2:3], v[22:23], v[2:3] op_sel_hi:[0,1]
	v_pk_fma_f32 v[18:19], v[20:21], v[16:17], v[2:3] op_sel_hi:[0,1,1]
	v_pk_fma_f32 v[2:3], v[20:21], v[16:17], v[2:3] neg_lo:[0,0,1] neg_hi:[0,0,1]
	s_delay_alu instid0(VALU_DEP_2)
	v_mov_b32_e32 v3, v19
	s_cbranch_vccnz .LBB75_31
; %bb.30:                               ;   in Loop: Header=BB75_6 Depth=1
	global_load_b64 v[16:17], v[0:1], off
	v_mov_b64_e32 v[18:19], s[20:21]
	v_mov_b64_e32 v[32:33], s[2:3]
	s_mov_b32 s13, 0
	s_wait_loadcnt 0x0
	s_delay_alu instid0(VALU_DEP_2) | instskip(NEXT) | instid1(VALU_DEP_1)
	v_pk_mul_f32 v[18:19], v[16:17], v[18:19]
	v_pk_fma_f32 v[34:35], v[16:17], v[32:33], v[18:19] op_sel:[0,0,1] op_sel_hi:[1,1,0]
	v_pk_fma_f32 v[16:17], v[16:17], v[32:33], v[18:19] op_sel:[0,0,1] op_sel_hi:[1,1,0] neg_lo:[0,0,1] neg_hi:[0,0,1]
	s_delay_alu instid0(VALU_DEP_2) | instskip(NEXT) | instid1(VALU_DEP_1)
	v_mov_b32_e32 v17, v35
	v_pk_add_f32 v[16:17], v[2:3], v[16:17]
	global_store_b64 v[0:1], v[16:17], off
.LBB75_31:                              ;   in Loop: Header=BB75_6 Depth=1
	s_and_not1_b32 vcc_lo, exec_lo, s13
	s_cbranch_vccnz .LBB75_5
; %bb.32:                               ;   in Loop: Header=BB75_6 Depth=1
	global_store_b64 v[0:1], v[2:3], off
	s_branch .LBB75_5
.LBB75_33:
	s_endpgm
	.section	.rodata,"a",@progbits
	.p2align	6, 0x0
	.amdhsa_kernel _ZL29rocblas_internal_gemmt_kernelIiLi16ELi32ELi8ELc84ELc78ELc85ELb0ELb0E19rocblas_complex_numIfEPKS1_S3_PS1_EviT_T9_T10_S5_lS7_S5_lS6_T11_S5_li
		.amdhsa_group_segment_fixed_size 4096
		.amdhsa_private_segment_fixed_size 0
		.amdhsa_kernarg_size 100
		.amdhsa_user_sgpr_count 2
		.amdhsa_user_sgpr_dispatch_ptr 0
		.amdhsa_user_sgpr_queue_ptr 0
		.amdhsa_user_sgpr_kernarg_segment_ptr 1
		.amdhsa_user_sgpr_dispatch_id 0
		.amdhsa_user_sgpr_kernarg_preload_length 0
		.amdhsa_user_sgpr_kernarg_preload_offset 0
		.amdhsa_user_sgpr_private_segment_size 0
		.amdhsa_wavefront_size32 1
		.amdhsa_uses_dynamic_stack 0
		.amdhsa_enable_private_segment 0
		.amdhsa_system_sgpr_workgroup_id_x 1
		.amdhsa_system_sgpr_workgroup_id_y 1
		.amdhsa_system_sgpr_workgroup_id_z 1
		.amdhsa_system_sgpr_workgroup_info 0
		.amdhsa_system_vgpr_workitem_id 1
		.amdhsa_next_free_vgpr 54
		.amdhsa_next_free_sgpr 34
		.amdhsa_named_barrier_count 0
		.amdhsa_reserve_vcc 1
		.amdhsa_float_round_mode_32 0
		.amdhsa_float_round_mode_16_64 0
		.amdhsa_float_denorm_mode_32 3
		.amdhsa_float_denorm_mode_16_64 3
		.amdhsa_fp16_overflow 0
		.amdhsa_memory_ordered 1
		.amdhsa_forward_progress 1
		.amdhsa_inst_pref_size 25
		.amdhsa_round_robin_scheduling 0
		.amdhsa_exception_fp_ieee_invalid_op 0
		.amdhsa_exception_fp_denorm_src 0
		.amdhsa_exception_fp_ieee_div_zero 0
		.amdhsa_exception_fp_ieee_overflow 0
		.amdhsa_exception_fp_ieee_underflow 0
		.amdhsa_exception_fp_ieee_inexact 0
		.amdhsa_exception_int_div_zero 0
	.end_amdhsa_kernel
	.section	.text._ZL29rocblas_internal_gemmt_kernelIiLi16ELi32ELi8ELc84ELc78ELc85ELb0ELb0E19rocblas_complex_numIfEPKS1_S3_PS1_EviT_T9_T10_S5_lS7_S5_lS6_T11_S5_li,"axG",@progbits,_ZL29rocblas_internal_gemmt_kernelIiLi16ELi32ELi8ELc84ELc78ELc85ELb0ELb0E19rocblas_complex_numIfEPKS1_S3_PS1_EviT_T9_T10_S5_lS7_S5_lS6_T11_S5_li,comdat
.Lfunc_end75:
	.size	_ZL29rocblas_internal_gemmt_kernelIiLi16ELi32ELi8ELc84ELc78ELc85ELb0ELb0E19rocblas_complex_numIfEPKS1_S3_PS1_EviT_T9_T10_S5_lS7_S5_lS6_T11_S5_li, .Lfunc_end75-_ZL29rocblas_internal_gemmt_kernelIiLi16ELi32ELi8ELc84ELc78ELc85ELb0ELb0E19rocblas_complex_numIfEPKS1_S3_PS1_EviT_T9_T10_S5_lS7_S5_lS6_T11_S5_li
                                        ; -- End function
	.set _ZL29rocblas_internal_gemmt_kernelIiLi16ELi32ELi8ELc84ELc78ELc85ELb0ELb0E19rocblas_complex_numIfEPKS1_S3_PS1_EviT_T9_T10_S5_lS7_S5_lS6_T11_S5_li.num_vgpr, 54
	.set _ZL29rocblas_internal_gemmt_kernelIiLi16ELi32ELi8ELc84ELc78ELc85ELb0ELb0E19rocblas_complex_numIfEPKS1_S3_PS1_EviT_T9_T10_S5_lS7_S5_lS6_T11_S5_li.num_agpr, 0
	.set _ZL29rocblas_internal_gemmt_kernelIiLi16ELi32ELi8ELc84ELc78ELc85ELb0ELb0E19rocblas_complex_numIfEPKS1_S3_PS1_EviT_T9_T10_S5_lS7_S5_lS6_T11_S5_li.numbered_sgpr, 34
	.set _ZL29rocblas_internal_gemmt_kernelIiLi16ELi32ELi8ELc84ELc78ELc85ELb0ELb0E19rocblas_complex_numIfEPKS1_S3_PS1_EviT_T9_T10_S5_lS7_S5_lS6_T11_S5_li.num_named_barrier, 0
	.set _ZL29rocblas_internal_gemmt_kernelIiLi16ELi32ELi8ELc84ELc78ELc85ELb0ELb0E19rocblas_complex_numIfEPKS1_S3_PS1_EviT_T9_T10_S5_lS7_S5_lS6_T11_S5_li.private_seg_size, 0
	.set _ZL29rocblas_internal_gemmt_kernelIiLi16ELi32ELi8ELc84ELc78ELc85ELb0ELb0E19rocblas_complex_numIfEPKS1_S3_PS1_EviT_T9_T10_S5_lS7_S5_lS6_T11_S5_li.uses_vcc, 1
	.set _ZL29rocblas_internal_gemmt_kernelIiLi16ELi32ELi8ELc84ELc78ELc85ELb0ELb0E19rocblas_complex_numIfEPKS1_S3_PS1_EviT_T9_T10_S5_lS7_S5_lS6_T11_S5_li.uses_flat_scratch, 0
	.set _ZL29rocblas_internal_gemmt_kernelIiLi16ELi32ELi8ELc84ELc78ELc85ELb0ELb0E19rocblas_complex_numIfEPKS1_S3_PS1_EviT_T9_T10_S5_lS7_S5_lS6_T11_S5_li.has_dyn_sized_stack, 0
	.set _ZL29rocblas_internal_gemmt_kernelIiLi16ELi32ELi8ELc84ELc78ELc85ELb0ELb0E19rocblas_complex_numIfEPKS1_S3_PS1_EviT_T9_T10_S5_lS7_S5_lS6_T11_S5_li.has_recursion, 0
	.set _ZL29rocblas_internal_gemmt_kernelIiLi16ELi32ELi8ELc84ELc78ELc85ELb0ELb0E19rocblas_complex_numIfEPKS1_S3_PS1_EviT_T9_T10_S5_lS7_S5_lS6_T11_S5_li.has_indirect_call, 0
	.section	.AMDGPU.csdata,"",@progbits
; Kernel info:
; codeLenInByte = 3192
; TotalNumSgprs: 36
; NumVgprs: 54
; ScratchSize: 0
; MemoryBound: 0
; FloatMode: 240
; IeeeMode: 1
; LDSByteSize: 4096 bytes/workgroup (compile time only)
; SGPRBlocks: 0
; VGPRBlocks: 3
; NumSGPRsForWavesPerEU: 36
; NumVGPRsForWavesPerEU: 54
; NamedBarCnt: 0
; Occupancy: 16
; WaveLimiterHint : 0
; COMPUTE_PGM_RSRC2:SCRATCH_EN: 0
; COMPUTE_PGM_RSRC2:USER_SGPR: 2
; COMPUTE_PGM_RSRC2:TRAP_HANDLER: 0
; COMPUTE_PGM_RSRC2:TGID_X_EN: 1
; COMPUTE_PGM_RSRC2:TGID_Y_EN: 1
; COMPUTE_PGM_RSRC2:TGID_Z_EN: 1
; COMPUTE_PGM_RSRC2:TIDIG_COMP_CNT: 1
	.section	.text._ZL29rocblas_internal_gemmt_kernelIiLi16ELi32ELi8ELc84ELc84ELc85ELb0ELb0E19rocblas_complex_numIfEPKS1_S3_PS1_EviT_T9_T10_S5_lS7_S5_lS6_T11_S5_li,"axG",@progbits,_ZL29rocblas_internal_gemmt_kernelIiLi16ELi32ELi8ELc84ELc84ELc85ELb0ELb0E19rocblas_complex_numIfEPKS1_S3_PS1_EviT_T9_T10_S5_lS7_S5_lS6_T11_S5_li,comdat
	.globl	_ZL29rocblas_internal_gemmt_kernelIiLi16ELi32ELi8ELc84ELc84ELc85ELb0ELb0E19rocblas_complex_numIfEPKS1_S3_PS1_EviT_T9_T10_S5_lS7_S5_lS6_T11_S5_li ; -- Begin function _ZL29rocblas_internal_gemmt_kernelIiLi16ELi32ELi8ELc84ELc84ELc85ELb0ELb0E19rocblas_complex_numIfEPKS1_S3_PS1_EviT_T9_T10_S5_lS7_S5_lS6_T11_S5_li
	.p2align	8
	.type	_ZL29rocblas_internal_gemmt_kernelIiLi16ELi32ELi8ELc84ELc84ELc85ELb0ELb0E19rocblas_complex_numIfEPKS1_S3_PS1_EviT_T9_T10_S5_lS7_S5_lS6_T11_S5_li,@function
_ZL29rocblas_internal_gemmt_kernelIiLi16ELi32ELi8ELc84ELc84ELc85ELb0ELb0E19rocblas_complex_numIfEPKS1_S3_PS1_EviT_T9_T10_S5_lS7_S5_lS6_T11_S5_li: ; @_ZL29rocblas_internal_gemmt_kernelIiLi16ELi32ELi8ELc84ELc84ELc85ELb0ELb0E19rocblas_complex_numIfEPKS1_S3_PS1_EviT_T9_T10_S5_lS7_S5_lS6_T11_S5_li
; %bb.0:
	s_load_b128 s[4:7], s[0:1], 0x38
	s_wait_kmcnt 0x0
	s_load_b64 s[20:21], s[6:7], 0x0
	s_clause 0x1
	s_load_b128 s[8:11], s[0:1], 0x8
	s_load_b64 s[22:23], s[0:1], 0x0
	s_wait_kmcnt 0x0
	s_cmp_neq_f32 s20, 1.0
	s_load_b64 s[6:7], s[8:9], 0x0
	s_cselect_b32 s2, -1, 0
	s_and_b32 s3, s21, 0x7fffffff
	s_delay_alu instid0(SALU_CYCLE_1) | instskip(SKIP_3) | instid1(SALU_CYCLE_1)
	s_cmp_eq_u32 s3, 0
	s_cselect_b32 s29, -1, 0
	s_cmp_lg_u32 s3, 0
	s_cselect_b32 s3, -1, 0
	s_or_b32 s2, s2, s3
	s_delay_alu instid0(SALU_CYCLE_1)
	s_and_b32 vcc_lo, exec_lo, s2
	s_cbranch_vccnz .LBB76_2
; %bb.1:
	s_cmp_lg_u32 s23, 0
	s_cselect_b32 s2, -1, 0
	s_wait_kmcnt 0x0
	s_cmp_neq_f32 s6, 0
	s_cselect_b32 s3, -1, 0
	s_cmp_neq_f32 s7, 0
	s_cselect_b32 s8, -1, 0
	s_delay_alu instid0(SALU_CYCLE_1) | instskip(NEXT) | instid1(SALU_CYCLE_1)
	s_or_b32 s3, s3, s8
	s_and_b32 s2, s2, s3
.LBB76_2:
	s_delay_alu instid0(SALU_CYCLE_1)
	s_and_not1_b32 vcc_lo, exec_lo, s2
	s_cbranch_vccnz .LBB76_33
; %bb.3:
	s_load_b32 s28, s[0:1], 0x60
	s_bfe_u32 s2, ttmp6, 0x40014
	s_lshr_b32 s3, ttmp7, 16
	s_add_co_i32 s2, s2, 1
	s_wait_xcnt 0x0
	s_bfe_u32 s8, ttmp6, 0x40008
	s_mul_i32 s2, s3, s2
	s_getreg_b32 s30, hwreg(HW_REG_IB_STS2, 6, 4)
	s_add_co_i32 s8, s8, s2
	s_cmp_eq_u32 s30, 0
	s_mov_b32 s9, 0
	s_cselect_b32 s8, s3, s8
	s_wait_kmcnt 0x0
	s_cmp_ge_u32 s8, s28
	s_cbranch_scc1 .LBB76_33
; %bb.4:
	s_clause 0x3
	s_load_b32 s2, s[0:1], 0x18
	s_load_b32 s26, s[0:1], 0x30
	s_load_b96 s[16:18], s[0:1], 0x48
	s_load_b128 s[12:15], s[0:1], 0x20
	v_and_b32_e32 v6, 0x3ff, v0
	v_bfe_u32 v7, v0, 10, 10
	s_load_b64 s[24:25], s[0:1], 0x58
	s_wait_xcnt 0x0
	s_bfe_u32 s1, ttmp6, 0x4000c
	s_bfe_u32 s3, ttmp6, 0x40010
	s_and_b32 s31, ttmp7, 0xffff
	s_add_co_i32 s1, s1, 1
	s_add_co_i32 s3, s3, 1
	v_lshl_add_u32 v1, v7, 4, v6
	s_and_b32 s0, ttmp6, 15
	s_bfe_u32 s19, ttmp6, 0x40004
	s_mul_i32 s1, ttmp9, s1
	s_mul_i32 s3, s31, s3
	s_add_co_i32 s0, s0, s1
	s_add_co_i32 s1, s19, s3
	v_dual_lshrrev_b32 v23, 5, v1 :: v_dual_lshrrev_b32 v3, 3, v1
	s_wait_kmcnt 0x0
	s_ashr_i32 s3, s2, 31
	s_ashr_i32 s27, s26, 31
	s_ashr_i32 s19, s18, 31
	s_cmp_eq_u32 s30, 0
	v_lshl_add_u32 v29, v7, 6, 0x800
	s_cselect_b32 s1, s31, s1
	s_cselect_b32 s0, ttmp9, s0
	s_lshl_b32 s31, s1, 5
	s_delay_alu instid0(SALU_CYCLE_1) | instskip(SKIP_3) | instid1(VALU_DEP_2)
	v_dual_add_nc_u32 v2, s31, v3 :: v_dual_bitop2_b32 v1, 31, v1 bitop3:0x40
	v_and_b32_e32 v4, 7, v0
	s_lshl_b32 s30, s0, 5
	s_cmp_neq_f32 s6, 0
	v_dual_lshlrev_b32 v1, 3, v1 :: v_dual_bitop2_b32 v0, s30, v1 bitop3:0x54
	s_delay_alu instid0(VALU_DEP_2) | instskip(SKIP_2) | instid1(VALU_DEP_2)
	v_dual_lshlrev_b32 v5, 3, v4 :: v_dual_mov_b32 v15, 0
	s_cselect_b32 s0, -1, 0
	s_cmp_neq_f32 s7, 0
	v_lshl_or_b32 v25, v23, 8, v1
	s_delay_alu instid0(VALU_DEP_2) | instskip(SKIP_3) | instid1(VALU_DEP_3)
	v_lshl_or_b32 v3, v3, 6, v5
	v_dual_ashrrev_i32 v1, 31, v0 :: v_dual_mov_b32 v5, v15
	v_add_nc_u32_e32 v16, s31, v7
	s_cselect_b32 s1, -1, 0
	v_add_nc_u32_e32 v27, 0x800, v3
	s_or_b32 s34, s0, s1
	v_cmp_gt_i32_e64 s0, s22, v0
	v_mul_u64_e32 v[0:1], s[2:3], v[0:1]
	v_mul_u64_e32 v[18:19], s[26:27], v[4:5]
	v_dual_ashrrev_i32 v3, 31, v2 :: v_dual_add_nc_u32 v20, 16, v16
	v_dual_lshlrev_b32 v5, 3, v6 :: v_dual_add_nc_u32 v6, s30, v6
	v_ashrrev_i32_e32 v17, 31, v16
	v_cmp_gt_i32_e64 s1, s22, v2
	s_delay_alu instid0(VALU_DEP_4)
	v_ashrrev_i32_e32 v21, 31, v20
	v_lshlrev_b64_e32 v[2:3], 3, v[2:3]
	v_add_nc_u32_e32 v8, 16, v6
	v_mul_u64_e32 v[10:11], s[18:19], v[16:17]
	v_ashrrev_i32_e32 v7, 31, v6
	v_mul_u64_e32 v[12:13], s[18:19], v[20:21]
	s_delay_alu instid0(VALU_DEP_4)
	v_dual_lshlrev_b32 v14, 3, v23 :: v_dual_ashrrev_i32 v9, 31, v8
	s_cmp_gt_i32 s23, 0
	v_cmp_gt_i32_e32 vcc_lo, s22, v16
	s_cselect_b32 s35, -1, 0
	s_cmp_neq_f32 s20, 0
	v_cmp_le_i32_e64 s2, v6, v16
	v_cmp_le_i32_e64 s3, v8, v16
	s_mov_b32 s19, s6
	s_cselect_b32 s30, -1, 0
	s_xor_b32 s18, s29, -1
	s_and_b32 s34, s34, s35
	s_or_b32 s29, s30, s18
	s_and_b32 s30, vcc_lo, s2
	s_and_b32 s31, vcc_lo, s3
	v_cmp_gt_i32_e32 vcc_lo, s22, v20
	v_cmp_le_i32_e64 s2, v6, v20
	v_cmp_le_i32_e64 s3, v8, v20
	v_lshl_add_u64 v[0:1], v[0:1], 3, v[14:15]
	v_lshl_add_u64 v[2:3], v[18:19], 3, v[2:3]
	s_mov_b32 s18, s7
	s_and_b32 s22, vcc_lo, s2
	s_and_b32 s33, vcc_lo, s3
	v_add_nc_u64_e32 v[14:15], s[10:11], v[0:1]
	v_add_nc_u64_e32 v[16:17], s[14:15], v[2:3]
	s_mov_b32 s2, s20
	s_mov_b32 s3, s20
	;; [unrolled: 1-line block ×3, first 2 shown]
	s_lshl_b64 s[10:11], s[12:13], 3
	s_lshl_b64 s[4:5], s[4:5], 3
	;; [unrolled: 1-line block ×3, first 2 shown]
	s_branch .LBB76_6
.LBB76_5:                               ;   in Loop: Header=BB76_6 Depth=1
	s_wait_xcnt 0x0
	s_or_b32 exec_lo, exec_lo, s14
	s_add_co_i32 s8, s8, 0x10000
	s_delay_alu instid0(SALU_CYCLE_1)
	s_cmp_lt_u32 s8, s28
	s_cbranch_scc0 .LBB76_33
.LBB76_6:                               ; =>This Loop Header: Depth=1
                                        ;     Child Loop BB76_9 Depth 2
	v_dual_mov_b32 v34, 0 :: v_dual_mov_b32 v36, 0
	v_dual_mov_b32 v30, 0 :: v_dual_mov_b32 v32, 0
	;; [unrolled: 1-line block ×4, first 2 shown]
	s_and_not1_b32 vcc_lo, exec_lo, s34
	s_cbranch_vccnz .LBB76_13
; %bb.7:                                ;   in Loop: Header=BB76_6 Depth=1
	v_mad_nc_u64_u32 v[18:19], s10, s8, v[14:15]
	v_mad_nc_u64_u32 v[20:21], s4, s8, v[16:17]
	v_dual_mov_b32 v24, 0 :: v_dual_mov_b32 v22, 0
	v_dual_mov_b32 v28, 0 :: v_dual_mov_b32 v26, 0
	;; [unrolled: 1-line block ×4, first 2 shown]
	s_mov_b32 s14, 0
	v_mad_u32 v19, s11, s8, v19
	v_mad_u32 v21, s5, s8, v21
	s_branch .LBB76_9
.LBB76_8:                               ;   in Loop: Header=BB76_9 Depth=2
	s_wait_xcnt 0x0
	s_or_b32 exec_lo, exec_lo, s15
	s_wait_loadcnt 0x0
	ds_store_b64 v27, v[2:3]
	s_wait_dscnt 0x0
	s_barrier_signal -1
	s_barrier_wait -1
	ds_load_b128 v[38:41], v29
	ds_load_b128 v[42:45], v29 offset:16
	ds_load_b128 v[46:49], v29 offset:32
	;; [unrolled: 1-line block ×3, first 2 shown]
	ds_load_2addr_b64 v[50:53], v5 offset1:16
	v_add_nc_u64_e32 v[18:19], 64, v[18:19]
	v_add_nc_u64_e32 v[20:21], s[12:13], v[20:21]
	s_add_co_i32 s14, s14, 8
	s_delay_alu instid0(SALU_CYCLE_1) | instskip(SKIP_2) | instid1(VALU_DEP_1)
	s_cmp_lt_i32 s14, s23
	s_wait_dscnt 0x0
	v_dual_mul_f32 v31, v39, v51 :: v_dual_mul_f32 v33, v38, v51
	v_dual_fma_f32 v31, v38, v50, -v31 :: v_dual_fmac_f32 v33, v39, v50
	s_delay_alu instid0(VALU_DEP_1) | instskip(SKIP_1) | instid1(VALU_DEP_1)
	v_dual_add_f32 v54, v34, v31 :: v_dual_add_f32 v55, v36, v33
	v_dual_mul_f32 v31, v39, v53 :: v_dual_mul_f32 v33, v38, v53
	v_dual_fma_f32 v31, v38, v52, -v31 :: v_dual_fmac_f32 v33, v39, v52
	s_delay_alu instid0(VALU_DEP_1) | instskip(SKIP_3) | instid1(VALU_DEP_1)
	v_dual_add_f32 v38, v30, v31 :: v_dual_add_f32 v39, v32, v33
	ds_load_b128 v[30:33], v29 offset:1024
	s_wait_dscnt 0x0
	v_dual_mul_f32 v34, v31, v51 :: v_dual_mul_f32 v35, v30, v51
	v_dual_fma_f32 v34, v30, v50, -v34 :: v_dual_fmac_f32 v35, v31, v50
	s_delay_alu instid0(VALU_DEP_1) | instskip(SKIP_1) | instid1(VALU_DEP_1)
	v_dual_add_f32 v26, v26, v34 :: v_dual_add_f32 v28, v28, v35
	v_mul_f32_e32 v34, v31, v53
	v_dual_fma_f32 v34, v30, v52, -v34 :: v_dual_mul_f32 v30, v30, v53
	s_delay_alu instid0(VALU_DEP_1) | instskip(NEXT) | instid1(VALU_DEP_1)
	v_fmac_f32_e32 v30, v31, v52
	v_add_f32_e32 v24, v24, v30
	s_delay_alu instid0(VALU_DEP_3) | instskip(SKIP_3) | instid1(VALU_DEP_1)
	v_add_f32_e32 v22, v22, v34
	ds_load_2addr_b64 v[34:37], v5 offset0:32 offset1:48
	s_wait_dscnt 0x0
	v_dual_mul_f32 v30, v41, v35 :: v_dual_mul_f32 v31, v40, v35
	v_dual_fma_f32 v30, v40, v34, -v30 :: v_dual_fmac_f32 v31, v41, v34
	s_delay_alu instid0(VALU_DEP_1) | instskip(SKIP_1) | instid1(VALU_DEP_1)
	v_dual_add_f32 v50, v54, v30 :: v_dual_add_f32 v51, v55, v31
	v_dual_mul_f32 v30, v41, v37 :: v_dual_mul_f32 v31, v40, v37
	v_dual_fma_f32 v30, v40, v36, -v30 :: v_dual_fmac_f32 v31, v41, v36
	s_delay_alu instid0(VALU_DEP_1) | instskip(SKIP_1) | instid1(VALU_DEP_1)
	v_dual_add_f32 v38, v38, v30 :: v_dual_add_f32 v39, v39, v31
	;; [unrolled: 4-line block ×3, first 2 shown]
	v_dual_mul_f32 v30, v33, v37 :: v_dual_mul_f32 v31, v32, v37
	v_dual_fma_f32 v30, v32, v36, -v30 :: v_dual_fmac_f32 v31, v33, v36
	s_delay_alu instid0(VALU_DEP_1) | instskip(SKIP_3) | instid1(VALU_DEP_1)
	v_dual_add_f32 v22, v22, v30 :: v_dual_add_f32 v24, v24, v31
	ds_load_2addr_b64 v[30:33], v5 offset0:64 offset1:80
	s_wait_dscnt 0x0
	v_dual_mul_f32 v34, v43, v31 :: v_dual_mul_f32 v35, v42, v31
	v_dual_fma_f32 v34, v42, v30, -v34 :: v_dual_fmac_f32 v35, v43, v30
	s_delay_alu instid0(VALU_DEP_1) | instskip(SKIP_1) | instid1(VALU_DEP_1)
	v_dual_add_f32 v40, v50, v34 :: v_dual_add_f32 v41, v51, v35
	v_dual_mul_f32 v34, v43, v33 :: v_dual_mul_f32 v35, v42, v33
	v_dual_fma_f32 v34, v42, v32, -v34 :: v_dual_fmac_f32 v35, v43, v32
	s_delay_alu instid0(VALU_DEP_1) | instskip(SKIP_3) | instid1(VALU_DEP_1)
	v_dual_add_f32 v38, v38, v34 :: v_dual_add_f32 v39, v39, v35
	ds_load_b128 v[34:37], v29 offset:1040
	s_wait_dscnt 0x0
	v_dual_mul_f32 v42, v35, v31 :: v_dual_mul_f32 v31, v34, v31
	v_dual_fma_f32 v42, v34, v30, -v42 :: v_dual_fmac_f32 v31, v35, v30
	s_delay_alu instid0(VALU_DEP_1) | instskip(NEXT) | instid1(VALU_DEP_2)
	v_dual_mul_f32 v30, v35, v33 :: v_dual_add_f32 v26, v26, v42
	v_dual_add_f32 v28, v28, v31 :: v_dual_mul_f32 v31, v34, v33
	s_delay_alu instid0(VALU_DEP_1) | instskip(NEXT) | instid1(VALU_DEP_1)
	v_dual_fma_f32 v30, v34, v32, -v30 :: v_dual_fmac_f32 v31, v35, v32
	v_dual_add_f32 v22, v22, v30 :: v_dual_add_f32 v24, v24, v31
	ds_load_2addr_b64 v[30:33], v5 offset0:96 offset1:112
	s_wait_dscnt 0x0
	v_dual_mul_f32 v34, v45, v31 :: v_dual_mul_f32 v35, v44, v31
	s_delay_alu instid0(VALU_DEP_1) | instskip(NEXT) | instid1(VALU_DEP_1)
	v_dual_fma_f32 v34, v44, v30, -v34 :: v_dual_fmac_f32 v35, v45, v30
	v_dual_add_f32 v34, v40, v34 :: v_dual_add_f32 v35, v41, v35
	v_dual_mul_f32 v40, v45, v33 :: v_dual_mul_f32 v41, v44, v33
	s_delay_alu instid0(VALU_DEP_1) | instskip(NEXT) | instid1(VALU_DEP_1)
	v_dual_fma_f32 v40, v44, v32, -v40 :: v_dual_fmac_f32 v41, v45, v32
	v_dual_add_f32 v38, v38, v40 :: v_dual_add_f32 v39, v39, v41
	v_dual_mul_f32 v40, v37, v31 :: v_dual_mul_f32 v31, v36, v31
	s_delay_alu instid0(VALU_DEP_1) | instskip(NEXT) | instid1(VALU_DEP_1)
	v_dual_fma_f32 v40, v36, v30, -v40 :: v_dual_fmac_f32 v31, v37, v30
	v_dual_mul_f32 v30, v37, v33 :: v_dual_add_f32 v26, v26, v40
	s_delay_alu instid0(VALU_DEP_2) | instskip(NEXT) | instid1(VALU_DEP_2)
	v_add_f32_e32 v28, v28, v31
	v_dual_mul_f32 v31, v36, v33 :: v_dual_fma_f32 v30, v36, v32, -v30
	s_delay_alu instid0(VALU_DEP_1) | instskip(NEXT) | instid1(VALU_DEP_1)
	v_dual_fmac_f32 v31, v37, v32 :: v_dual_add_f32 v22, v22, v30
	v_add_f32_e32 v24, v24, v31
	ds_load_2addr_b64 v[30:33], v5 offset0:128 offset1:144
	s_wait_dscnt 0x0
	v_dual_mul_f32 v36, v47, v31 :: v_dual_mul_f32 v37, v46, v31
	s_delay_alu instid0(VALU_DEP_1) | instskip(NEXT) | instid1(VALU_DEP_1)
	v_dual_fma_f32 v36, v46, v30, -v36 :: v_dual_fmac_f32 v37, v47, v30
	v_dual_add_f32 v40, v34, v36 :: v_dual_add_f32 v41, v35, v37
	v_dual_mul_f32 v34, v47, v33 :: v_dual_mul_f32 v35, v46, v33
	s_delay_alu instid0(VALU_DEP_1) | instskip(NEXT) | instid1(VALU_DEP_1)
	v_dual_fma_f32 v34, v46, v32, -v34 :: v_dual_fmac_f32 v35, v47, v32
	v_dual_add_f32 v38, v38, v34 :: v_dual_add_f32 v39, v39, v35
	ds_load_b128 v[34:37], v29 offset:1056
	s_wait_dscnt 0x0
	v_dual_mul_f32 v42, v35, v31 :: v_dual_mul_f32 v31, v34, v31
	s_delay_alu instid0(VALU_DEP_1) | instskip(NEXT) | instid1(VALU_DEP_1)
	v_dual_fma_f32 v42, v34, v30, -v42 :: v_dual_fmac_f32 v31, v35, v30
	v_dual_mul_f32 v30, v35, v33 :: v_dual_add_f32 v26, v26, v42
	s_delay_alu instid0(VALU_DEP_2) | instskip(NEXT) | instid1(VALU_DEP_1)
	v_dual_add_f32 v28, v28, v31 :: v_dual_mul_f32 v31, v34, v33
	v_dual_fma_f32 v30, v34, v32, -v30 :: v_dual_fmac_f32 v31, v35, v32
	s_delay_alu instid0(VALU_DEP_1) | instskip(SKIP_3) | instid1(VALU_DEP_1)
	v_dual_add_f32 v22, v22, v30 :: v_dual_add_f32 v24, v24, v31
	ds_load_2addr_b64 v[30:33], v5 offset0:160 offset1:176
	s_wait_dscnt 0x0
	v_dual_mul_f32 v34, v49, v31 :: v_dual_mul_f32 v35, v48, v31
	v_dual_fma_f32 v34, v48, v30, -v34 :: v_dual_fmac_f32 v35, v49, v30
	s_delay_alu instid0(VALU_DEP_1) | instskip(SKIP_1) | instid1(VALU_DEP_1)
	v_dual_add_f32 v34, v40, v34 :: v_dual_add_f32 v35, v41, v35
	v_dual_mul_f32 v40, v49, v33 :: v_dual_mul_f32 v41, v48, v33
	v_dual_fma_f32 v40, v48, v32, -v40 :: v_dual_fmac_f32 v41, v49, v32
	s_delay_alu instid0(VALU_DEP_1) | instskip(SKIP_1) | instid1(VALU_DEP_1)
	v_dual_add_f32 v38, v38, v40 :: v_dual_add_f32 v39, v39, v41
	v_dual_mul_f32 v40, v37, v31 :: v_dual_mul_f32 v31, v36, v31
	v_dual_fma_f32 v40, v36, v30, -v40 :: v_dual_fmac_f32 v31, v37, v30
	s_delay_alu instid0(VALU_DEP_1) | instskip(NEXT) | instid1(VALU_DEP_2)
	v_dual_mul_f32 v30, v37, v33 :: v_dual_add_f32 v26, v26, v40
	v_add_f32_e32 v28, v28, v31
	s_delay_alu instid0(VALU_DEP_2) | instskip(NEXT) | instid1(VALU_DEP_1)
	v_dual_mul_f32 v31, v36, v33 :: v_dual_fma_f32 v30, v36, v32, -v30
	v_dual_fmac_f32 v31, v37, v32 :: v_dual_add_f32 v22, v22, v30
	s_delay_alu instid0(VALU_DEP_1) | instskip(SKIP_3) | instid1(VALU_DEP_1)
	v_add_f32_e32 v24, v24, v31
	ds_load_2addr_b64 v[30:33], v5 offset0:192 offset1:208
	s_wait_dscnt 0x0
	v_dual_mul_f32 v36, v1, v31 :: v_dual_mul_f32 v37, v0, v31
	v_dual_fma_f32 v36, v0, v30, -v36 :: v_dual_fmac_f32 v37, v1, v30
	s_delay_alu instid0(VALU_DEP_1) | instskip(SKIP_1) | instid1(VALU_DEP_1)
	v_dual_add_f32 v34, v34, v36 :: v_dual_add_f32 v35, v35, v37
	v_mul_f32_e32 v36, v1, v33
	v_dual_fma_f32 v36, v0, v32, -v36 :: v_dual_mul_f32 v0, v0, v33
	s_delay_alu instid0(VALU_DEP_1) | instskip(NEXT) | instid1(VALU_DEP_2)
	v_fmac_f32_e32 v0, v1, v32
	v_add_f32_e32 v1, v38, v36
	s_delay_alu instid0(VALU_DEP_2) | instskip(SKIP_3) | instid1(VALU_DEP_1)
	v_add_f32_e32 v0, v39, v0
	ds_load_b128 v[36:39], v29 offset:1072
	s_wait_dscnt 0x0
	v_dual_mul_f32 v40, v37, v31 :: v_dual_mul_f32 v31, v36, v31
	v_dual_fma_f32 v40, v36, v30, -v40 :: v_dual_fmac_f32 v31, v37, v30
	s_delay_alu instid0(VALU_DEP_1) | instskip(NEXT) | instid1(VALU_DEP_2)
	v_dual_mul_f32 v30, v37, v33 :: v_dual_add_f32 v26, v26, v40
	v_add_f32_e32 v28, v28, v31
	ds_load_2addr_b64 v[40:43], v5 offset0:224 offset1:240
	v_dual_mul_f32 v31, v36, v33 :: v_dual_fma_f32 v30, v36, v32, -v30
	s_wait_dscnt 0x0
	s_barrier_signal -1
	s_barrier_wait -1
	s_delay_alu instid0(VALU_DEP_1) | instskip(NEXT) | instid1(VALU_DEP_1)
	v_dual_fmac_f32 v31, v37, v32 :: v_dual_add_f32 v22, v22, v30
	v_dual_add_f32 v24, v24, v31 :: v_dual_mul_f32 v30, v3, v41
	s_delay_alu instid0(VALU_DEP_1) | instskip(NEXT) | instid1(VALU_DEP_1)
	v_dual_mul_f32 v31, v2, v41 :: v_dual_fma_f32 v30, v2, v40, -v30
	v_dual_fmac_f32 v31, v3, v40 :: v_dual_add_f32 v34, v34, v30
	s_delay_alu instid0(VALU_DEP_1) | instskip(SKIP_1) | instid1(VALU_DEP_1)
	v_add_f32_e32 v36, v35, v31
	v_mul_f32_e32 v30, v3, v43
	v_dual_fma_f32 v30, v2, v42, -v30 :: v_dual_mul_f32 v2, v2, v43
	s_delay_alu instid0(VALU_DEP_1) | instskip(NEXT) | instid1(VALU_DEP_1)
	v_fmac_f32_e32 v2, v3, v42
	v_dual_add_f32 v32, v0, v2 :: v_dual_mul_f32 v0, v39, v41
	s_delay_alu instid0(VALU_DEP_3) | instskip(NEXT) | instid1(VALU_DEP_1)
	v_dual_add_f32 v30, v1, v30 :: v_dual_mul_f32 v1, v38, v41
	v_dual_fma_f32 v0, v38, v40, -v0 :: v_dual_fmac_f32 v1, v39, v40
	s_delay_alu instid0(VALU_DEP_1) | instskip(NEXT) | instid1(VALU_DEP_2)
	v_dual_add_f32 v26, v26, v0 :: v_dual_mul_f32 v0, v39, v43
	v_dual_add_f32 v28, v28, v1 :: v_dual_mul_f32 v1, v38, v43
	s_delay_alu instid0(VALU_DEP_1) | instskip(NEXT) | instid1(VALU_DEP_1)
	v_dual_fma_f32 v0, v38, v42, -v0 :: v_dual_fmac_f32 v1, v39, v42
	v_dual_add_f32 v22, v22, v0 :: v_dual_add_f32 v24, v24, v1
	s_cbranch_scc0 .LBB76_13
.LBB76_9:                               ;   Parent Loop BB76_6 Depth=1
                                        ; =>  This Inner Loop Header: Depth=2
	v_dual_mov_b32 v1, 0 :: v_dual_add_nc_u32 v0, s14, v23
	s_delay_alu instid0(VALU_DEP_1) | instskip(SKIP_2) | instid1(SALU_CYCLE_1)
	v_cmp_gt_i32_e32 vcc_lo, s23, v0
	v_mov_b32_e32 v0, 0
	s_and_b32 s26, s0, vcc_lo
	s_and_saveexec_b32 s15, s26
	s_cbranch_execz .LBB76_11
; %bb.10:                               ;   in Loop: Header=BB76_9 Depth=2
	global_load_b64 v[0:1], v[18:19], off
.LBB76_11:                              ;   in Loop: Header=BB76_9 Depth=2
	s_wait_xcnt 0x0
	s_or_b32 exec_lo, exec_lo, s15
	v_dual_mov_b32 v3, 0 :: v_dual_add_nc_u32 v2, s14, v4
	s_wait_loadcnt 0x0
	ds_store_b64 v25, v[0:1]
	v_cmp_gt_i32_e32 vcc_lo, s23, v2
	v_mov_b32_e32 v2, 0
	s_and_b32 s26, vcc_lo, s1
	s_delay_alu instid0(SALU_CYCLE_1)
	s_and_saveexec_b32 s15, s26
	s_cbranch_execz .LBB76_8
; %bb.12:                               ;   in Loop: Header=BB76_9 Depth=2
	global_load_b64 v[2:3], v[20:21], off
	s_branch .LBB76_8
.LBB76_13:                              ;   in Loop: Header=BB76_6 Depth=1
	s_mul_u64 s[14:15], s[24:25], s[8:9]
	s_delay_alu instid0(SALU_CYCLE_1) | instskip(NEXT) | instid1(SALU_CYCLE_1)
	s_lshl_b64 s[14:15], s[14:15], 3
	s_add_nc_u64 s[14:15], s[16:17], s[14:15]
	s_delay_alu instid0(SALU_CYCLE_1)
	v_lshl_add_u64 v[0:1], v[10:11], 3, s[14:15]
	s_and_saveexec_b32 s26, s30
	s_cbranch_execz .LBB76_18
; %bb.14:                               ;   in Loop: Header=BB76_6 Depth=1
	v_mov_b64_e32 v[2:3], s[18:19]
	v_mov_b64_e32 v[18:19], s[6:7]
	s_and_b32 vcc_lo, exec_lo, s29
	s_mov_b32 s27, -1
	s_delay_alu instid0(VALU_DEP_2) | instskip(NEXT) | instid1(VALU_DEP_1)
	v_pk_mul_f32 v[2:3], v[36:37], v[2:3] op_sel_hi:[0,1]
	v_pk_fma_f32 v[20:21], v[34:35], v[18:19], v[2:3] op_sel_hi:[0,1,1]
	v_pk_fma_f32 v[2:3], v[34:35], v[18:19], v[2:3] neg_lo:[0,0,1] neg_hi:[0,0,1]
	v_lshl_add_u64 v[18:19], v[6:7], 3, v[0:1]
	s_delay_alu instid0(VALU_DEP_3)
	v_mov_b32_e32 v3, v21
	s_cbranch_vccz .LBB76_16
; %bb.15:                               ;   in Loop: Header=BB76_6 Depth=1
	global_load_b64 v[20:21], v[18:19], off
	v_mov_b64_e32 v[34:35], s[20:21]
	v_mov_b64_e32 v[36:37], s[2:3]
	s_mov_b32 s27, 0
	s_wait_loadcnt 0x0
	s_delay_alu instid0(VALU_DEP_2) | instskip(NEXT) | instid1(VALU_DEP_1)
	v_pk_mul_f32 v[34:35], v[20:21], v[34:35]
	v_pk_fma_f32 v[38:39], v[20:21], v[36:37], v[34:35] op_sel:[0,0,1] op_sel_hi:[1,1,0]
	v_pk_fma_f32 v[20:21], v[20:21], v[36:37], v[34:35] op_sel:[0,0,1] op_sel_hi:[1,1,0] neg_lo:[0,0,1] neg_hi:[0,0,1]
	s_delay_alu instid0(VALU_DEP_2) | instskip(NEXT) | instid1(VALU_DEP_1)
	v_mov_b32_e32 v21, v39
	v_pk_add_f32 v[20:21], v[2:3], v[20:21]
	global_store_b64 v[18:19], v[20:21], off
.LBB76_16:                              ;   in Loop: Header=BB76_6 Depth=1
	s_and_not1_b32 vcc_lo, exec_lo, s27
	s_cbranch_vccnz .LBB76_18
; %bb.17:                               ;   in Loop: Header=BB76_6 Depth=1
	global_store_b64 v[18:19], v[2:3], off
.LBB76_18:                              ;   in Loop: Header=BB76_6 Depth=1
	s_wait_xcnt 0x0
	s_or_b32 exec_lo, exec_lo, s26
	s_and_saveexec_b32 s26, s31
	s_cbranch_execz .LBB76_23
; %bb.19:                               ;   in Loop: Header=BB76_6 Depth=1
	v_mov_b64_e32 v[2:3], s[18:19]
	v_mov_b64_e32 v[18:19], s[6:7]
	v_lshl_add_u64 v[0:1], v[8:9], 3, v[0:1]
	s_and_not1_b32 vcc_lo, exec_lo, s29
	s_mov_b32 s27, -1
	s_delay_alu instid0(VALU_DEP_3) | instskip(NEXT) | instid1(VALU_DEP_1)
	v_pk_mul_f32 v[2:3], v[32:33], v[2:3] op_sel_hi:[0,1]
	v_pk_fma_f32 v[20:21], v[30:31], v[18:19], v[2:3] op_sel_hi:[0,1,1]
	v_pk_fma_f32 v[2:3], v[30:31], v[18:19], v[2:3] neg_lo:[0,0,1] neg_hi:[0,0,1]
	s_delay_alu instid0(VALU_DEP_2)
	v_mov_b32_e32 v3, v21
	s_cbranch_vccnz .LBB76_21
; %bb.20:                               ;   in Loop: Header=BB76_6 Depth=1
	global_load_b64 v[18:19], v[0:1], off
	v_mov_b64_e32 v[20:21], s[20:21]
	v_mov_b64_e32 v[30:31], s[2:3]
	s_mov_b32 s27, 0
	s_wait_loadcnt 0x0
	s_delay_alu instid0(VALU_DEP_2) | instskip(NEXT) | instid1(VALU_DEP_1)
	v_pk_mul_f32 v[20:21], v[18:19], v[20:21]
	v_pk_fma_f32 v[32:33], v[18:19], v[30:31], v[20:21] op_sel:[0,0,1] op_sel_hi:[1,1,0]
	v_pk_fma_f32 v[18:19], v[18:19], v[30:31], v[20:21] op_sel:[0,0,1] op_sel_hi:[1,1,0] neg_lo:[0,0,1] neg_hi:[0,0,1]
	s_delay_alu instid0(VALU_DEP_2) | instskip(NEXT) | instid1(VALU_DEP_1)
	v_mov_b32_e32 v19, v33
	v_pk_add_f32 v[18:19], v[2:3], v[18:19]
	global_store_b64 v[0:1], v[18:19], off
.LBB76_21:                              ;   in Loop: Header=BB76_6 Depth=1
	s_and_not1_b32 vcc_lo, exec_lo, s27
	s_cbranch_vccnz .LBB76_23
; %bb.22:                               ;   in Loop: Header=BB76_6 Depth=1
	global_store_b64 v[0:1], v[2:3], off
.LBB76_23:                              ;   in Loop: Header=BB76_6 Depth=1
	s_wait_xcnt 0x0
	s_or_b32 exec_lo, exec_lo, s26
	v_lshl_add_u64 v[0:1], v[12:13], 3, s[14:15]
	s_and_saveexec_b32 s14, s22
	s_cbranch_execz .LBB76_28
; %bb.24:                               ;   in Loop: Header=BB76_6 Depth=1
	v_mov_b64_e32 v[2:3], s[18:19]
	v_mov_b64_e32 v[18:19], s[6:7]
	s_and_not1_b32 vcc_lo, exec_lo, s29
	s_mov_b32 s15, -1
	s_delay_alu instid0(VALU_DEP_2) | instskip(NEXT) | instid1(VALU_DEP_1)
	v_pk_mul_f32 v[2:3], v[28:29], v[2:3] op_sel_hi:[0,1]
	v_pk_fma_f32 v[20:21], v[26:27], v[18:19], v[2:3] op_sel_hi:[0,1,1]
	v_pk_fma_f32 v[2:3], v[26:27], v[18:19], v[2:3] neg_lo:[0,0,1] neg_hi:[0,0,1]
	v_lshl_add_u64 v[18:19], v[6:7], 3, v[0:1]
	s_delay_alu instid0(VALU_DEP_3)
	v_mov_b32_e32 v3, v21
	s_cbranch_vccnz .LBB76_26
; %bb.25:                               ;   in Loop: Header=BB76_6 Depth=1
	global_load_b64 v[20:21], v[18:19], off
	v_mov_b64_e32 v[30:31], s[20:21]
	v_mov_b64_e32 v[32:33], s[2:3]
	s_mov_b32 s15, 0
	s_wait_loadcnt 0x0
	s_delay_alu instid0(VALU_DEP_2) | instskip(NEXT) | instid1(VALU_DEP_1)
	v_pk_mul_f32 v[30:31], v[20:21], v[30:31]
	v_pk_fma_f32 v[34:35], v[20:21], v[32:33], v[30:31] op_sel:[0,0,1] op_sel_hi:[1,1,0]
	v_pk_fma_f32 v[20:21], v[20:21], v[32:33], v[30:31] op_sel:[0,0,1] op_sel_hi:[1,1,0] neg_lo:[0,0,1] neg_hi:[0,0,1]
	s_delay_alu instid0(VALU_DEP_2) | instskip(NEXT) | instid1(VALU_DEP_1)
	v_mov_b32_e32 v21, v35
	v_pk_add_f32 v[20:21], v[2:3], v[20:21]
	global_store_b64 v[18:19], v[20:21], off
.LBB76_26:                              ;   in Loop: Header=BB76_6 Depth=1
	s_and_not1_b32 vcc_lo, exec_lo, s15
	s_cbranch_vccnz .LBB76_28
; %bb.27:                               ;   in Loop: Header=BB76_6 Depth=1
	global_store_b64 v[18:19], v[2:3], off
.LBB76_28:                              ;   in Loop: Header=BB76_6 Depth=1
	s_wait_xcnt 0x0
	s_or_b32 exec_lo, exec_lo, s14
	s_and_saveexec_b32 s14, s33
	s_cbranch_execz .LBB76_5
; %bb.29:                               ;   in Loop: Header=BB76_6 Depth=1
	v_mov_b64_e32 v[2:3], s[18:19]
	v_mov_b64_e32 v[18:19], s[6:7]
	v_lshl_add_u64 v[0:1], v[8:9], 3, v[0:1]
	s_and_not1_b32 vcc_lo, exec_lo, s29
	s_mov_b32 s15, -1
	s_delay_alu instid0(VALU_DEP_3) | instskip(NEXT) | instid1(VALU_DEP_1)
	v_pk_mul_f32 v[2:3], v[24:25], v[2:3] op_sel_hi:[0,1]
	v_pk_fma_f32 v[20:21], v[22:23], v[18:19], v[2:3] op_sel_hi:[0,1,1]
	v_pk_fma_f32 v[2:3], v[22:23], v[18:19], v[2:3] neg_lo:[0,0,1] neg_hi:[0,0,1]
	s_delay_alu instid0(VALU_DEP_2)
	v_mov_b32_e32 v3, v21
	s_cbranch_vccnz .LBB76_31
; %bb.30:                               ;   in Loop: Header=BB76_6 Depth=1
	global_load_b64 v[18:19], v[0:1], off
	v_mov_b64_e32 v[20:21], s[20:21]
	v_mov_b64_e32 v[30:31], s[2:3]
	s_mov_b32 s15, 0
	s_wait_loadcnt 0x0
	s_delay_alu instid0(VALU_DEP_2) | instskip(NEXT) | instid1(VALU_DEP_1)
	v_pk_mul_f32 v[20:21], v[18:19], v[20:21]
	v_pk_fma_f32 v[32:33], v[18:19], v[30:31], v[20:21] op_sel:[0,0,1] op_sel_hi:[1,1,0]
	v_pk_fma_f32 v[18:19], v[18:19], v[30:31], v[20:21] op_sel:[0,0,1] op_sel_hi:[1,1,0] neg_lo:[0,0,1] neg_hi:[0,0,1]
	s_delay_alu instid0(VALU_DEP_2) | instskip(NEXT) | instid1(VALU_DEP_1)
	v_mov_b32_e32 v19, v33
	v_pk_add_f32 v[18:19], v[2:3], v[18:19]
	global_store_b64 v[0:1], v[18:19], off
.LBB76_31:                              ;   in Loop: Header=BB76_6 Depth=1
	s_and_not1_b32 vcc_lo, exec_lo, s15
	s_cbranch_vccnz .LBB76_5
; %bb.32:                               ;   in Loop: Header=BB76_6 Depth=1
	global_store_b64 v[0:1], v[2:3], off
	s_branch .LBB76_5
.LBB76_33:
	s_endpgm
	.section	.rodata,"a",@progbits
	.p2align	6, 0x0
	.amdhsa_kernel _ZL29rocblas_internal_gemmt_kernelIiLi16ELi32ELi8ELc84ELc84ELc85ELb0ELb0E19rocblas_complex_numIfEPKS1_S3_PS1_EviT_T9_T10_S5_lS7_S5_lS6_T11_S5_li
		.amdhsa_group_segment_fixed_size 4096
		.amdhsa_private_segment_fixed_size 0
		.amdhsa_kernarg_size 100
		.amdhsa_user_sgpr_count 2
		.amdhsa_user_sgpr_dispatch_ptr 0
		.amdhsa_user_sgpr_queue_ptr 0
		.amdhsa_user_sgpr_kernarg_segment_ptr 1
		.amdhsa_user_sgpr_dispatch_id 0
		.amdhsa_user_sgpr_kernarg_preload_length 0
		.amdhsa_user_sgpr_kernarg_preload_offset 0
		.amdhsa_user_sgpr_private_segment_size 0
		.amdhsa_wavefront_size32 1
		.amdhsa_uses_dynamic_stack 0
		.amdhsa_enable_private_segment 0
		.amdhsa_system_sgpr_workgroup_id_x 1
		.amdhsa_system_sgpr_workgroup_id_y 1
		.amdhsa_system_sgpr_workgroup_id_z 1
		.amdhsa_system_sgpr_workgroup_info 0
		.amdhsa_system_vgpr_workitem_id 1
		.amdhsa_next_free_vgpr 56
		.amdhsa_next_free_sgpr 36
		.amdhsa_named_barrier_count 0
		.amdhsa_reserve_vcc 1
		.amdhsa_float_round_mode_32 0
		.amdhsa_float_round_mode_16_64 0
		.amdhsa_float_denorm_mode_32 3
		.amdhsa_float_denorm_mode_16_64 3
		.amdhsa_fp16_overflow 0
		.amdhsa_memory_ordered 1
		.amdhsa_forward_progress 1
		.amdhsa_inst_pref_size 25
		.amdhsa_round_robin_scheduling 0
		.amdhsa_exception_fp_ieee_invalid_op 0
		.amdhsa_exception_fp_denorm_src 0
		.amdhsa_exception_fp_ieee_div_zero 0
		.amdhsa_exception_fp_ieee_overflow 0
		.amdhsa_exception_fp_ieee_underflow 0
		.amdhsa_exception_fp_ieee_inexact 0
		.amdhsa_exception_int_div_zero 0
	.end_amdhsa_kernel
	.section	.text._ZL29rocblas_internal_gemmt_kernelIiLi16ELi32ELi8ELc84ELc84ELc85ELb0ELb0E19rocblas_complex_numIfEPKS1_S3_PS1_EviT_T9_T10_S5_lS7_S5_lS6_T11_S5_li,"axG",@progbits,_ZL29rocblas_internal_gemmt_kernelIiLi16ELi32ELi8ELc84ELc84ELc85ELb0ELb0E19rocblas_complex_numIfEPKS1_S3_PS1_EviT_T9_T10_S5_lS7_S5_lS6_T11_S5_li,comdat
.Lfunc_end76:
	.size	_ZL29rocblas_internal_gemmt_kernelIiLi16ELi32ELi8ELc84ELc84ELc85ELb0ELb0E19rocblas_complex_numIfEPKS1_S3_PS1_EviT_T9_T10_S5_lS7_S5_lS6_T11_S5_li, .Lfunc_end76-_ZL29rocblas_internal_gemmt_kernelIiLi16ELi32ELi8ELc84ELc84ELc85ELb0ELb0E19rocblas_complex_numIfEPKS1_S3_PS1_EviT_T9_T10_S5_lS7_S5_lS6_T11_S5_li
                                        ; -- End function
	.set _ZL29rocblas_internal_gemmt_kernelIiLi16ELi32ELi8ELc84ELc84ELc85ELb0ELb0E19rocblas_complex_numIfEPKS1_S3_PS1_EviT_T9_T10_S5_lS7_S5_lS6_T11_S5_li.num_vgpr, 56
	.set _ZL29rocblas_internal_gemmt_kernelIiLi16ELi32ELi8ELc84ELc84ELc85ELb0ELb0E19rocblas_complex_numIfEPKS1_S3_PS1_EviT_T9_T10_S5_lS7_S5_lS6_T11_S5_li.num_agpr, 0
	.set _ZL29rocblas_internal_gemmt_kernelIiLi16ELi32ELi8ELc84ELc84ELc85ELb0ELb0E19rocblas_complex_numIfEPKS1_S3_PS1_EviT_T9_T10_S5_lS7_S5_lS6_T11_S5_li.numbered_sgpr, 36
	.set _ZL29rocblas_internal_gemmt_kernelIiLi16ELi32ELi8ELc84ELc84ELc85ELb0ELb0E19rocblas_complex_numIfEPKS1_S3_PS1_EviT_T9_T10_S5_lS7_S5_lS6_T11_S5_li.num_named_barrier, 0
	.set _ZL29rocblas_internal_gemmt_kernelIiLi16ELi32ELi8ELc84ELc84ELc85ELb0ELb0E19rocblas_complex_numIfEPKS1_S3_PS1_EviT_T9_T10_S5_lS7_S5_lS6_T11_S5_li.private_seg_size, 0
	.set _ZL29rocblas_internal_gemmt_kernelIiLi16ELi32ELi8ELc84ELc84ELc85ELb0ELb0E19rocblas_complex_numIfEPKS1_S3_PS1_EviT_T9_T10_S5_lS7_S5_lS6_T11_S5_li.uses_vcc, 1
	.set _ZL29rocblas_internal_gemmt_kernelIiLi16ELi32ELi8ELc84ELc84ELc85ELb0ELb0E19rocblas_complex_numIfEPKS1_S3_PS1_EviT_T9_T10_S5_lS7_S5_lS6_T11_S5_li.uses_flat_scratch, 0
	.set _ZL29rocblas_internal_gemmt_kernelIiLi16ELi32ELi8ELc84ELc84ELc85ELb0ELb0E19rocblas_complex_numIfEPKS1_S3_PS1_EviT_T9_T10_S5_lS7_S5_lS6_T11_S5_li.has_dyn_sized_stack, 0
	.set _ZL29rocblas_internal_gemmt_kernelIiLi16ELi32ELi8ELc84ELc84ELc85ELb0ELb0E19rocblas_complex_numIfEPKS1_S3_PS1_EviT_T9_T10_S5_lS7_S5_lS6_T11_S5_li.has_recursion, 0
	.set _ZL29rocblas_internal_gemmt_kernelIiLi16ELi32ELi8ELc84ELc84ELc85ELb0ELb0E19rocblas_complex_numIfEPKS1_S3_PS1_EviT_T9_T10_S5_lS7_S5_lS6_T11_S5_li.has_indirect_call, 0
	.section	.AMDGPU.csdata,"",@progbits
; Kernel info:
; codeLenInByte = 3184
; TotalNumSgprs: 38
; NumVgprs: 56
; ScratchSize: 0
; MemoryBound: 0
; FloatMode: 240
; IeeeMode: 1
; LDSByteSize: 4096 bytes/workgroup (compile time only)
; SGPRBlocks: 0
; VGPRBlocks: 3
; NumSGPRsForWavesPerEU: 38
; NumVGPRsForWavesPerEU: 56
; NamedBarCnt: 0
; Occupancy: 16
; WaveLimiterHint : 0
; COMPUTE_PGM_RSRC2:SCRATCH_EN: 0
; COMPUTE_PGM_RSRC2:USER_SGPR: 2
; COMPUTE_PGM_RSRC2:TRAP_HANDLER: 0
; COMPUTE_PGM_RSRC2:TGID_X_EN: 1
; COMPUTE_PGM_RSRC2:TGID_Y_EN: 1
; COMPUTE_PGM_RSRC2:TGID_Z_EN: 1
; COMPUTE_PGM_RSRC2:TIDIG_COMP_CNT: 1
	.section	.text._ZL29rocblas_internal_gemmt_kernelIiLi16ELi32ELi8ELc84ELc67ELc85ELb0ELb1E19rocblas_complex_numIfEPKS1_S3_PS1_EviT_T9_T10_S5_lS7_S5_lS6_T11_S5_li,"axG",@progbits,_ZL29rocblas_internal_gemmt_kernelIiLi16ELi32ELi8ELc84ELc67ELc85ELb0ELb1E19rocblas_complex_numIfEPKS1_S3_PS1_EviT_T9_T10_S5_lS7_S5_lS6_T11_S5_li,comdat
	.globl	_ZL29rocblas_internal_gemmt_kernelIiLi16ELi32ELi8ELc84ELc67ELc85ELb0ELb1E19rocblas_complex_numIfEPKS1_S3_PS1_EviT_T9_T10_S5_lS7_S5_lS6_T11_S5_li ; -- Begin function _ZL29rocblas_internal_gemmt_kernelIiLi16ELi32ELi8ELc84ELc67ELc85ELb0ELb1E19rocblas_complex_numIfEPKS1_S3_PS1_EviT_T9_T10_S5_lS7_S5_lS6_T11_S5_li
	.p2align	8
	.type	_ZL29rocblas_internal_gemmt_kernelIiLi16ELi32ELi8ELc84ELc67ELc85ELb0ELb1E19rocblas_complex_numIfEPKS1_S3_PS1_EviT_T9_T10_S5_lS7_S5_lS6_T11_S5_li,@function
_ZL29rocblas_internal_gemmt_kernelIiLi16ELi32ELi8ELc84ELc67ELc85ELb0ELb1E19rocblas_complex_numIfEPKS1_S3_PS1_EviT_T9_T10_S5_lS7_S5_lS6_T11_S5_li: ; @_ZL29rocblas_internal_gemmt_kernelIiLi16ELi32ELi8ELc84ELc67ELc85ELb0ELb1E19rocblas_complex_numIfEPKS1_S3_PS1_EviT_T9_T10_S5_lS7_S5_lS6_T11_S5_li
; %bb.0:
	s_load_b128 s[4:7], s[0:1], 0x38
	s_wait_kmcnt 0x0
	s_load_b64 s[20:21], s[6:7], 0x0
	s_clause 0x1
	s_load_b128 s[8:11], s[0:1], 0x8
	s_load_b64 s[22:23], s[0:1], 0x0
	s_wait_kmcnt 0x0
	s_cmp_neq_f32 s20, 1.0
	s_load_b64 s[6:7], s[8:9], 0x0
	s_cselect_b32 s2, -1, 0
	s_and_b32 s3, s21, 0x7fffffff
	s_delay_alu instid0(SALU_CYCLE_1) | instskip(SKIP_3) | instid1(SALU_CYCLE_1)
	s_cmp_eq_u32 s3, 0
	s_cselect_b32 s29, -1, 0
	s_cmp_lg_u32 s3, 0
	s_cselect_b32 s3, -1, 0
	s_or_b32 s2, s2, s3
	s_delay_alu instid0(SALU_CYCLE_1)
	s_and_b32 vcc_lo, exec_lo, s2
	s_cbranch_vccnz .LBB77_2
; %bb.1:
	s_cmp_lg_u32 s23, 0
	s_cselect_b32 s2, -1, 0
	s_wait_kmcnt 0x0
	s_cmp_neq_f32 s6, 0
	s_cselect_b32 s3, -1, 0
	s_cmp_neq_f32 s7, 0
	s_cselect_b32 s8, -1, 0
	s_delay_alu instid0(SALU_CYCLE_1) | instskip(NEXT) | instid1(SALU_CYCLE_1)
	s_or_b32 s3, s3, s8
	s_and_b32 s2, s2, s3
.LBB77_2:
	s_delay_alu instid0(SALU_CYCLE_1)
	s_and_not1_b32 vcc_lo, exec_lo, s2
	s_cbranch_vccnz .LBB77_35
; %bb.3:
	s_load_b32 s28, s[0:1], 0x60
	s_bfe_u32 s2, ttmp6, 0x40014
	s_lshr_b32 s3, ttmp7, 16
	s_add_co_i32 s2, s2, 1
	s_wait_xcnt 0x0
	s_bfe_u32 s8, ttmp6, 0x40008
	s_mul_i32 s2, s3, s2
	s_getreg_b32 s30, hwreg(HW_REG_IB_STS2, 6, 4)
	s_add_co_i32 s8, s8, s2
	s_cmp_eq_u32 s30, 0
	s_mov_b32 s9, 0
	s_cselect_b32 s8, s3, s8
	s_wait_kmcnt 0x0
	s_cmp_ge_u32 s8, s28
	s_cbranch_scc1 .LBB77_35
; %bb.4:
	s_clause 0x3
	s_load_b32 s2, s[0:1], 0x18
	s_load_b32 s26, s[0:1], 0x30
	s_load_b96 s[16:18], s[0:1], 0x48
	s_load_b128 s[12:15], s[0:1], 0x20
	v_and_b32_e32 v6, 0x3ff, v0
	v_bfe_u32 v8, v0, 10, 10
	s_load_b64 s[24:25], s[0:1], 0x58
	s_wait_xcnt 0x0
	s_bfe_u32 s1, ttmp6, 0x4000c
	s_bfe_u32 s3, ttmp6, 0x40010
	s_and_b32 s31, ttmp7, 0xffff
	v_lshl_add_u32 v1, v8, 4, v6
	s_add_co_i32 s1, s1, 1
	s_add_co_i32 s3, s3, 1
	s_and_b32 s0, ttmp6, 15
	s_bfe_u32 s33, ttmp6, 0x40004
	s_mul_i32 s1, ttmp9, s1
	s_mul_i32 s34, s31, s3
	s_add_co_i32 s0, s0, s1
	s_add_co_i32 s33, s33, s34
	v_dual_lshrrev_b32 v25, 5, v1 :: v_dual_bitop2_b32 v4, 7, v0 bitop3:0x40
	s_wait_kmcnt 0x0
	s_ashr_i32 s3, s2, 31
	s_ashr_i32 s27, s26, 31
	;; [unrolled: 1-line block ×3, first 2 shown]
	v_dual_mov_b32 v7, 0 :: v_dual_lshlrev_b32 v9, 3, v4
	s_cmp_eq_u32 s30, 0
	v_dual_lshrrev_b32 v1, 3, v1 :: v_dual_bitop2_b32 v3, 31, v1 bitop3:0x40
	s_cselect_b32 s0, ttmp9, s0
	s_cselect_b32 s1, s31, s33
	s_lshl_b32 s30, s0, 5
	v_mov_b32_e32 v5, v7
	s_lshl_b32 s1, s1, 5
	s_cmp_neq_f32 s6, 0
	v_dual_add_nc_u32 v2, s1, v1 :: v_dual_bitop2_b32 v0, s30, v3 bitop3:0x54
	v_lshlrev_b32_e32 v3, 3, v3
	v_mul_u64_e32 v[16:17], s[26:27], v[4:5]
	s_cselect_b32 s0, -1, 0
	s_cmp_neq_f32 s7, 0
	v_lshl_or_b32 v9, v1, 6, v9
	v_ashrrev_i32_e32 v1, 31, v0
	v_dual_add_nc_u32 v18, s1, v8 :: v_dual_lshlrev_b32 v29, 3, v6
	s_cselect_b32 s31, -1, 0
	v_lshl_or_b32 v5, v25, 8, v3
	s_or_b32 s33, s0, s31
	v_cmp_gt_i32_e64 s0, s22, v0
	v_ashrrev_i32_e32 v3, 31, v2
	v_mul_u64_e32 v[0:1], s[2:3], v[0:1]
	v_dual_add_nc_u32 v20, 16, v18 :: v_dual_ashrrev_i32 v19, 31, v18
	v_lshl_add_u32 v31, v8, 6, 0x800
	v_add_nc_u32_e32 v8, s30, v6
	v_cmp_gt_i32_e32 vcc_lo, s22, v2
	s_delay_alu instid0(VALU_DEP_4)
	v_ashrrev_i32_e32 v21, 31, v20
	v_mul_u64_e32 v[12:13], s[18:19], v[18:19]
	v_lshlrev_b64_e32 v[2:3], 3, v[2:3]
	v_add_nc_u32_e32 v10, 16, v8
	v_add_nc_u32_e32 v27, 0x800, v9
	v_mul_u64_e32 v[14:15], s[18:19], v[20:21]
	v_dual_ashrrev_i32 v9, 31, v8 :: v_dual_lshlrev_b32 v6, 3, v25
	s_delay_alu instid0(VALU_DEP_4)
	v_ashrrev_i32_e32 v11, 31, v10
	s_cmp_gt_i32 s23, 0
	v_cmp_gt_i32_e64 s1, s22, v18
	s_cselect_b32 s34, -1, 0
	s_cmp_neq_f32 s20, 0
	v_cmp_le_i32_e64 s2, v8, v18
	v_lshl_add_u64 v[2:3], v[16:17], 3, v[2:3]
	v_cmp_le_i32_e64 s3, v10, v18
	s_cselect_b32 s30, -1, 0
	s_xor_b32 s18, s29, -1
	s_and_b32 s33, s33, s34
	v_add_nc_u64_e32 v[2:3], s[14:15], v[2:3]
	s_or_b32 s29, s30, s18
	s_and_b32 s30, s1, s2
	s_and_b32 s31, s1, s3
	v_cmp_gt_i32_e64 s1, s22, v20
	v_cmp_le_i32_e64 s2, v8, v20
	v_cmp_le_i32_e64 s3, v10, v20
	v_lshl_add_u64 v[0:1], v[0:1], 3, v[6:7]
	v_add_nc_u64_e32 v[18:19], 4, v[2:3]
	s_mov_b32 s14, s7
	s_and_b32 s22, s1, s2
	s_and_b32 s1, s1, s3
	v_add_nc_u64_e32 v[16:17], s[10:11], v[0:1]
	s_mov_b32 s2, s20
	s_mov_b32 s3, s20
	s_mov_b32 s20, s21
	s_mov_b32 s15, s6
	s_lshl_b64 s[10:11], s[12:13], 3
	s_lshl_b64 s[4:5], s[4:5], 3
	;; [unrolled: 1-line block ×3, first 2 shown]
	s_xor_b32 s26, vcc_lo, -1
	s_branch .LBB77_6
.LBB77_5:                               ;   in Loop: Header=BB77_6 Depth=1
	s_wait_xcnt 0x0
	s_or_b32 exec_lo, exec_lo, s18
	s_add_co_i32 s8, s8, 0x10000
	s_delay_alu instid0(SALU_CYCLE_1)
	s_cmp_lt_u32 s8, s28
	s_cbranch_scc0 .LBB77_35
.LBB77_6:                               ; =>This Loop Header: Depth=1
                                        ;     Child Loop BB77_9 Depth 2
	v_dual_mov_b32 v34, 0 :: v_dual_mov_b32 v36, 0
	v_dual_mov_b32 v30, 0 :: v_dual_mov_b32 v32, 0
	;; [unrolled: 1-line block ×4, first 2 shown]
	s_and_not1_b32 vcc_lo, exec_lo, s33
	s_cbranch_vccnz .LBB77_15
; %bb.7:                                ;   in Loop: Header=BB77_6 Depth=1
	v_mad_nc_u64_u32 v[20:21], s10, s8, v[16:17]
	v_mad_nc_u64_u32 v[22:23], s4, s8, v[18:19]
	v_dual_mov_b32 v24, 0 :: v_dual_mov_b32 v6, 0
	v_dual_mov_b32 v28, 0 :: v_dual_mov_b32 v26, 0
	v_dual_mov_b32 v32, 0 :: v_dual_mov_b32 v30, 0
	v_dual_mov_b32 v36, 0 :: v_dual_mov_b32 v34, 0
	s_mov_b32 s18, 0
	v_mad_u32 v21, s11, s8, v21
	v_mad_u32 v23, s5, s8, v23
	s_branch .LBB77_9
.LBB77_8:                               ;   in Loop: Header=BB77_9 Depth=2
	s_wait_xcnt 0x0
	s_or_b32 exec_lo, exec_lo, s19
	ds_store_b32 v27, v0 offset:4
	s_wait_dscnt 0x0
	s_barrier_signal -1
	s_barrier_wait -1
	ds_load_b128 v[38:41], v31
	ds_load_b128 v[42:45], v31 offset:16
	ds_load_b128 v[46:49], v31 offset:32
	;; [unrolled: 1-line block ×3, first 2 shown]
	ds_load_2addr_b64 v[50:53], v29 offset1:16
	v_add_nc_u64_e32 v[20:21], 64, v[20:21]
	v_add_nc_u64_e32 v[22:23], s[12:13], v[22:23]
	s_add_co_i32 s18, s18, 8
	s_delay_alu instid0(SALU_CYCLE_1) | instskip(SKIP_2) | instid1(VALU_DEP_1)
	s_cmp_lt_i32 s18, s23
	s_wait_dscnt 0x0
	v_dual_mul_f32 v33, v39, v51 :: v_dual_mul_f32 v35, v38, v51
	v_dual_fma_f32 v33, v38, v50, -v33 :: v_dual_fmac_f32 v35, v39, v50
	s_delay_alu instid0(VALU_DEP_1) | instskip(SKIP_1) | instid1(VALU_DEP_1)
	v_dual_add_f32 v54, v34, v33 :: v_dual_add_f32 v55, v36, v35
	v_dual_mul_f32 v33, v39, v53 :: v_dual_mul_f32 v34, v38, v53
	v_dual_fma_f32 v33, v38, v52, -v33 :: v_dual_fmac_f32 v34, v39, v52
	s_delay_alu instid0(VALU_DEP_1) | instskip(SKIP_3) | instid1(VALU_DEP_1)
	v_dual_add_f32 v30, v30, v33 :: v_dual_add_f32 v56, v32, v34
	ds_load_b128 v[32:35], v31 offset:1024
	s_wait_dscnt 0x0
	v_dual_mul_f32 v36, v33, v51 :: v_dual_mul_f32 v37, v32, v51
	v_dual_fma_f32 v36, v32, v50, -v36 :: v_dual_fmac_f32 v37, v33, v50
	s_delay_alu instid0(VALU_DEP_1) | instskip(SKIP_1) | instid1(VALU_DEP_1)
	v_dual_add_f32 v26, v26, v36 :: v_dual_add_f32 v28, v28, v37
	v_mul_f32_e32 v36, v33, v53
	v_dual_fma_f32 v36, v32, v52, -v36 :: v_dual_mul_f32 v32, v32, v53
	s_delay_alu instid0(VALU_DEP_1) | instskip(SKIP_3) | instid1(VALU_DEP_1)
	v_add_f32_e32 v6, v6, v36
	ds_load_2addr_b64 v[36:39], v29 offset0:32 offset1:48
	s_wait_dscnt 0x0
	v_dual_fmac_f32 v32, v33, v52 :: v_dual_mul_f32 v33, v40, v37
	v_dual_add_f32 v24, v24, v32 :: v_dual_mul_f32 v32, v41, v37
	s_delay_alu instid0(VALU_DEP_1) | instskip(NEXT) | instid1(VALU_DEP_1)
	v_dual_fmac_f32 v33, v41, v36 :: v_dual_fma_f32 v32, v40, v36, -v32
	v_dual_add_f32 v50, v54, v32 :: v_dual_mul_f32 v32, v41, v39
	s_delay_alu instid0(VALU_DEP_1) | instskip(NEXT) | instid1(VALU_DEP_1)
	v_dual_add_f32 v51, v55, v33 :: v_dual_fma_f32 v32, v40, v38, -v32
	v_dual_mul_f32 v33, v40, v39 :: v_dual_add_f32 v30, v30, v32
	s_delay_alu instid0(VALU_DEP_1) | instskip(NEXT) | instid1(VALU_DEP_1)
	v_dual_fmac_f32 v33, v41, v38 :: v_dual_mul_f32 v32, v35, v37
	v_dual_add_f32 v40, v56, v33 :: v_dual_fma_f32 v32, v34, v36, -v32
	v_mul_f32_e32 v33, v34, v37
	s_delay_alu instid0(VALU_DEP_2) | instskip(NEXT) | instid1(VALU_DEP_1)
	v_dual_add_f32 v26, v26, v32 :: v_dual_mul_f32 v32, v35, v39
	v_dual_fmac_f32 v33, v35, v36 :: v_dual_fma_f32 v32, v34, v38, -v32
	s_delay_alu instid0(VALU_DEP_1) | instskip(NEXT) | instid1(VALU_DEP_1)
	v_dual_add_f32 v28, v28, v33 :: v_dual_mul_f32 v33, v34, v39
	v_dual_add_f32 v6, v6, v32 :: v_dual_fmac_f32 v33, v35, v38
	s_delay_alu instid0(VALU_DEP_1) | instskip(SKIP_3) | instid1(VALU_DEP_1)
	v_add_f32_e32 v24, v24, v33
	ds_load_2addr_b64 v[32:35], v29 offset0:64 offset1:80
	s_wait_dscnt 0x0
	v_dual_mul_f32 v36, v43, v33 :: v_dual_mul_f32 v37, v42, v33
	v_dual_fma_f32 v36, v42, v32, -v36 :: v_dual_fmac_f32 v37, v43, v32
	s_delay_alu instid0(VALU_DEP_1) | instskip(SKIP_1) | instid1(VALU_DEP_1)
	v_dual_add_f32 v41, v50, v36 :: v_dual_add_f32 v50, v51, v37
	v_dual_mul_f32 v36, v43, v35 :: v_dual_mul_f32 v37, v42, v35
	v_dual_fma_f32 v36, v42, v34, -v36 :: v_dual_fmac_f32 v37, v43, v34
	s_delay_alu instid0(VALU_DEP_1) | instskip(SKIP_3) | instid1(VALU_DEP_1)
	v_dual_add_f32 v30, v30, v36 :: v_dual_add_f32 v40, v40, v37
	ds_load_b128 v[36:39], v31 offset:1040
	s_wait_dscnt 0x0
	v_dual_mul_f32 v42, v37, v33 :: v_dual_mul_f32 v33, v36, v33
	v_dual_fma_f32 v42, v36, v32, -v42 :: v_dual_fmac_f32 v33, v37, v32
	s_delay_alu instid0(VALU_DEP_1) | instskip(NEXT) | instid1(VALU_DEP_2)
	v_dual_mul_f32 v32, v37, v35 :: v_dual_add_f32 v26, v26, v42
	v_add_f32_e32 v28, v28, v33
	s_delay_alu instid0(VALU_DEP_2) | instskip(NEXT) | instid1(VALU_DEP_1)
	v_dual_mul_f32 v33, v36, v35 :: v_dual_fma_f32 v32, v36, v34, -v32
	v_dual_fmac_f32 v33, v37, v34 :: v_dual_add_f32 v6, v6, v32
	s_delay_alu instid0(VALU_DEP_1) | instskip(SKIP_3) | instid1(VALU_DEP_1)
	v_add_f32_e32 v24, v24, v33
	ds_load_2addr_b64 v[32:35], v29 offset0:96 offset1:112
	s_wait_dscnt 0x0
	v_dual_mul_f32 v36, v45, v33 :: v_dual_mul_f32 v37, v44, v33
	v_dual_mul_f32 v42, v44, v35 :: v_dual_fma_f32 v36, v44, v32, -v36
	s_delay_alu instid0(VALU_DEP_1) | instskip(NEXT) | instid1(VALU_DEP_1)
	v_dual_fmac_f32 v37, v45, v32 :: v_dual_fmac_f32 v42, v45, v34
	v_dual_add_f32 v36, v41, v36 :: v_dual_add_f32 v37, v50, v37
	s_delay_alu instid0(VALU_DEP_2) | instskip(NEXT) | instid1(VALU_DEP_1)
	v_dual_mul_f32 v41, v45, v35 :: v_dual_add_f32 v40, v40, v42
	v_fma_f32 v41, v44, v34, -v41
	s_delay_alu instid0(VALU_DEP_1) | instskip(SKIP_1) | instid1(VALU_DEP_1)
	v_add_f32_e32 v30, v30, v41
	v_dual_mul_f32 v41, v39, v33 :: v_dual_mul_f32 v33, v38, v33
	v_fmac_f32_e32 v33, v39, v32
	s_delay_alu instid0(VALU_DEP_2) | instskip(NEXT) | instid1(VALU_DEP_2)
	v_dual_fma_f32 v41, v38, v32, -v41 :: v_dual_mul_f32 v32, v39, v35
	v_dual_add_f32 v28, v28, v33 :: v_dual_mul_f32 v33, v38, v35
	s_delay_alu instid0(VALU_DEP_2) | instskip(NEXT) | instid1(VALU_DEP_2)
	v_fma_f32 v32, v38, v34, -v32
	v_dual_add_f32 v26, v26, v41 :: v_dual_fmac_f32 v33, v39, v34
	s_delay_alu instid0(VALU_DEP_1) | instskip(SKIP_3) | instid1(VALU_DEP_1)
	v_dual_add_f32 v6, v6, v32 :: v_dual_add_f32 v24, v24, v33
	ds_load_2addr_b64 v[32:35], v29 offset0:128 offset1:144
	s_wait_dscnt 0x0
	v_dual_mul_f32 v38, v47, v33 :: v_dual_mul_f32 v39, v46, v33
	v_dual_fma_f32 v38, v46, v32, -v38 :: v_dual_fmac_f32 v39, v47, v32
	s_delay_alu instid0(VALU_DEP_1) | instskip(SKIP_1) | instid1(VALU_DEP_1)
	v_dual_add_f32 v41, v36, v38 :: v_dual_add_f32 v42, v37, v39
	v_dual_mul_f32 v36, v47, v35 :: v_dual_mul_f32 v37, v46, v35
	v_dual_fma_f32 v36, v46, v34, -v36 :: v_dual_fmac_f32 v37, v47, v34
	s_delay_alu instid0(VALU_DEP_1) | instskip(SKIP_3) | instid1(VALU_DEP_1)
	v_dual_add_f32 v30, v30, v36 :: v_dual_add_f32 v40, v40, v37
	ds_load_b128 v[36:39], v31 offset:1056
	s_wait_dscnt 0x0
	v_dual_mul_f32 v43, v37, v33 :: v_dual_mul_f32 v33, v36, v33
	v_dual_fma_f32 v43, v36, v32, -v43 :: v_dual_fmac_f32 v33, v37, v32
	v_mul_f32_e32 v32, v37, v35
	s_delay_alu instid0(VALU_DEP_2) | instskip(NEXT) | instid1(VALU_DEP_2)
	v_dual_add_f32 v26, v26, v43 :: v_dual_add_f32 v28, v28, v33
	v_dual_mul_f32 v33, v36, v35 :: v_dual_fma_f32 v32, v36, v34, -v32
	s_delay_alu instid0(VALU_DEP_1) | instskip(NEXT) | instid1(VALU_DEP_1)
	v_dual_fmac_f32 v33, v37, v34 :: v_dual_add_f32 v6, v6, v32
	v_add_f32_e32 v24, v24, v33
	ds_load_2addr_b64 v[32:35], v29 offset0:160 offset1:176
	s_wait_dscnt 0x0
	v_dual_mul_f32 v36, v49, v33 :: v_dual_mul_f32 v37, v48, v33
	s_delay_alu instid0(VALU_DEP_1) | instskip(NEXT) | instid1(VALU_DEP_1)
	v_dual_fma_f32 v36, v48, v32, -v36 :: v_dual_fmac_f32 v37, v49, v32
	v_dual_add_f32 v36, v41, v36 :: v_dual_add_f32 v37, v42, v37
	v_dual_mul_f32 v41, v49, v35 :: v_dual_mul_f32 v42, v48, v35
	s_delay_alu instid0(VALU_DEP_1) | instskip(NEXT) | instid1(VALU_DEP_1)
	v_dual_fma_f32 v41, v48, v34, -v41 :: v_dual_fmac_f32 v42, v49, v34
	v_dual_add_f32 v30, v30, v41 :: v_dual_add_f32 v40, v40, v42
	v_dual_mul_f32 v41, v39, v33 :: v_dual_mul_f32 v33, v38, v33
	s_delay_alu instid0(VALU_DEP_1) | instskip(NEXT) | instid1(VALU_DEP_2)
	v_fmac_f32_e32 v33, v39, v32
	v_dual_fma_f32 v41, v38, v32, -v41 :: v_dual_mul_f32 v32, v39, v35
	s_delay_alu instid0(VALU_DEP_2) | instskip(NEXT) | instid1(VALU_DEP_2)
	v_dual_add_f32 v28, v28, v33 :: v_dual_mul_f32 v33, v38, v35
	v_fma_f32 v32, v38, v34, -v32
	s_delay_alu instid0(VALU_DEP_2) | instskip(NEXT) | instid1(VALU_DEP_1)
	v_dual_add_f32 v26, v26, v41 :: v_dual_fmac_f32 v33, v39, v34
	v_dual_add_f32 v6, v6, v32 :: v_dual_add_f32 v24, v24, v33
	ds_load_2addr_b64 v[32:35], v29 offset0:192 offset1:208
	s_wait_dscnt 0x0
	v_dual_mul_f32 v38, v1, v33 :: v_dual_mul_f32 v39, v0, v33
	s_delay_alu instid0(VALU_DEP_1) | instskip(NEXT) | instid1(VALU_DEP_1)
	v_dual_fma_f32 v38, v0, v32, -v38 :: v_dual_fmac_f32 v39, v1, v32
	v_dual_add_f32 v44, v36, v38 :: v_dual_add_f32 v45, v37, v39
	v_mul_f32_e32 v36, v1, v35
	s_delay_alu instid0(VALU_DEP_1) | instskip(NEXT) | instid1(VALU_DEP_1)
	v_dual_fma_f32 v36, v0, v34, -v36 :: v_dual_mul_f32 v0, v0, v35
	v_dual_fmac_f32 v0, v1, v34 :: v_dual_add_f32 v1, v30, v36
	ds_load_b128 v[36:39], v31 offset:1072
	s_wait_dscnt 0x0
	v_dual_mul_f32 v30, v37, v33 :: v_dual_mul_f32 v33, v36, v33
	s_delay_alu instid0(VALU_DEP_1)
	v_fma_f32 v30, v36, v32, -v30
	v_add_f32_e32 v0, v40, v0
	ds_load_2addr_b64 v[40:43], v29 offset0:224 offset1:240
	v_dual_fmac_f32 v33, v37, v32 :: v_dual_mul_f32 v32, v36, v35
	v_dual_add_f32 v26, v26, v30 :: v_dual_mul_f32 v30, v37, v35
	s_wait_dscnt 0x0
	s_delay_alu instid0(VALU_DEP_2) | instskip(SKIP_1) | instid1(VALU_DEP_2)
	v_dual_add_f32 v28, v28, v33 :: v_dual_fmac_f32 v32, v37, v34
	s_barrier_signal -1
	v_fma_f32 v30, v36, v34, -v30
	s_barrier_wait -1
	s_delay_alu instid0(VALU_DEP_1) | instskip(SKIP_1) | instid1(VALU_DEP_1)
	v_dual_add_f32 v24, v24, v32 :: v_dual_add_f32 v6, v6, v30
	v_dual_mul_f32 v30, v3, v41 :: v_dual_mul_f32 v32, v2, v41
	v_dual_fma_f32 v30, v2, v40, -v30 :: v_dual_fmac_f32 v32, v3, v40
	s_delay_alu instid0(VALU_DEP_1) | instskip(SKIP_1) | instid1(VALU_DEP_1)
	v_dual_add_f32 v34, v44, v30 :: v_dual_add_f32 v36, v45, v32
	v_mul_f32_e32 v30, v3, v43
	v_dual_fma_f32 v30, v2, v42, -v30 :: v_dual_mul_f32 v2, v2, v43
	s_delay_alu instid0(VALU_DEP_1) | instskip(NEXT) | instid1(VALU_DEP_1)
	v_fmac_f32_e32 v2, v3, v42
	v_dual_add_f32 v32, v0, v2 :: v_dual_mul_f32 v0, v39, v41
	s_delay_alu instid0(VALU_DEP_3) | instskip(NEXT) | instid1(VALU_DEP_1)
	v_dual_add_f32 v30, v1, v30 :: v_dual_mul_f32 v1, v38, v41
	v_dual_fma_f32 v0, v38, v40, -v0 :: v_dual_fmac_f32 v1, v39, v40
	s_delay_alu instid0(VALU_DEP_1) | instskip(NEXT) | instid1(VALU_DEP_2)
	v_dual_add_f32 v26, v26, v0 :: v_dual_mul_f32 v0, v39, v43
	v_dual_add_f32 v28, v28, v1 :: v_dual_mul_f32 v1, v38, v43
	s_delay_alu instid0(VALU_DEP_1) | instskip(NEXT) | instid1(VALU_DEP_1)
	v_dual_fma_f32 v0, v38, v42, -v0 :: v_dual_fmac_f32 v1, v39, v42
	v_dual_add_f32 v6, v6, v0 :: v_dual_add_f32 v24, v24, v1
	s_cbranch_scc0 .LBB77_15
.LBB77_9:                               ;   Parent Loop BB77_6 Depth=1
                                        ; =>  This Inner Loop Header: Depth=2
	v_dual_mov_b32 v1, 0 :: v_dual_add_nc_u32 v0, s18, v25
	s_delay_alu instid0(VALU_DEP_1) | instskip(SKIP_2) | instid1(SALU_CYCLE_1)
	v_cmp_gt_i32_e32 vcc_lo, s23, v0
	v_mov_b32_e32 v0, 0
	s_and_b32 s27, s0, vcc_lo
	s_and_saveexec_b32 s19, s27
	s_cbranch_execz .LBB77_11
; %bb.10:                               ;   in Loop: Header=BB77_9 Depth=2
	global_load_b64 v[0:1], v[20:21], off
.LBB77_11:                              ;   in Loop: Header=BB77_9 Depth=2
	s_wait_xcnt 0x0
	s_or_b32 exec_lo, exec_lo, s19
	v_add_nc_u32_e32 v2, s18, v4
	s_wait_loadcnt 0x0
	ds_store_b64 v5, v[0:1]
	v_cmp_le_i32_e32 vcc_lo, s23, v2
	s_or_b32 s19, vcc_lo, s26
	s_delay_alu instid0(SALU_CYCLE_1) | instskip(NEXT) | instid1(SALU_CYCLE_1)
	s_and_saveexec_b32 s27, s19
	s_xor_b32 s19, exec_lo, s27
; %bb.12:                               ;   in Loop: Header=BB77_9 Depth=2
	ds_store_b32 v27, v7
; %bb.13:                               ;   in Loop: Header=BB77_9 Depth=2
	s_or_saveexec_b32 s19, s19
	v_mov_b32_e32 v0, 0
	s_xor_b32 exec_lo, exec_lo, s19
	s_cbranch_execz .LBB77_8
; %bb.14:                               ;   in Loop: Header=BB77_9 Depth=2
	global_load_b64 v[2:3], v[22:23], off offset:-4
	s_wait_loadcnt 0x0
	v_xor_b32_e32 v0, 0x80000000, v3
	ds_store_b32 v27, v2
	s_branch .LBB77_8
.LBB77_15:                              ;   in Loop: Header=BB77_6 Depth=1
	s_mul_u64 s[18:19], s[24:25], s[8:9]
	s_delay_alu instid0(SALU_CYCLE_1) | instskip(NEXT) | instid1(SALU_CYCLE_1)
	s_lshl_b64 s[18:19], s[18:19], 3
	s_add_nc_u64 s[18:19], s[16:17], s[18:19]
	s_delay_alu instid0(SALU_CYCLE_1)
	v_lshl_add_u64 v[0:1], v[12:13], 3, s[18:19]
	s_and_saveexec_b32 s27, s30
	s_cbranch_execz .LBB77_20
; %bb.16:                               ;   in Loop: Header=BB77_6 Depth=1
	v_mov_b64_e32 v[2:3], s[14:15]
	v_mov_b64_e32 v[20:21], s[6:7]
	s_and_b32 vcc_lo, exec_lo, s29
	s_mov_b32 s34, -1
	s_delay_alu instid0(VALU_DEP_2) | instskip(NEXT) | instid1(VALU_DEP_1)
	v_pk_mul_f32 v[2:3], v[36:37], v[2:3] op_sel_hi:[0,1]
	v_pk_fma_f32 v[22:23], v[34:35], v[20:21], v[2:3] op_sel_hi:[0,1,1]
	v_pk_fma_f32 v[2:3], v[34:35], v[20:21], v[2:3] neg_lo:[0,0,1] neg_hi:[0,0,1]
	v_lshl_add_u64 v[20:21], v[8:9], 3, v[0:1]
	s_delay_alu instid0(VALU_DEP_3)
	v_mov_b32_e32 v3, v23
	s_cbranch_vccz .LBB77_18
; %bb.17:                               ;   in Loop: Header=BB77_6 Depth=1
	global_load_b64 v[22:23], v[20:21], off
	v_mov_b64_e32 v[34:35], s[20:21]
	v_mov_b64_e32 v[36:37], s[2:3]
	s_mov_b32 s34, 0
	s_wait_loadcnt 0x0
	s_delay_alu instid0(VALU_DEP_2) | instskip(NEXT) | instid1(VALU_DEP_1)
	v_pk_mul_f32 v[34:35], v[22:23], v[34:35]
	v_pk_fma_f32 v[38:39], v[22:23], v[36:37], v[34:35] op_sel:[0,0,1] op_sel_hi:[1,1,0]
	v_pk_fma_f32 v[22:23], v[22:23], v[36:37], v[34:35] op_sel:[0,0,1] op_sel_hi:[1,1,0] neg_lo:[0,0,1] neg_hi:[0,0,1]
	s_delay_alu instid0(VALU_DEP_2) | instskip(NEXT) | instid1(VALU_DEP_1)
	v_mov_b32_e32 v23, v39
	v_pk_add_f32 v[22:23], v[2:3], v[22:23]
	global_store_b64 v[20:21], v[22:23], off
.LBB77_18:                              ;   in Loop: Header=BB77_6 Depth=1
	s_and_not1_b32 vcc_lo, exec_lo, s34
	s_cbranch_vccnz .LBB77_20
; %bb.19:                               ;   in Loop: Header=BB77_6 Depth=1
	global_store_b64 v[20:21], v[2:3], off
.LBB77_20:                              ;   in Loop: Header=BB77_6 Depth=1
	s_wait_xcnt 0x0
	s_or_b32 exec_lo, exec_lo, s27
	s_and_saveexec_b32 s27, s31
	s_cbranch_execz .LBB77_25
; %bb.21:                               ;   in Loop: Header=BB77_6 Depth=1
	v_mov_b64_e32 v[2:3], s[14:15]
	v_mov_b64_e32 v[20:21], s[6:7]
	v_lshl_add_u64 v[0:1], v[10:11], 3, v[0:1]
	s_and_not1_b32 vcc_lo, exec_lo, s29
	s_mov_b32 s34, -1
	s_delay_alu instid0(VALU_DEP_3) | instskip(NEXT) | instid1(VALU_DEP_1)
	v_pk_mul_f32 v[2:3], v[32:33], v[2:3] op_sel_hi:[0,1]
	v_pk_fma_f32 v[22:23], v[30:31], v[20:21], v[2:3] op_sel_hi:[0,1,1]
	v_pk_fma_f32 v[2:3], v[30:31], v[20:21], v[2:3] neg_lo:[0,0,1] neg_hi:[0,0,1]
	s_delay_alu instid0(VALU_DEP_2)
	v_mov_b32_e32 v3, v23
	s_cbranch_vccnz .LBB77_23
; %bb.22:                               ;   in Loop: Header=BB77_6 Depth=1
	global_load_b64 v[20:21], v[0:1], off
	v_mov_b64_e32 v[22:23], s[20:21]
	v_mov_b64_e32 v[32:33], s[2:3]
	s_mov_b32 s34, 0
	s_wait_loadcnt 0x0
	s_delay_alu instid0(VALU_DEP_2) | instskip(NEXT) | instid1(VALU_DEP_1)
	v_pk_mul_f32 v[22:23], v[20:21], v[22:23]
	v_pk_fma_f32 v[34:35], v[20:21], v[32:33], v[22:23] op_sel:[0,0,1] op_sel_hi:[1,1,0]
	v_pk_fma_f32 v[20:21], v[20:21], v[32:33], v[22:23] op_sel:[0,0,1] op_sel_hi:[1,1,0] neg_lo:[0,0,1] neg_hi:[0,0,1]
	s_delay_alu instid0(VALU_DEP_2) | instskip(NEXT) | instid1(VALU_DEP_1)
	v_mov_b32_e32 v21, v35
	v_pk_add_f32 v[20:21], v[2:3], v[20:21]
	global_store_b64 v[0:1], v[20:21], off
.LBB77_23:                              ;   in Loop: Header=BB77_6 Depth=1
	s_and_not1_b32 vcc_lo, exec_lo, s34
	s_cbranch_vccnz .LBB77_25
; %bb.24:                               ;   in Loop: Header=BB77_6 Depth=1
	global_store_b64 v[0:1], v[2:3], off
.LBB77_25:                              ;   in Loop: Header=BB77_6 Depth=1
	s_wait_xcnt 0x0
	s_or_b32 exec_lo, exec_lo, s27
	v_lshl_add_u64 v[0:1], v[14:15], 3, s[18:19]
	s_and_saveexec_b32 s18, s22
	s_cbranch_execz .LBB77_30
; %bb.26:                               ;   in Loop: Header=BB77_6 Depth=1
	v_mov_b64_e32 v[2:3], s[14:15]
	v_mov_b64_e32 v[20:21], s[6:7]
	s_and_not1_b32 vcc_lo, exec_lo, s29
	s_mov_b32 s19, -1
	s_delay_alu instid0(VALU_DEP_2) | instskip(NEXT) | instid1(VALU_DEP_1)
	v_pk_mul_f32 v[2:3], v[28:29], v[2:3] op_sel_hi:[0,1]
	v_pk_fma_f32 v[22:23], v[26:27], v[20:21], v[2:3] op_sel_hi:[0,1,1]
	v_pk_fma_f32 v[2:3], v[26:27], v[20:21], v[2:3] neg_lo:[0,0,1] neg_hi:[0,0,1]
	v_lshl_add_u64 v[20:21], v[8:9], 3, v[0:1]
	s_delay_alu instid0(VALU_DEP_3)
	v_mov_b32_e32 v3, v23
	s_cbranch_vccnz .LBB77_28
; %bb.27:                               ;   in Loop: Header=BB77_6 Depth=1
	global_load_b64 v[22:23], v[20:21], off
	v_mov_b64_e32 v[32:33], s[20:21]
	v_mov_b64_e32 v[34:35], s[2:3]
	s_mov_b32 s19, 0
	s_wait_loadcnt 0x0
	s_delay_alu instid0(VALU_DEP_2) | instskip(NEXT) | instid1(VALU_DEP_1)
	v_pk_mul_f32 v[32:33], v[22:23], v[32:33]
	v_pk_fma_f32 v[36:37], v[22:23], v[34:35], v[32:33] op_sel:[0,0,1] op_sel_hi:[1,1,0]
	v_pk_fma_f32 v[22:23], v[22:23], v[34:35], v[32:33] op_sel:[0,0,1] op_sel_hi:[1,1,0] neg_lo:[0,0,1] neg_hi:[0,0,1]
	s_delay_alu instid0(VALU_DEP_2) | instskip(NEXT) | instid1(VALU_DEP_1)
	v_mov_b32_e32 v23, v37
	v_pk_add_f32 v[22:23], v[2:3], v[22:23]
	global_store_b64 v[20:21], v[22:23], off
.LBB77_28:                              ;   in Loop: Header=BB77_6 Depth=1
	s_and_not1_b32 vcc_lo, exec_lo, s19
	s_cbranch_vccnz .LBB77_30
; %bb.29:                               ;   in Loop: Header=BB77_6 Depth=1
	global_store_b64 v[20:21], v[2:3], off
.LBB77_30:                              ;   in Loop: Header=BB77_6 Depth=1
	s_wait_xcnt 0x0
	s_or_b32 exec_lo, exec_lo, s18
	s_and_saveexec_b32 s18, s1
	s_cbranch_execz .LBB77_5
; %bb.31:                               ;   in Loop: Header=BB77_6 Depth=1
	v_mov_b64_e32 v[2:3], s[14:15]
	v_mov_b64_e32 v[20:21], s[6:7]
	v_lshl_add_u64 v[0:1], v[10:11], 3, v[0:1]
	s_and_not1_b32 vcc_lo, exec_lo, s29
	s_mov_b32 s19, -1
	s_delay_alu instid0(VALU_DEP_3) | instskip(NEXT) | instid1(VALU_DEP_1)
	v_pk_mul_f32 v[2:3], v[24:25], v[2:3] op_sel_hi:[0,1]
	v_pk_fma_f32 v[22:23], v[6:7], v[20:21], v[2:3] op_sel_hi:[0,1,1]
	v_pk_fma_f32 v[2:3], v[6:7], v[20:21], v[2:3] neg_lo:[0,0,1] neg_hi:[0,0,1]
	s_delay_alu instid0(VALU_DEP_2)
	v_mov_b32_e32 v3, v23
	s_cbranch_vccnz .LBB77_33
; %bb.32:                               ;   in Loop: Header=BB77_6 Depth=1
	global_load_b64 v[20:21], v[0:1], off
	v_mov_b64_e32 v[22:23], s[20:21]
	v_mov_b64_e32 v[32:33], s[2:3]
	s_mov_b32 s19, 0
	s_wait_loadcnt 0x0
	s_delay_alu instid0(VALU_DEP_2) | instskip(NEXT) | instid1(VALU_DEP_1)
	v_pk_mul_f32 v[22:23], v[20:21], v[22:23]
	v_pk_fma_f32 v[34:35], v[20:21], v[32:33], v[22:23] op_sel:[0,0,1] op_sel_hi:[1,1,0]
	v_pk_fma_f32 v[20:21], v[20:21], v[32:33], v[22:23] op_sel:[0,0,1] op_sel_hi:[1,1,0] neg_lo:[0,0,1] neg_hi:[0,0,1]
	s_delay_alu instid0(VALU_DEP_2) | instskip(NEXT) | instid1(VALU_DEP_1)
	v_mov_b32_e32 v21, v35
	v_pk_add_f32 v[20:21], v[2:3], v[20:21]
	global_store_b64 v[0:1], v[20:21], off
.LBB77_33:                              ;   in Loop: Header=BB77_6 Depth=1
	s_and_not1_b32 vcc_lo, exec_lo, s19
	s_cbranch_vccnz .LBB77_5
; %bb.34:                               ;   in Loop: Header=BB77_6 Depth=1
	global_store_b64 v[0:1], v[2:3], off
	s_branch .LBB77_5
.LBB77_35:
	s_endpgm
	.section	.rodata,"a",@progbits
	.p2align	6, 0x0
	.amdhsa_kernel _ZL29rocblas_internal_gemmt_kernelIiLi16ELi32ELi8ELc84ELc67ELc85ELb0ELb1E19rocblas_complex_numIfEPKS1_S3_PS1_EviT_T9_T10_S5_lS7_S5_lS6_T11_S5_li
		.amdhsa_group_segment_fixed_size 4096
		.amdhsa_private_segment_fixed_size 0
		.amdhsa_kernarg_size 100
		.amdhsa_user_sgpr_count 2
		.amdhsa_user_sgpr_dispatch_ptr 0
		.amdhsa_user_sgpr_queue_ptr 0
		.amdhsa_user_sgpr_kernarg_segment_ptr 1
		.amdhsa_user_sgpr_dispatch_id 0
		.amdhsa_user_sgpr_kernarg_preload_length 0
		.amdhsa_user_sgpr_kernarg_preload_offset 0
		.amdhsa_user_sgpr_private_segment_size 0
		.amdhsa_wavefront_size32 1
		.amdhsa_uses_dynamic_stack 0
		.amdhsa_enable_private_segment 0
		.amdhsa_system_sgpr_workgroup_id_x 1
		.amdhsa_system_sgpr_workgroup_id_y 1
		.amdhsa_system_sgpr_workgroup_id_z 1
		.amdhsa_system_sgpr_workgroup_info 0
		.amdhsa_system_vgpr_workitem_id 1
		.amdhsa_next_free_vgpr 57
		.amdhsa_next_free_sgpr 35
		.amdhsa_named_barrier_count 0
		.amdhsa_reserve_vcc 1
		.amdhsa_float_round_mode_32 0
		.amdhsa_float_round_mode_16_64 0
		.amdhsa_float_denorm_mode_32 3
		.amdhsa_float_denorm_mode_16_64 3
		.amdhsa_fp16_overflow 0
		.amdhsa_memory_ordered 1
		.amdhsa_forward_progress 1
		.amdhsa_inst_pref_size 26
		.amdhsa_round_robin_scheduling 0
		.amdhsa_exception_fp_ieee_invalid_op 0
		.amdhsa_exception_fp_denorm_src 0
		.amdhsa_exception_fp_ieee_div_zero 0
		.amdhsa_exception_fp_ieee_overflow 0
		.amdhsa_exception_fp_ieee_underflow 0
		.amdhsa_exception_fp_ieee_inexact 0
		.amdhsa_exception_int_div_zero 0
	.end_amdhsa_kernel
	.section	.text._ZL29rocblas_internal_gemmt_kernelIiLi16ELi32ELi8ELc84ELc67ELc85ELb0ELb1E19rocblas_complex_numIfEPKS1_S3_PS1_EviT_T9_T10_S5_lS7_S5_lS6_T11_S5_li,"axG",@progbits,_ZL29rocblas_internal_gemmt_kernelIiLi16ELi32ELi8ELc84ELc67ELc85ELb0ELb1E19rocblas_complex_numIfEPKS1_S3_PS1_EviT_T9_T10_S5_lS7_S5_lS6_T11_S5_li,comdat
.Lfunc_end77:
	.size	_ZL29rocblas_internal_gemmt_kernelIiLi16ELi32ELi8ELc84ELc67ELc85ELb0ELb1E19rocblas_complex_numIfEPKS1_S3_PS1_EviT_T9_T10_S5_lS7_S5_lS6_T11_S5_li, .Lfunc_end77-_ZL29rocblas_internal_gemmt_kernelIiLi16ELi32ELi8ELc84ELc67ELc85ELb0ELb1E19rocblas_complex_numIfEPKS1_S3_PS1_EviT_T9_T10_S5_lS7_S5_lS6_T11_S5_li
                                        ; -- End function
	.set _ZL29rocblas_internal_gemmt_kernelIiLi16ELi32ELi8ELc84ELc67ELc85ELb0ELb1E19rocblas_complex_numIfEPKS1_S3_PS1_EviT_T9_T10_S5_lS7_S5_lS6_T11_S5_li.num_vgpr, 57
	.set _ZL29rocblas_internal_gemmt_kernelIiLi16ELi32ELi8ELc84ELc67ELc85ELb0ELb1E19rocblas_complex_numIfEPKS1_S3_PS1_EviT_T9_T10_S5_lS7_S5_lS6_T11_S5_li.num_agpr, 0
	.set _ZL29rocblas_internal_gemmt_kernelIiLi16ELi32ELi8ELc84ELc67ELc85ELb0ELb1E19rocblas_complex_numIfEPKS1_S3_PS1_EviT_T9_T10_S5_lS7_S5_lS6_T11_S5_li.numbered_sgpr, 35
	.set _ZL29rocblas_internal_gemmt_kernelIiLi16ELi32ELi8ELc84ELc67ELc85ELb0ELb1E19rocblas_complex_numIfEPKS1_S3_PS1_EviT_T9_T10_S5_lS7_S5_lS6_T11_S5_li.num_named_barrier, 0
	.set _ZL29rocblas_internal_gemmt_kernelIiLi16ELi32ELi8ELc84ELc67ELc85ELb0ELb1E19rocblas_complex_numIfEPKS1_S3_PS1_EviT_T9_T10_S5_lS7_S5_lS6_T11_S5_li.private_seg_size, 0
	.set _ZL29rocblas_internal_gemmt_kernelIiLi16ELi32ELi8ELc84ELc67ELc85ELb0ELb1E19rocblas_complex_numIfEPKS1_S3_PS1_EviT_T9_T10_S5_lS7_S5_lS6_T11_S5_li.uses_vcc, 1
	.set _ZL29rocblas_internal_gemmt_kernelIiLi16ELi32ELi8ELc84ELc67ELc85ELb0ELb1E19rocblas_complex_numIfEPKS1_S3_PS1_EviT_T9_T10_S5_lS7_S5_lS6_T11_S5_li.uses_flat_scratch, 0
	.set _ZL29rocblas_internal_gemmt_kernelIiLi16ELi32ELi8ELc84ELc67ELc85ELb0ELb1E19rocblas_complex_numIfEPKS1_S3_PS1_EviT_T9_T10_S5_lS7_S5_lS6_T11_S5_li.has_dyn_sized_stack, 0
	.set _ZL29rocblas_internal_gemmt_kernelIiLi16ELi32ELi8ELc84ELc67ELc85ELb0ELb1E19rocblas_complex_numIfEPKS1_S3_PS1_EviT_T9_T10_S5_lS7_S5_lS6_T11_S5_li.has_recursion, 0
	.set _ZL29rocblas_internal_gemmt_kernelIiLi16ELi32ELi8ELc84ELc67ELc85ELb0ELb1E19rocblas_complex_numIfEPKS1_S3_PS1_EviT_T9_T10_S5_lS7_S5_lS6_T11_S5_li.has_indirect_call, 0
	.section	.AMDGPU.csdata,"",@progbits
; Kernel info:
; codeLenInByte = 3248
; TotalNumSgprs: 37
; NumVgprs: 57
; ScratchSize: 0
; MemoryBound: 0
; FloatMode: 240
; IeeeMode: 1
; LDSByteSize: 4096 bytes/workgroup (compile time only)
; SGPRBlocks: 0
; VGPRBlocks: 3
; NumSGPRsForWavesPerEU: 37
; NumVGPRsForWavesPerEU: 57
; NamedBarCnt: 0
; Occupancy: 16
; WaveLimiterHint : 0
; COMPUTE_PGM_RSRC2:SCRATCH_EN: 0
; COMPUTE_PGM_RSRC2:USER_SGPR: 2
; COMPUTE_PGM_RSRC2:TRAP_HANDLER: 0
; COMPUTE_PGM_RSRC2:TGID_X_EN: 1
; COMPUTE_PGM_RSRC2:TGID_Y_EN: 1
; COMPUTE_PGM_RSRC2:TGID_Z_EN: 1
; COMPUTE_PGM_RSRC2:TIDIG_COMP_CNT: 1
	.section	.text._ZL29rocblas_internal_gemmt_kernelIiLi16ELi32ELi8ELc67ELc78ELc85ELb1ELb0E19rocblas_complex_numIfEPKS1_S3_PS1_EviT_T9_T10_S5_lS7_S5_lS6_T11_S5_li,"axG",@progbits,_ZL29rocblas_internal_gemmt_kernelIiLi16ELi32ELi8ELc67ELc78ELc85ELb1ELb0E19rocblas_complex_numIfEPKS1_S3_PS1_EviT_T9_T10_S5_lS7_S5_lS6_T11_S5_li,comdat
	.globl	_ZL29rocblas_internal_gemmt_kernelIiLi16ELi32ELi8ELc67ELc78ELc85ELb1ELb0E19rocblas_complex_numIfEPKS1_S3_PS1_EviT_T9_T10_S5_lS7_S5_lS6_T11_S5_li ; -- Begin function _ZL29rocblas_internal_gemmt_kernelIiLi16ELi32ELi8ELc67ELc78ELc85ELb1ELb0E19rocblas_complex_numIfEPKS1_S3_PS1_EviT_T9_T10_S5_lS7_S5_lS6_T11_S5_li
	.p2align	8
	.type	_ZL29rocblas_internal_gemmt_kernelIiLi16ELi32ELi8ELc67ELc78ELc85ELb1ELb0E19rocblas_complex_numIfEPKS1_S3_PS1_EviT_T9_T10_S5_lS7_S5_lS6_T11_S5_li,@function
_ZL29rocblas_internal_gemmt_kernelIiLi16ELi32ELi8ELc67ELc78ELc85ELb1ELb0E19rocblas_complex_numIfEPKS1_S3_PS1_EviT_T9_T10_S5_lS7_S5_lS6_T11_S5_li: ; @_ZL29rocblas_internal_gemmt_kernelIiLi16ELi32ELi8ELc67ELc78ELc85ELb1ELb0E19rocblas_complex_numIfEPKS1_S3_PS1_EviT_T9_T10_S5_lS7_S5_lS6_T11_S5_li
; %bb.0:
	s_load_b128 s[8:11], s[0:1], 0x38
	s_wait_kmcnt 0x0
	s_load_b64 s[20:21], s[10:11], 0x0
	s_clause 0x1
	s_load_b128 s[4:7], s[0:1], 0x8
	s_load_b64 s[22:23], s[0:1], 0x0
	s_wait_kmcnt 0x0
	s_cmp_neq_f32 s20, 1.0
	s_load_b64 s[10:11], s[4:5], 0x0
	s_cselect_b32 s2, -1, 0
	s_and_b32 s3, s21, 0x7fffffff
	s_delay_alu instid0(SALU_CYCLE_1) | instskip(SKIP_3) | instid1(SALU_CYCLE_1)
	s_cmp_eq_u32 s3, 0
	s_cselect_b32 s29, -1, 0
	s_cmp_lg_u32 s3, 0
	s_cselect_b32 s3, -1, 0
	s_or_b32 s2, s2, s3
	s_delay_alu instid0(SALU_CYCLE_1)
	s_and_b32 vcc_lo, exec_lo, s2
	s_cbranch_vccnz .LBB78_2
; %bb.1:
	s_cmp_lg_u32 s23, 0
	s_cselect_b32 s2, -1, 0
	s_wait_kmcnt 0x0
	s_cmp_neq_f32 s10, 0
	s_cselect_b32 s3, -1, 0
	s_cmp_neq_f32 s11, 0
	s_cselect_b32 s4, -1, 0
	s_delay_alu instid0(SALU_CYCLE_1) | instskip(NEXT) | instid1(SALU_CYCLE_1)
	s_or_b32 s3, s3, s4
	s_and_b32 s2, s2, s3
.LBB78_2:
	s_delay_alu instid0(SALU_CYCLE_1)
	s_and_not1_b32 vcc_lo, exec_lo, s2
	s_cbranch_vccnz .LBB78_35
; %bb.3:
	s_load_b32 s28, s[0:1], 0x60
	s_bfe_u32 s2, ttmp6, 0x40014
	s_lshr_b32 s3, ttmp7, 16
	s_add_co_i32 s2, s2, 1
	s_wait_xcnt 0x0
	s_bfe_u32 s4, ttmp6, 0x40008
	s_mul_i32 s2, s3, s2
	s_getreg_b32 s30, hwreg(HW_REG_IB_STS2, 6, 4)
	s_add_co_i32 s4, s4, s2
	s_cmp_eq_u32 s30, 0
	s_mov_b32 s25, 0
	s_cselect_b32 s24, s3, s4
	s_wait_kmcnt 0x0
	s_cmp_ge_u32 s24, s28
	s_cbranch_scc1 .LBB78_35
; %bb.4:
	s_clause 0x4
	s_load_b32 s4, s[0:1], 0x18
	s_load_b32 s2, s[0:1], 0x30
	s_load_b96 s[16:18], s[0:1], 0x48
	s_load_b128 s[12:15], s[0:1], 0x20
	s_load_b64 s[26:27], s[0:1], 0x58
	s_wait_xcnt 0x0
	s_bfe_u32 s1, ttmp6, 0x4000c
	s_bfe_u32 s3, ttmp6, 0x40010
	v_and_b32_e32 v4, 0x3ff, v0
	v_bfe_u32 v5, v0, 10, 10
	s_and_b32 s31, ttmp7, 0xffff
	s_add_co_i32 s1, s1, 1
	s_add_co_i32 s3, s3, 1
	s_and_b32 s0, ttmp6, 15
	s_bfe_u32 s5, ttmp6, 0x40004
	s_mul_i32 s1, ttmp9, s1
	s_mul_i32 s3, s31, s3
	s_add_co_i32 s0, s0, s1
	s_add_co_i32 s1, s5, s3
	v_lshl_add_u32 v1, v5, 4, v4
	v_and_b32_e32 v25, 7, v0
	s_wait_kmcnt 0x0
	s_ashr_i32 s5, s4, 31
	s_ashr_i32 s3, s2, 31
	;; [unrolled: 1-line block ×3, first 2 shown]
	s_cmp_eq_u32 s30, 0
	v_dual_lshrrev_b32 v23, 5, v1 :: v_dual_lshrrev_b32 v3, 3, v1
	s_cselect_b32 s1, s31, s1
	s_cselect_b32 s0, ttmp9, s0
	s_lshl_b32 s1, s1, 5
	s_delay_alu instid0(VALU_DEP_1) | instid1(SALU_CYCLE_1)
	v_dual_add_nc_u32 v2, s1, v3 :: v_dual_bitop2_b32 v6, 31, v1 bitop3:0x40
	s_lshl_b32 s30, s0, 5
	s_cmp_neq_f32 s10, 0
	s_delay_alu instid0(VALU_DEP_1) | instskip(SKIP_3) | instid1(VALU_DEP_2)
	v_dual_add_nc_u32 v12, s1, v5 :: v_dual_bitop2_b32 v0, s30, v6 bitop3:0x54
	v_lshlrev_b32_e32 v6, 3, v6
	s_cselect_b32 s0, -1, 0
	s_cmp_neq_f32 s11, 0
	v_dual_add_nc_u32 v16, 16, v12 :: v_dual_ashrrev_i32 v13, 31, v12
	v_dual_ashrrev_i32 v1, 31, v0 :: v_dual_lshlrev_b32 v14, 3, v25
	v_cmp_gt_i32_e32 vcc_lo, s22, v0
	s_cselect_b32 s31, -1, 0
	v_lshlrev_b32_e32 v31, 3, v4
	s_delay_alu instid0(VALU_DEP_3)
	v_mul_u64_e32 v[0:1], s[4:5], v[0:1]
	v_lshl_or_b32 v7, v3, 6, v14
	v_ashrrev_i32_e32 v3, 31, v2
	s_or_b32 s31, s0, s31
	v_cmp_gt_i32_e64 s0, s22, v2
	v_ashrrev_i32_e32 v17, 31, v16
	v_add_nc_u32_e32 v4, s30, v4
	v_mul_u64_e32 v[2:3], s[2:3], v[2:3]
	v_lshl_or_b32 v27, v23, 8, v6
	v_add_nc_u32_e32 v29, 0x800, v7
	v_mul_u64_e32 v[6:7], s[18:19], v[12:13]
	v_mov_b32_e32 v13, 0
	v_mul_u64_e32 v[10:11], s[18:19], v[16:17]
	s_cmp_gt_i32 s23, 0
	v_cmp_gt_i32_e64 s1, s22, v12
	v_cmp_le_i32_e64 s2, v4, v12
	v_add_nc_u32_e32 v8, 16, v4
	s_cselect_b32 s33, -1, 0
	s_cmp_neq_f32 s20, 0
	v_lshl_add_u32 v33, v5, 6, 0x800
	v_mov_b32_e32 v15, v13
	s_mov_b32 s5, s10
	s_cselect_b32 s3, -1, 0
	s_and_b32 s19, s1, s2
	v_cmp_le_i32_e64 s2, v8, v12
	v_dual_lshlrev_b32 v12, 3, v23 :: v_dual_ashrrev_i32 v5, 31, v4
	v_ashrrev_i32_e32 v9, 31, v8
	s_xor_b32 s4, s29, -1
	s_lshl_b64 s[8:9], s[8:9], 3
	s_or_b32 s18, s3, s4
	v_cmp_gt_i32_e64 s3, s22, v16
	v_lshl_add_u64 v[0:1], v[0:1], 3, v[12:13]
	v_cmp_le_i32_e64 s4, v4, v16
	s_and_b32 s22, s1, s2
	v_cmp_le_i32_e64 s1, v8, v16
	s_mov_b32 s2, s20
	v_add_nc_u64_e32 v[0:1], s[6:7], v[0:1]
	s_and_b32 s29, s3, s4
	v_lshl_add_u64 v[2:3], v[2:3], 3, v[14:15]
	s_and_b32 s1, s3, s1
	s_mov_b32 s3, s20
	s_mov_b32 s20, s21
	;; [unrolled: 1-line block ×3, first 2 shown]
	v_add_nc_u64_e32 v[14:15], 4, v[0:1]
	v_add_nc_u64_e32 v[16:17], s[14:15], v[2:3]
	s_and_b32 s14, s31, s33
	s_lshl_b64 s[6:7], s[12:13], 3
	s_xor_b32 s15, vcc_lo, -1
	s_branch .LBB78_6
.LBB78_5:                               ;   in Loop: Header=BB78_6 Depth=1
	s_wait_xcnt 0x0
	s_or_b32 exec_lo, exec_lo, s12
	s_add_co_i32 s24, s24, 0x10000
	s_delay_alu instid0(SALU_CYCLE_1)
	s_cmp_lt_u32 s24, s28
	s_cbranch_scc0 .LBB78_35
.LBB78_6:                               ; =>This Loop Header: Depth=1
                                        ;     Child Loop BB78_9 Depth 2
	v_dual_mov_b32 v32, 0 :: v_dual_mov_b32 v34, 0
	v_dual_mov_b32 v28, 0 :: v_dual_mov_b32 v30, 0
	;; [unrolled: 1-line block ×4, first 2 shown]
	s_and_not1_b32 vcc_lo, exec_lo, s14
	s_cbranch_vccnz .LBB78_15
; %bb.7:                                ;   in Loop: Header=BB78_6 Depth=1
	v_mad_nc_u64_u32 v[18:19], s6, s24, v[14:15]
	v_mad_nc_u64_u32 v[20:21], s8, s24, v[16:17]
	v_dual_mov_b32 v22, 0 :: v_dual_mov_b32 v12, 0
	v_dual_mov_b32 v26, 0 :: v_dual_mov_b32 v24, 0
	;; [unrolled: 1-line block ×4, first 2 shown]
	s_mov_b32 s12, 0
	v_mad_u32 v19, s7, s24, v19
	v_mad_u32 v21, s9, s24, v21
	s_branch .LBB78_9
.LBB78_8:                               ;   in Loop: Header=BB78_9 Depth=2
	s_wait_xcnt 0x0
	s_or_b32 exec_lo, exec_lo, s13
	s_wait_loadcnt 0x0
	ds_store_b64 v29, v[0:1]
	s_wait_dscnt 0x0
	s_barrier_signal -1
	s_barrier_wait -1
	ds_load_b128 v[36:39], v33
	ds_load_b128 v[40:43], v33 offset:16
	ds_load_b128 v[44:47], v33 offset:32
	;; [unrolled: 1-line block ×3, first 2 shown]
	ds_load_2addr_b64 v[48:51], v31 offset1:16
	v_add_nc_u64_e32 v[18:19], 64, v[18:19]
	v_add_nc_u64_e32 v[20:21], 64, v[20:21]
	s_add_co_i32 s12, s12, 8
	s_delay_alu instid0(SALU_CYCLE_1) | instskip(SKIP_2) | instid1(VALU_DEP_1)
	s_cmp_lt_i32 s12, s23
	s_wait_dscnt 0x0
	v_dual_mul_f32 v35, v37, v49 :: v_dual_mul_f32 v52, v36, v49
	v_dual_fma_f32 v35, v36, v48, -v35 :: v_dual_fmac_f32 v52, v37, v48
	s_delay_alu instid0(VALU_DEP_1) | instskip(SKIP_1) | instid1(VALU_DEP_1)
	v_dual_add_f32 v32, v32, v35 :: v_dual_add_f32 v52, v34, v52
	v_dual_mul_f32 v34, v37, v51 :: v_dual_mul_f32 v35, v36, v51
	v_dual_fma_f32 v34, v36, v50, -v34 :: v_dual_fmac_f32 v35, v37, v50
	s_delay_alu instid0(VALU_DEP_1) | instskip(SKIP_3) | instid1(VALU_DEP_1)
	v_dual_add_f32 v28, v28, v34 :: v_dual_add_f32 v30, v30, v35
	ds_load_b128 v[34:37], v33 offset:1024
	s_wait_dscnt 0x0
	v_dual_mul_f32 v53, v35, v49 :: v_dual_mul_f32 v49, v34, v49
	v_fma_f32 v53, v34, v48, -v53
	s_delay_alu instid0(VALU_DEP_2) | instskip(NEXT) | instid1(VALU_DEP_1)
	v_dual_fmac_f32 v49, v35, v48 :: v_dual_mul_f32 v48, v35, v51
	v_dual_add_f32 v24, v24, v53 :: v_dual_fma_f32 v48, v34, v50, -v48
	v_mul_f32_e32 v34, v34, v51
	s_delay_alu instid0(VALU_DEP_1) | instskip(NEXT) | instid1(VALU_DEP_3)
	v_dual_add_f32 v26, v26, v49 :: v_dual_fmac_f32 v34, v35, v50
	v_add_f32_e32 v12, v12, v48
	ds_load_2addr_b64 v[48:51], v31 offset0:32 offset1:48
	s_wait_dscnt 0x0
	v_dual_add_f32 v22, v22, v34 :: v_dual_mul_f32 v34, v39, v49
	s_delay_alu instid0(VALU_DEP_1) | instskip(NEXT) | instid1(VALU_DEP_1)
	v_dual_mul_f32 v35, v38, v49 :: v_dual_fma_f32 v34, v38, v48, -v34
	v_dual_fmac_f32 v35, v39, v48 :: v_dual_add_f32 v32, v32, v34
	v_mul_f32_e32 v34, v39, v51
	s_delay_alu instid0(VALU_DEP_1) | instskip(NEXT) | instid1(VALU_DEP_1)
	v_dual_add_f32 v52, v52, v35 :: v_dual_fma_f32 v34, v38, v50, -v34
	v_dual_mul_f32 v35, v38, v51 :: v_dual_add_f32 v28, v28, v34
	s_delay_alu instid0(VALU_DEP_1) | instskip(NEXT) | instid1(VALU_DEP_1)
	v_dual_fmac_f32 v35, v39, v50 :: v_dual_mul_f32 v34, v37, v49
	v_dual_add_f32 v30, v30, v35 :: v_dual_fma_f32 v34, v36, v48, -v34
	v_mul_f32_e32 v35, v36, v49
	s_delay_alu instid0(VALU_DEP_2) | instskip(NEXT) | instid1(VALU_DEP_1)
	v_dual_add_f32 v24, v24, v34 :: v_dual_mul_f32 v34, v37, v51
	v_dual_fmac_f32 v35, v37, v48 :: v_dual_fma_f32 v34, v36, v50, -v34
	s_delay_alu instid0(VALU_DEP_1) | instskip(SKIP_1) | instid1(VALU_DEP_1)
	v_add_f32_e32 v26, v26, v35
	v_mul_f32_e32 v35, v36, v51
	v_fmac_f32_e32 v35, v37, v50
	s_delay_alu instid0(VALU_DEP_1) | instskip(SKIP_3) | instid1(VALU_DEP_1)
	v_dual_add_f32 v12, v12, v34 :: v_dual_add_f32 v22, v22, v35
	ds_load_2addr_b64 v[34:37], v31 offset0:64 offset1:80
	s_wait_dscnt 0x0
	v_dual_mul_f32 v38, v41, v35 :: v_dual_mul_f32 v39, v40, v35
	v_dual_fma_f32 v38, v40, v34, -v38 :: v_dual_fmac_f32 v39, v41, v34
	s_delay_alu instid0(VALU_DEP_1) | instskip(SKIP_1) | instid1(VALU_DEP_3)
	v_add_f32_e32 v48, v52, v39
	v_mul_f32_e32 v39, v40, v37
	v_dual_add_f32 v32, v32, v38 :: v_dual_mul_f32 v38, v41, v37
	s_delay_alu instid0(VALU_DEP_1) | instskip(NEXT) | instid1(VALU_DEP_1)
	v_dual_fmac_f32 v39, v41, v36 :: v_dual_fma_f32 v38, v40, v36, -v38
	v_dual_add_f32 v30, v30, v39 :: v_dual_add_f32 v28, v28, v38
	ds_load_b128 v[38:41], v33 offset:1040
	s_wait_dscnt 0x0
	v_dual_mul_f32 v49, v39, v35 :: v_dual_mul_f32 v35, v38, v35
	s_delay_alu instid0(VALU_DEP_1) | instskip(SKIP_1) | instid1(VALU_DEP_2)
	v_dual_fma_f32 v49, v38, v34, -v49 :: v_dual_fmac_f32 v35, v39, v34
	v_mul_f32_e32 v34, v39, v37
	v_dual_add_f32 v24, v24, v49 :: v_dual_add_f32 v26, v26, v35
	s_delay_alu instid0(VALU_DEP_2) | instskip(NEXT) | instid1(VALU_DEP_1)
	v_dual_mul_f32 v35, v38, v37 :: v_dual_fma_f32 v34, v38, v36, -v34
	v_dual_fmac_f32 v35, v39, v36 :: v_dual_add_f32 v12, v12, v34
	s_delay_alu instid0(VALU_DEP_1) | instskip(SKIP_3) | instid1(VALU_DEP_1)
	v_add_f32_e32 v22, v22, v35
	ds_load_2addr_b64 v[34:37], v31 offset0:96 offset1:112
	s_wait_dscnt 0x0
	v_dual_mul_f32 v38, v43, v35 :: v_dual_mul_f32 v39, v42, v35
	v_dual_fma_f32 v38, v42, v34, -v38 :: v_dual_fmac_f32 v39, v43, v34
	s_delay_alu instid0(VALU_DEP_1) | instskip(NEXT) | instid1(VALU_DEP_2)
	v_add_f32_e32 v32, v32, v38
	v_dual_add_f32 v38, v48, v39 :: v_dual_mul_f32 v39, v43, v37
	s_delay_alu instid0(VALU_DEP_1) | instskip(NEXT) | instid1(VALU_DEP_1)
	v_dual_fma_f32 v39, v42, v36, -v39 :: v_dual_mul_f32 v42, v42, v37
	v_dual_add_f32 v28, v28, v39 :: v_dual_fmac_f32 v42, v43, v36
	v_dual_mul_f32 v39, v41, v35 :: v_dual_mul_f32 v35, v40, v35
	s_delay_alu instid0(VALU_DEP_2) | instskip(NEXT) | instid1(VALU_DEP_2)
	v_add_f32_e32 v30, v30, v42
	v_fmac_f32_e32 v35, v41, v34
	s_delay_alu instid0(VALU_DEP_3) | instskip(NEXT) | instid1(VALU_DEP_2)
	v_dual_fma_f32 v39, v40, v34, -v39 :: v_dual_mul_f32 v34, v41, v37
	v_dual_add_f32 v26, v26, v35 :: v_dual_mul_f32 v35, v40, v37
	s_delay_alu instid0(VALU_DEP_2) | instskip(NEXT) | instid1(VALU_DEP_2)
	v_fma_f32 v34, v40, v36, -v34
	v_dual_add_f32 v24, v24, v39 :: v_dual_fmac_f32 v35, v41, v36
	s_delay_alu instid0(VALU_DEP_1) | instskip(SKIP_3) | instid1(VALU_DEP_1)
	v_dual_add_f32 v12, v12, v34 :: v_dual_add_f32 v22, v22, v35
	ds_load_2addr_b64 v[34:37], v31 offset0:128 offset1:144
	s_wait_dscnt 0x0
	v_dual_mul_f32 v39, v45, v35 :: v_dual_mul_f32 v40, v44, v35
	v_dual_fma_f32 v39, v44, v34, -v39 :: v_dual_fmac_f32 v40, v45, v34
	s_delay_alu instid0(VALU_DEP_1) | instskip(SKIP_1) | instid1(VALU_DEP_1)
	v_dual_add_f32 v32, v32, v39 :: v_dual_add_f32 v42, v38, v40
	v_dual_mul_f32 v38, v45, v37 :: v_dual_mul_f32 v39, v44, v37
	v_dual_fma_f32 v38, v44, v36, -v38 :: v_dual_fmac_f32 v39, v45, v36
	s_delay_alu instid0(VALU_DEP_1) | instskip(SKIP_3) | instid1(VALU_DEP_1)
	v_dual_add_f32 v28, v28, v38 :: v_dual_add_f32 v30, v30, v39
	ds_load_b128 v[38:41], v33 offset:1056
	s_wait_dscnt 0x0
	v_dual_mul_f32 v43, v39, v35 :: v_dual_mul_f32 v35, v38, v35
	v_fma_f32 v43, v38, v34, -v43
	s_delay_alu instid0(VALU_DEP_2) | instskip(NEXT) | instid1(VALU_DEP_2)
	v_dual_fmac_f32 v35, v39, v34 :: v_dual_mul_f32 v34, v39, v37
	v_add_f32_e32 v24, v24, v43
	s_delay_alu instid0(VALU_DEP_2) | instskip(NEXT) | instid1(VALU_DEP_3)
	v_add_f32_e32 v26, v26, v35
	v_dual_fma_f32 v34, v38, v36, -v34 :: v_dual_mul_f32 v35, v38, v37
	s_delay_alu instid0(VALU_DEP_1) | instskip(NEXT) | instid1(VALU_DEP_1)
	v_dual_fmac_f32 v35, v39, v36 :: v_dual_add_f32 v12, v12, v34
	v_add_f32_e32 v22, v22, v35
	ds_load_2addr_b64 v[34:37], v31 offset0:160 offset1:176
	s_wait_dscnt 0x0
	v_dual_mul_f32 v38, v47, v35 :: v_dual_mul_f32 v39, v46, v35
	s_delay_alu instid0(VALU_DEP_1) | instskip(NEXT) | instid1(VALU_DEP_1)
	v_dual_fma_f32 v38, v46, v34, -v38 :: v_dual_fmac_f32 v39, v47, v34
	v_dual_add_f32 v32, v32, v38 :: v_dual_add_f32 v38, v42, v39
	v_dual_mul_f32 v39, v47, v37 :: v_dual_mul_f32 v42, v46, v37
	s_delay_alu instid0(VALU_DEP_1) | instskip(NEXT) | instid1(VALU_DEP_1)
	v_dual_fma_f32 v39, v46, v36, -v39 :: v_dual_fmac_f32 v42, v47, v36
	v_dual_add_f32 v28, v28, v39 :: v_dual_add_f32 v30, v30, v42
	v_dual_mul_f32 v39, v41, v35 :: v_dual_mul_f32 v35, v40, v35
	s_delay_alu instid0(VALU_DEP_1) | instskip(NEXT) | instid1(VALU_DEP_2)
	v_fmac_f32_e32 v35, v41, v34
	v_dual_fma_f32 v39, v40, v34, -v39 :: v_dual_mul_f32 v34, v41, v37
	s_delay_alu instid0(VALU_DEP_2) | instskip(NEXT) | instid1(VALU_DEP_2)
	v_dual_add_f32 v26, v26, v35 :: v_dual_mul_f32 v35, v40, v37
	v_fma_f32 v34, v40, v36, -v34
	s_delay_alu instid0(VALU_DEP_2) | instskip(NEXT) | instid1(VALU_DEP_1)
	v_dual_add_f32 v24, v24, v39 :: v_dual_fmac_f32 v35, v41, v36
	v_dual_add_f32 v12, v12, v34 :: v_dual_add_f32 v22, v22, v35
	ds_load_2addr_b64 v[34:37], v31 offset0:192 offset1:208
	s_wait_dscnt 0x0
	v_dual_mul_f32 v39, v1, v35 :: v_dual_mul_f32 v40, v0, v35
	s_delay_alu instid0(VALU_DEP_1) | instskip(NEXT) | instid1(VALU_DEP_1)
	v_dual_fma_f32 v39, v0, v34, -v39 :: v_dual_fmac_f32 v40, v1, v34
	v_dual_add_f32 v32, v32, v39 :: v_dual_add_f32 v42, v38, v40
	v_mul_f32_e32 v38, v1, v37
	s_delay_alu instid0(VALU_DEP_1) | instskip(NEXT) | instid1(VALU_DEP_1)
	v_dual_fma_f32 v38, v0, v36, -v38 :: v_dual_mul_f32 v0, v0, v37
	v_dual_fmac_f32 v0, v1, v36 :: v_dual_add_f32 v1, v28, v38
	ds_load_b128 v[38:41], v33 offset:1072
	s_wait_dscnt 0x0
	v_dual_add_f32 v0, v30, v0 :: v_dual_mul_f32 v28, v39, v35
	s_delay_alu instid0(VALU_DEP_1) | instskip(NEXT) | instid1(VALU_DEP_1)
	v_dual_mul_f32 v30, v38, v35 :: v_dual_fma_f32 v28, v38, v34, -v28
	v_dual_fmac_f32 v30, v39, v34 :: v_dual_add_f32 v24, v24, v28
	s_delay_alu instid0(VALU_DEP_1) | instskip(NEXT) | instid1(VALU_DEP_1)
	v_dual_add_f32 v26, v26, v30 :: v_dual_mul_f32 v28, v39, v37
	v_dual_mul_f32 v30, v38, v37 :: v_dual_fma_f32 v28, v38, v36, -v28
	s_delay_alu instid0(VALU_DEP_1)
	v_fmac_f32_e32 v30, v39, v36
	ds_load_2addr_b64 v[36:39], v31 offset0:224 offset1:240
	s_wait_dscnt 0x0
	s_barrier_signal -1
	v_dual_add_f32 v12, v12, v28 :: v_dual_add_f32 v22, v22, v30
	s_barrier_wait -1
	v_dual_mul_f32 v28, v3, v37 :: v_dual_mul_f32 v30, v2, v37
	s_delay_alu instid0(VALU_DEP_1) | instskip(NEXT) | instid1(VALU_DEP_1)
	v_dual_fma_f32 v28, v2, v36, -v28 :: v_dual_fmac_f32 v30, v3, v36
	v_dual_add_f32 v32, v32, v28 :: v_dual_add_f32 v34, v42, v30
	v_mul_f32_e32 v28, v3, v39
	s_delay_alu instid0(VALU_DEP_1) | instskip(NEXT) | instid1(VALU_DEP_1)
	v_dual_fma_f32 v28, v2, v38, -v28 :: v_dual_mul_f32 v2, v2, v39
	v_dual_fmac_f32 v2, v3, v38 :: v_dual_add_f32 v28, v1, v28
	v_mul_f32_e32 v1, v40, v37
	s_delay_alu instid0(VALU_DEP_2) | instskip(NEXT) | instid1(VALU_DEP_1)
	v_dual_add_f32 v30, v0, v2 :: v_dual_mul_f32 v0, v41, v37
	v_dual_fmac_f32 v1, v41, v36 :: v_dual_fma_f32 v0, v40, v36, -v0
	s_delay_alu instid0(VALU_DEP_1) | instskip(NEXT) | instid1(VALU_DEP_2)
	v_dual_add_f32 v26, v26, v1 :: v_dual_mul_f32 v1, v40, v39
	v_dual_add_f32 v24, v24, v0 :: v_dual_mul_f32 v0, v41, v39
	s_delay_alu instid0(VALU_DEP_1) | instskip(NEXT) | instid1(VALU_DEP_1)
	v_dual_fmac_f32 v1, v41, v38 :: v_dual_fma_f32 v0, v40, v38, -v0
	v_dual_add_f32 v22, v22, v1 :: v_dual_add_f32 v12, v12, v0
	s_cbranch_scc0 .LBB78_15
.LBB78_9:                               ;   Parent Loop BB78_6 Depth=1
                                        ; =>  This Inner Loop Header: Depth=2
	v_add_nc_u32_e32 v0, s12, v23
	s_delay_alu instid0(VALU_DEP_1) | instskip(SKIP_1) | instid1(SALU_CYCLE_1)
	v_cmp_le_i32_e32 vcc_lo, s23, v0
	s_or_b32 s13, s15, vcc_lo
	s_and_saveexec_b32 s30, s13
	s_delay_alu instid0(SALU_CYCLE_1)
	s_xor_b32 s13, exec_lo, s30
; %bb.10:                               ;   in Loop: Header=BB78_9 Depth=2
	ds_store_b32 v27, v13
; %bb.11:                               ;   in Loop: Header=BB78_9 Depth=2
	s_or_saveexec_b32 s13, s13
	v_dual_mov_b32 v0, 0 :: v_dual_mov_b32 v2, 0
	s_xor_b32 exec_lo, exec_lo, s13
	s_cbranch_execz .LBB78_13
; %bb.12:                               ;   in Loop: Header=BB78_9 Depth=2
	global_load_b64 v[36:37], v[18:19], off offset:-4
	s_wait_loadcnt 0x0
	v_xor_b32_e32 v2, 0x80000000, v37
	ds_store_b32 v27, v36
.LBB78_13:                              ;   in Loop: Header=BB78_9 Depth=2
	s_wait_xcnt 0x0
	s_or_b32 exec_lo, exec_lo, s13
	v_add_nc_u32_e32 v1, s12, v25
	ds_store_b32 v27, v2 offset:4
	v_cmp_gt_i32_e32 vcc_lo, s23, v1
	v_mov_b32_e32 v1, 0
	s_and_b32 s30, vcc_lo, s0
	s_delay_alu instid0(SALU_CYCLE_1)
	s_and_saveexec_b32 s13, s30
	s_cbranch_execz .LBB78_8
; %bb.14:                               ;   in Loop: Header=BB78_9 Depth=2
	global_load_b64 v[0:1], v[20:21], off
	s_branch .LBB78_8
.LBB78_15:                              ;   in Loop: Header=BB78_6 Depth=1
	s_mul_u64 s[12:13], s[26:27], s[24:25]
	s_delay_alu instid0(SALU_CYCLE_1) | instskip(NEXT) | instid1(SALU_CYCLE_1)
	s_lshl_b64 s[12:13], s[12:13], 3
	s_add_nc_u64 s[12:13], s[16:17], s[12:13]
	s_delay_alu instid0(SALU_CYCLE_1)
	v_lshl_add_u64 v[0:1], v[6:7], 3, s[12:13]
	s_and_saveexec_b32 s30, s19
	s_cbranch_execz .LBB78_20
; %bb.16:                               ;   in Loop: Header=BB78_6 Depth=1
	v_mov_b64_e32 v[2:3], s[4:5]
	v_mov_b64_e32 v[18:19], s[10:11]
	s_and_b32 vcc_lo, exec_lo, s18
	s_mov_b32 s31, -1
	s_delay_alu instid0(VALU_DEP_2) | instskip(NEXT) | instid1(VALU_DEP_1)
	v_pk_mul_f32 v[2:3], v[34:35], v[2:3] op_sel_hi:[0,1]
	v_pk_fma_f32 v[20:21], v[32:33], v[18:19], v[2:3] op_sel_hi:[0,1,1]
	v_pk_fma_f32 v[2:3], v[32:33], v[18:19], v[2:3] neg_lo:[0,0,1] neg_hi:[0,0,1]
	v_lshl_add_u64 v[18:19], v[4:5], 3, v[0:1]
	s_delay_alu instid0(VALU_DEP_3)
	v_mov_b32_e32 v3, v21
	s_cbranch_vccz .LBB78_18
; %bb.17:                               ;   in Loop: Header=BB78_6 Depth=1
	global_load_b64 v[20:21], v[18:19], off
	v_mov_b64_e32 v[34:35], s[20:21]
	v_mov_b64_e32 v[36:37], s[2:3]
	s_mov_b32 s31, 0
	s_wait_loadcnt 0x0
	s_delay_alu instid0(VALU_DEP_2) | instskip(NEXT) | instid1(VALU_DEP_1)
	v_pk_mul_f32 v[34:35], v[20:21], v[34:35]
	v_pk_fma_f32 v[38:39], v[20:21], v[36:37], v[34:35] op_sel:[0,0,1] op_sel_hi:[1,1,0]
	v_pk_fma_f32 v[20:21], v[20:21], v[36:37], v[34:35] op_sel:[0,0,1] op_sel_hi:[1,1,0] neg_lo:[0,0,1] neg_hi:[0,0,1]
	s_delay_alu instid0(VALU_DEP_2) | instskip(NEXT) | instid1(VALU_DEP_1)
	v_mov_b32_e32 v21, v39
	v_pk_add_f32 v[20:21], v[2:3], v[20:21]
	global_store_b64 v[18:19], v[20:21], off
.LBB78_18:                              ;   in Loop: Header=BB78_6 Depth=1
	s_and_not1_b32 vcc_lo, exec_lo, s31
	s_cbranch_vccnz .LBB78_20
; %bb.19:                               ;   in Loop: Header=BB78_6 Depth=1
	global_store_b64 v[18:19], v[2:3], off
.LBB78_20:                              ;   in Loop: Header=BB78_6 Depth=1
	s_wait_xcnt 0x0
	s_or_b32 exec_lo, exec_lo, s30
	s_and_saveexec_b32 s30, s22
	s_cbranch_execz .LBB78_25
; %bb.21:                               ;   in Loop: Header=BB78_6 Depth=1
	v_mov_b64_e32 v[2:3], s[4:5]
	v_mov_b64_e32 v[18:19], s[10:11]
	v_lshl_add_u64 v[0:1], v[8:9], 3, v[0:1]
	s_and_not1_b32 vcc_lo, exec_lo, s18
	s_mov_b32 s31, -1
	s_delay_alu instid0(VALU_DEP_3) | instskip(NEXT) | instid1(VALU_DEP_1)
	v_pk_mul_f32 v[2:3], v[30:31], v[2:3] op_sel_hi:[0,1]
	v_pk_fma_f32 v[20:21], v[28:29], v[18:19], v[2:3] op_sel_hi:[0,1,1]
	v_pk_fma_f32 v[2:3], v[28:29], v[18:19], v[2:3] neg_lo:[0,0,1] neg_hi:[0,0,1]
	s_delay_alu instid0(VALU_DEP_2)
	v_mov_b32_e32 v3, v21
	s_cbranch_vccnz .LBB78_23
; %bb.22:                               ;   in Loop: Header=BB78_6 Depth=1
	global_load_b64 v[18:19], v[0:1], off
	v_mov_b64_e32 v[20:21], s[20:21]
	v_mov_b64_e32 v[34:35], s[2:3]
	s_mov_b32 s31, 0
	s_wait_loadcnt 0x0
	s_delay_alu instid0(VALU_DEP_2) | instskip(NEXT) | instid1(VALU_DEP_1)
	v_pk_mul_f32 v[20:21], v[18:19], v[20:21]
	v_pk_fma_f32 v[36:37], v[18:19], v[34:35], v[20:21] op_sel:[0,0,1] op_sel_hi:[1,1,0]
	v_pk_fma_f32 v[18:19], v[18:19], v[34:35], v[20:21] op_sel:[0,0,1] op_sel_hi:[1,1,0] neg_lo:[0,0,1] neg_hi:[0,0,1]
	s_delay_alu instid0(VALU_DEP_2) | instskip(NEXT) | instid1(VALU_DEP_1)
	v_mov_b32_e32 v19, v37
	v_pk_add_f32 v[18:19], v[2:3], v[18:19]
	global_store_b64 v[0:1], v[18:19], off
.LBB78_23:                              ;   in Loop: Header=BB78_6 Depth=1
	s_and_not1_b32 vcc_lo, exec_lo, s31
	s_cbranch_vccnz .LBB78_25
; %bb.24:                               ;   in Loop: Header=BB78_6 Depth=1
	global_store_b64 v[0:1], v[2:3], off
.LBB78_25:                              ;   in Loop: Header=BB78_6 Depth=1
	s_wait_xcnt 0x0
	s_or_b32 exec_lo, exec_lo, s30
	v_lshl_add_u64 v[0:1], v[10:11], 3, s[12:13]
	s_and_saveexec_b32 s12, s29
	s_cbranch_execz .LBB78_30
; %bb.26:                               ;   in Loop: Header=BB78_6 Depth=1
	v_mov_b64_e32 v[2:3], s[4:5]
	v_mov_b64_e32 v[18:19], s[10:11]
	s_and_not1_b32 vcc_lo, exec_lo, s18
	s_mov_b32 s13, -1
	s_delay_alu instid0(VALU_DEP_2) | instskip(NEXT) | instid1(VALU_DEP_1)
	v_pk_mul_f32 v[2:3], v[26:27], v[2:3] op_sel_hi:[0,1]
	v_pk_fma_f32 v[20:21], v[24:25], v[18:19], v[2:3] op_sel_hi:[0,1,1]
	v_pk_fma_f32 v[2:3], v[24:25], v[18:19], v[2:3] neg_lo:[0,0,1] neg_hi:[0,0,1]
	v_lshl_add_u64 v[18:19], v[4:5], 3, v[0:1]
	s_delay_alu instid0(VALU_DEP_3)
	v_mov_b32_e32 v3, v21
	s_cbranch_vccnz .LBB78_28
; %bb.27:                               ;   in Loop: Header=BB78_6 Depth=1
	global_load_b64 v[20:21], v[18:19], off
	v_mov_b64_e32 v[34:35], s[20:21]
	v_mov_b64_e32 v[36:37], s[2:3]
	s_mov_b32 s13, 0
	s_wait_loadcnt 0x0
	s_delay_alu instid0(VALU_DEP_2) | instskip(NEXT) | instid1(VALU_DEP_1)
	v_pk_mul_f32 v[34:35], v[20:21], v[34:35]
	v_pk_fma_f32 v[38:39], v[20:21], v[36:37], v[34:35] op_sel:[0,0,1] op_sel_hi:[1,1,0]
	v_pk_fma_f32 v[20:21], v[20:21], v[36:37], v[34:35] op_sel:[0,0,1] op_sel_hi:[1,1,0] neg_lo:[0,0,1] neg_hi:[0,0,1]
	s_delay_alu instid0(VALU_DEP_2) | instskip(NEXT) | instid1(VALU_DEP_1)
	v_mov_b32_e32 v21, v39
	v_pk_add_f32 v[20:21], v[2:3], v[20:21]
	global_store_b64 v[18:19], v[20:21], off
.LBB78_28:                              ;   in Loop: Header=BB78_6 Depth=1
	s_and_not1_b32 vcc_lo, exec_lo, s13
	s_cbranch_vccnz .LBB78_30
; %bb.29:                               ;   in Loop: Header=BB78_6 Depth=1
	global_store_b64 v[18:19], v[2:3], off
.LBB78_30:                              ;   in Loop: Header=BB78_6 Depth=1
	s_wait_xcnt 0x0
	s_or_b32 exec_lo, exec_lo, s12
	s_and_saveexec_b32 s12, s1
	s_cbranch_execz .LBB78_5
; %bb.31:                               ;   in Loop: Header=BB78_6 Depth=1
	v_mov_b64_e32 v[2:3], s[4:5]
	v_mov_b64_e32 v[18:19], s[10:11]
	v_lshl_add_u64 v[0:1], v[8:9], 3, v[0:1]
	s_and_not1_b32 vcc_lo, exec_lo, s18
	s_mov_b32 s13, -1
	s_delay_alu instid0(VALU_DEP_3) | instskip(NEXT) | instid1(VALU_DEP_1)
	v_pk_mul_f32 v[2:3], v[22:23], v[2:3] op_sel_hi:[0,1]
	v_pk_fma_f32 v[20:21], v[12:13], v[18:19], v[2:3] op_sel_hi:[0,1,1]
	v_pk_fma_f32 v[2:3], v[12:13], v[18:19], v[2:3] neg_lo:[0,0,1] neg_hi:[0,0,1]
	s_delay_alu instid0(VALU_DEP_2)
	v_mov_b32_e32 v3, v21
	s_cbranch_vccnz .LBB78_33
; %bb.32:                               ;   in Loop: Header=BB78_6 Depth=1
	global_load_b64 v[18:19], v[0:1], off
	v_mov_b64_e32 v[20:21], s[20:21]
	v_mov_b64_e32 v[34:35], s[2:3]
	s_mov_b32 s13, 0
	s_wait_loadcnt 0x0
	s_delay_alu instid0(VALU_DEP_2) | instskip(NEXT) | instid1(VALU_DEP_1)
	v_pk_mul_f32 v[20:21], v[18:19], v[20:21]
	v_pk_fma_f32 v[36:37], v[18:19], v[34:35], v[20:21] op_sel:[0,0,1] op_sel_hi:[1,1,0]
	v_pk_fma_f32 v[18:19], v[18:19], v[34:35], v[20:21] op_sel:[0,0,1] op_sel_hi:[1,1,0] neg_lo:[0,0,1] neg_hi:[0,0,1]
	s_delay_alu instid0(VALU_DEP_2) | instskip(NEXT) | instid1(VALU_DEP_1)
	v_mov_b32_e32 v19, v37
	v_pk_add_f32 v[18:19], v[2:3], v[18:19]
	global_store_b64 v[0:1], v[18:19], off
.LBB78_33:                              ;   in Loop: Header=BB78_6 Depth=1
	s_and_not1_b32 vcc_lo, exec_lo, s13
	s_cbranch_vccnz .LBB78_5
; %bb.34:                               ;   in Loop: Header=BB78_6 Depth=1
	global_store_b64 v[0:1], v[2:3], off
	s_branch .LBB78_5
.LBB78_35:
	s_endpgm
	.section	.rodata,"a",@progbits
	.p2align	6, 0x0
	.amdhsa_kernel _ZL29rocblas_internal_gemmt_kernelIiLi16ELi32ELi8ELc67ELc78ELc85ELb1ELb0E19rocblas_complex_numIfEPKS1_S3_PS1_EviT_T9_T10_S5_lS7_S5_lS6_T11_S5_li
		.amdhsa_group_segment_fixed_size 4096
		.amdhsa_private_segment_fixed_size 0
		.amdhsa_kernarg_size 100
		.amdhsa_user_sgpr_count 2
		.amdhsa_user_sgpr_dispatch_ptr 0
		.amdhsa_user_sgpr_queue_ptr 0
		.amdhsa_user_sgpr_kernarg_segment_ptr 1
		.amdhsa_user_sgpr_dispatch_id 0
		.amdhsa_user_sgpr_kernarg_preload_length 0
		.amdhsa_user_sgpr_kernarg_preload_offset 0
		.amdhsa_user_sgpr_private_segment_size 0
		.amdhsa_wavefront_size32 1
		.amdhsa_uses_dynamic_stack 0
		.amdhsa_enable_private_segment 0
		.amdhsa_system_sgpr_workgroup_id_x 1
		.amdhsa_system_sgpr_workgroup_id_y 1
		.amdhsa_system_sgpr_workgroup_id_z 1
		.amdhsa_system_sgpr_workgroup_info 0
		.amdhsa_system_vgpr_workitem_id 1
		.amdhsa_next_free_vgpr 54
		.amdhsa_next_free_sgpr 34
		.amdhsa_named_barrier_count 0
		.amdhsa_reserve_vcc 1
		.amdhsa_float_round_mode_32 0
		.amdhsa_float_round_mode_16_64 0
		.amdhsa_float_denorm_mode_32 3
		.amdhsa_float_denorm_mode_16_64 3
		.amdhsa_fp16_overflow 0
		.amdhsa_memory_ordered 1
		.amdhsa_forward_progress 1
		.amdhsa_inst_pref_size 26
		.amdhsa_round_robin_scheduling 0
		.amdhsa_exception_fp_ieee_invalid_op 0
		.amdhsa_exception_fp_denorm_src 0
		.amdhsa_exception_fp_ieee_div_zero 0
		.amdhsa_exception_fp_ieee_overflow 0
		.amdhsa_exception_fp_ieee_underflow 0
		.amdhsa_exception_fp_ieee_inexact 0
		.amdhsa_exception_int_div_zero 0
	.end_amdhsa_kernel
	.section	.text._ZL29rocblas_internal_gemmt_kernelIiLi16ELi32ELi8ELc67ELc78ELc85ELb1ELb0E19rocblas_complex_numIfEPKS1_S3_PS1_EviT_T9_T10_S5_lS7_S5_lS6_T11_S5_li,"axG",@progbits,_ZL29rocblas_internal_gemmt_kernelIiLi16ELi32ELi8ELc67ELc78ELc85ELb1ELb0E19rocblas_complex_numIfEPKS1_S3_PS1_EviT_T9_T10_S5_lS7_S5_lS6_T11_S5_li,comdat
.Lfunc_end78:
	.size	_ZL29rocblas_internal_gemmt_kernelIiLi16ELi32ELi8ELc67ELc78ELc85ELb1ELb0E19rocblas_complex_numIfEPKS1_S3_PS1_EviT_T9_T10_S5_lS7_S5_lS6_T11_S5_li, .Lfunc_end78-_ZL29rocblas_internal_gemmt_kernelIiLi16ELi32ELi8ELc67ELc78ELc85ELb1ELb0E19rocblas_complex_numIfEPKS1_S3_PS1_EviT_T9_T10_S5_lS7_S5_lS6_T11_S5_li
                                        ; -- End function
	.set _ZL29rocblas_internal_gemmt_kernelIiLi16ELi32ELi8ELc67ELc78ELc85ELb1ELb0E19rocblas_complex_numIfEPKS1_S3_PS1_EviT_T9_T10_S5_lS7_S5_lS6_T11_S5_li.num_vgpr, 54
	.set _ZL29rocblas_internal_gemmt_kernelIiLi16ELi32ELi8ELc67ELc78ELc85ELb1ELb0E19rocblas_complex_numIfEPKS1_S3_PS1_EviT_T9_T10_S5_lS7_S5_lS6_T11_S5_li.num_agpr, 0
	.set _ZL29rocblas_internal_gemmt_kernelIiLi16ELi32ELi8ELc67ELc78ELc85ELb1ELb0E19rocblas_complex_numIfEPKS1_S3_PS1_EviT_T9_T10_S5_lS7_S5_lS6_T11_S5_li.numbered_sgpr, 34
	.set _ZL29rocblas_internal_gemmt_kernelIiLi16ELi32ELi8ELc67ELc78ELc85ELb1ELb0E19rocblas_complex_numIfEPKS1_S3_PS1_EviT_T9_T10_S5_lS7_S5_lS6_T11_S5_li.num_named_barrier, 0
	.set _ZL29rocblas_internal_gemmt_kernelIiLi16ELi32ELi8ELc67ELc78ELc85ELb1ELb0E19rocblas_complex_numIfEPKS1_S3_PS1_EviT_T9_T10_S5_lS7_S5_lS6_T11_S5_li.private_seg_size, 0
	.set _ZL29rocblas_internal_gemmt_kernelIiLi16ELi32ELi8ELc67ELc78ELc85ELb1ELb0E19rocblas_complex_numIfEPKS1_S3_PS1_EviT_T9_T10_S5_lS7_S5_lS6_T11_S5_li.uses_vcc, 1
	.set _ZL29rocblas_internal_gemmt_kernelIiLi16ELi32ELi8ELc67ELc78ELc85ELb1ELb0E19rocblas_complex_numIfEPKS1_S3_PS1_EviT_T9_T10_S5_lS7_S5_lS6_T11_S5_li.uses_flat_scratch, 0
	.set _ZL29rocblas_internal_gemmt_kernelIiLi16ELi32ELi8ELc67ELc78ELc85ELb1ELb0E19rocblas_complex_numIfEPKS1_S3_PS1_EviT_T9_T10_S5_lS7_S5_lS6_T11_S5_li.has_dyn_sized_stack, 0
	.set _ZL29rocblas_internal_gemmt_kernelIiLi16ELi32ELi8ELc67ELc78ELc85ELb1ELb0E19rocblas_complex_numIfEPKS1_S3_PS1_EviT_T9_T10_S5_lS7_S5_lS6_T11_S5_li.has_recursion, 0
	.set _ZL29rocblas_internal_gemmt_kernelIiLi16ELi32ELi8ELc67ELc78ELc85ELb1ELb0E19rocblas_complex_numIfEPKS1_S3_PS1_EviT_T9_T10_S5_lS7_S5_lS6_T11_S5_li.has_indirect_call, 0
	.section	.AMDGPU.csdata,"",@progbits
; Kernel info:
; codeLenInByte = 3284
; TotalNumSgprs: 36
; NumVgprs: 54
; ScratchSize: 0
; MemoryBound: 0
; FloatMode: 240
; IeeeMode: 1
; LDSByteSize: 4096 bytes/workgroup (compile time only)
; SGPRBlocks: 0
; VGPRBlocks: 3
; NumSGPRsForWavesPerEU: 36
; NumVGPRsForWavesPerEU: 54
; NamedBarCnt: 0
; Occupancy: 16
; WaveLimiterHint : 0
; COMPUTE_PGM_RSRC2:SCRATCH_EN: 0
; COMPUTE_PGM_RSRC2:USER_SGPR: 2
; COMPUTE_PGM_RSRC2:TRAP_HANDLER: 0
; COMPUTE_PGM_RSRC2:TGID_X_EN: 1
; COMPUTE_PGM_RSRC2:TGID_Y_EN: 1
; COMPUTE_PGM_RSRC2:TGID_Z_EN: 1
; COMPUTE_PGM_RSRC2:TIDIG_COMP_CNT: 1
	.section	.text._ZL29rocblas_internal_gemmt_kernelIiLi16ELi32ELi8ELc67ELc84ELc85ELb1ELb0E19rocblas_complex_numIfEPKS1_S3_PS1_EviT_T9_T10_S5_lS7_S5_lS6_T11_S5_li,"axG",@progbits,_ZL29rocblas_internal_gemmt_kernelIiLi16ELi32ELi8ELc67ELc84ELc85ELb1ELb0E19rocblas_complex_numIfEPKS1_S3_PS1_EviT_T9_T10_S5_lS7_S5_lS6_T11_S5_li,comdat
	.globl	_ZL29rocblas_internal_gemmt_kernelIiLi16ELi32ELi8ELc67ELc84ELc85ELb1ELb0E19rocblas_complex_numIfEPKS1_S3_PS1_EviT_T9_T10_S5_lS7_S5_lS6_T11_S5_li ; -- Begin function _ZL29rocblas_internal_gemmt_kernelIiLi16ELi32ELi8ELc67ELc84ELc85ELb1ELb0E19rocblas_complex_numIfEPKS1_S3_PS1_EviT_T9_T10_S5_lS7_S5_lS6_T11_S5_li
	.p2align	8
	.type	_ZL29rocblas_internal_gemmt_kernelIiLi16ELi32ELi8ELc67ELc84ELc85ELb1ELb0E19rocblas_complex_numIfEPKS1_S3_PS1_EviT_T9_T10_S5_lS7_S5_lS6_T11_S5_li,@function
_ZL29rocblas_internal_gemmt_kernelIiLi16ELi32ELi8ELc67ELc84ELc85ELb1ELb0E19rocblas_complex_numIfEPKS1_S3_PS1_EviT_T9_T10_S5_lS7_S5_lS6_T11_S5_li: ; @_ZL29rocblas_internal_gemmt_kernelIiLi16ELi32ELi8ELc67ELc84ELc85ELb1ELb0E19rocblas_complex_numIfEPKS1_S3_PS1_EviT_T9_T10_S5_lS7_S5_lS6_T11_S5_li
; %bb.0:
	s_load_b128 s[4:7], s[0:1], 0x38
	s_wait_kmcnt 0x0
	s_load_b64 s[20:21], s[6:7], 0x0
	s_clause 0x1
	s_load_b128 s[8:11], s[0:1], 0x8
	s_load_b64 s[22:23], s[0:1], 0x0
	s_wait_kmcnt 0x0
	s_cmp_neq_f32 s20, 1.0
	s_load_b64 s[6:7], s[8:9], 0x0
	s_cselect_b32 s2, -1, 0
	s_and_b32 s3, s21, 0x7fffffff
	s_delay_alu instid0(SALU_CYCLE_1) | instskip(SKIP_3) | instid1(SALU_CYCLE_1)
	s_cmp_eq_u32 s3, 0
	s_cselect_b32 s29, -1, 0
	s_cmp_lg_u32 s3, 0
	s_cselect_b32 s3, -1, 0
	s_or_b32 s2, s2, s3
	s_delay_alu instid0(SALU_CYCLE_1)
	s_and_b32 vcc_lo, exec_lo, s2
	s_cbranch_vccnz .LBB79_2
; %bb.1:
	s_cmp_lg_u32 s23, 0
	s_cselect_b32 s2, -1, 0
	s_wait_kmcnt 0x0
	s_cmp_neq_f32 s6, 0
	s_cselect_b32 s3, -1, 0
	s_cmp_neq_f32 s7, 0
	s_cselect_b32 s8, -1, 0
	s_delay_alu instid0(SALU_CYCLE_1) | instskip(NEXT) | instid1(SALU_CYCLE_1)
	s_or_b32 s3, s3, s8
	s_and_b32 s2, s2, s3
.LBB79_2:
	s_delay_alu instid0(SALU_CYCLE_1)
	s_and_not1_b32 vcc_lo, exec_lo, s2
	s_cbranch_vccnz .LBB79_35
; %bb.3:
	s_load_b32 s28, s[0:1], 0x60
	s_bfe_u32 s2, ttmp6, 0x40014
	s_lshr_b32 s3, ttmp7, 16
	s_add_co_i32 s2, s2, 1
	s_wait_xcnt 0x0
	s_bfe_u32 s8, ttmp6, 0x40008
	s_mul_i32 s2, s3, s2
	s_getreg_b32 s30, hwreg(HW_REG_IB_STS2, 6, 4)
	s_add_co_i32 s8, s8, s2
	s_cmp_eq_u32 s30, 0
	s_mov_b32 s9, 0
	s_cselect_b32 s8, s3, s8
	s_wait_kmcnt 0x0
	s_cmp_ge_u32 s8, s28
	s_cbranch_scc1 .LBB79_35
; %bb.4:
	s_clause 0x4
	s_load_b32 s2, s[0:1], 0x18
	s_load_b32 s26, s[0:1], 0x30
	s_load_b96 s[16:18], s[0:1], 0x48
	s_load_b128 s[12:15], s[0:1], 0x20
	s_load_b64 s[24:25], s[0:1], 0x58
	s_wait_xcnt 0x0
	s_bfe_u32 s1, ttmp6, 0x4000c
	s_bfe_u32 s3, ttmp6, 0x40010
	v_and_b32_e32 v6, 0x3ff, v0
	v_bfe_u32 v8, v0, 10, 10
	s_and_b32 s31, ttmp7, 0xffff
	s_add_co_i32 s1, s1, 1
	s_add_co_i32 s3, s3, 1
	s_and_b32 s0, ttmp6, 15
	s_bfe_u32 s19, ttmp6, 0x40004
	s_mul_i32 s1, ttmp9, s1
	s_mul_i32 s3, s31, s3
	s_add_co_i32 s0, s0, s1
	s_add_co_i32 s1, s19, s3
	v_lshl_add_u32 v1, v8, 4, v6
	v_and_b32_e32 v4, 7, v0
	s_wait_kmcnt 0x0
	s_ashr_i32 s3, s2, 31
	s_ashr_i32 s27, s26, 31
	;; [unrolled: 1-line block ×3, first 2 shown]
	s_cmp_eq_u32 s30, 0
	v_dual_lshrrev_b32 v25, 5, v1 :: v_dual_lshrrev_b32 v3, 3, v1
	s_cselect_b32 s1, s31, s1
	s_cselect_b32 s0, ttmp9, s0
	s_lshl_b32 s1, s1, 5
	s_delay_alu instid0(VALU_DEP_1) | instid1(SALU_CYCLE_1)
	v_dual_add_nc_u32 v2, s1, v3 :: v_dual_bitop2_b32 v5, 31, v1 bitop3:0x40
	s_lshl_b32 s30, s0, 5
	v_lshlrev_b32_e32 v31, 3, v6
	s_cmp_neq_f32 s6, 0
	s_delay_alu instid0(VALU_DEP_2) | instskip(SKIP_2) | instid1(VALU_DEP_1)
	v_dual_lshlrev_b32 v5, 3, v5 :: v_dual_bitop2_b32 v0, s30, v5 bitop3:0x54
	s_cselect_b32 s0, -1, 0
	s_cmp_neq_f32 s7, 0
	v_ashrrev_i32_e32 v1, 31, v0
	v_lshlrev_b32_e32 v7, 3, v4
	v_cmp_gt_i32_e32 vcc_lo, s22, v0
	s_cselect_b32 s31, -1, 0
	s_delay_alu instid0(VALU_DEP_3) | instskip(NEXT) | instid1(VALU_DEP_3)
	v_mul_u64_e32 v[16:17], s[2:3], v[0:1]
	v_lshl_or_b32 v3, v3, 6, v7
	v_mov_b32_e32 v7, 0
	v_lshl_or_b32 v27, v25, 8, v5
	v_add_nc_u32_e32 v0, s1, v8
	s_or_b32 s33, s0, s31
	v_add_nc_u32_e32 v29, 0x800, v3
	v_dual_mov_b32 v5, v7 :: v_dual_ashrrev_i32 v3, 31, v2
	s_delay_alu instid0(VALU_DEP_3) | instskip(SKIP_1) | instid1(VALU_DEP_3)
	v_dual_add_nc_u32 v20, 16, v0 :: v_dual_ashrrev_i32 v1, 31, v0
	v_cmp_gt_i32_e64 s0, s22, v2
	v_mul_u64_e32 v[18:19], s[26:27], v[4:5]
	v_lshl_add_u32 v5, v8, 6, 0x800
	v_dual_add_nc_u32 v8, s30, v6 :: v_dual_lshlrev_b32 v6, 3, v25
	v_mul_u64_e32 v[12:13], s[18:19], v[0:1]
	v_cmp_gt_i32_e64 s1, s22, v0
	v_lshlrev_b64_e32 v[2:3], 3, v[2:3]
	s_delay_alu instid0(VALU_DEP_4)
	v_dual_add_nc_u32 v10, 16, v8 :: v_dual_ashrrev_i32 v9, 31, v8
	v_ashrrev_i32_e32 v21, 31, v20
	v_cmp_le_i32_e64 s2, v8, v0
	s_cmp_gt_i32 s23, 0
	v_ashrrev_i32_e32 v11, 31, v10
	v_cmp_le_i32_e64 s3, v10, v0
	v_mul_u64_e32 v[14:15], s[18:19], v[20:21]
	s_cselect_b32 s34, -1, 0
	s_cmp_neq_f32 s20, 0
	s_cselect_b32 s30, -1, 0
	v_lshl_add_u64 v[0:1], v[16:17], 3, v[6:7]
	s_xor_b32 s18, s29, -1
	s_and_b32 s31, s1, s3
	s_or_b32 s29, s30, s18
	s_and_b32 s30, s1, s2
	v_add_nc_u64_e32 v[0:1], s[10:11], v[0:1]
	v_cmp_gt_i32_e64 s1, s22, v20
	v_cmp_le_i32_e64 s2, v8, v20
	v_cmp_le_i32_e64 s3, v10, v20
	s_mov_b32 s10, s7
	s_mov_b32 s11, s6
	v_lshl_add_u64 v[2:3], v[18:19], 3, v[2:3]
	v_add_nc_u64_e32 v[16:17], 4, v[0:1]
	s_and_b32 s22, s1, s2
	s_and_b32 s1, s1, s3
	s_mov_b32 s2, s20
	v_add_nc_u64_e32 v[18:19], s[14:15], v[2:3]
	s_mov_b32 s3, s20
	s_mov_b32 s20, s21
	s_lshl_b64 s[12:13], s[12:13], 3
	s_and_b32 s33, s33, s34
	s_lshl_b64 s[4:5], s[4:5], 3
	s_lshl_b64 s[14:15], s[26:27], 6
	s_xor_b32 s26, vcc_lo, -1
	s_branch .LBB79_6
.LBB79_5:                               ;   in Loop: Header=BB79_6 Depth=1
	s_wait_xcnt 0x0
	s_or_b32 exec_lo, exec_lo, s18
	s_add_co_i32 s8, s8, 0x10000
	s_delay_alu instid0(SALU_CYCLE_1)
	s_cmp_lt_u32 s8, s28
	s_cbranch_scc0 .LBB79_35
.LBB79_6:                               ; =>This Loop Header: Depth=1
                                        ;     Child Loop BB79_9 Depth 2
	v_dual_mov_b32 v34, 0 :: v_dual_mov_b32 v36, 0
	v_dual_mov_b32 v30, 0 :: v_dual_mov_b32 v32, 0
	;; [unrolled: 1-line block ×4, first 2 shown]
	s_and_not1_b32 vcc_lo, exec_lo, s33
	s_cbranch_vccnz .LBB79_15
; %bb.7:                                ;   in Loop: Header=BB79_6 Depth=1
	v_mad_nc_u64_u32 v[20:21], s12, s8, v[16:17]
	v_mad_nc_u64_u32 v[22:23], s4, s8, v[18:19]
	v_dual_mov_b32 v24, 0 :: v_dual_mov_b32 v6, 0
	v_dual_mov_b32 v28, 0 :: v_dual_mov_b32 v26, 0
	;; [unrolled: 1-line block ×4, first 2 shown]
	s_mov_b32 s18, 0
	v_mad_u32 v21, s13, s8, v21
	v_mad_u32 v23, s5, s8, v23
	s_branch .LBB79_9
.LBB79_8:                               ;   in Loop: Header=BB79_9 Depth=2
	s_wait_xcnt 0x0
	s_or_b32 exec_lo, exec_lo, s19
	s_wait_loadcnt 0x0
	ds_store_b64 v29, v[0:1]
	s_wait_dscnt 0x0
	s_barrier_signal -1
	s_barrier_wait -1
	ds_load_b128 v[38:41], v5
	ds_load_b128 v[42:45], v5 offset:16
	ds_load_b128 v[46:49], v5 offset:32
	ds_load_b128 v[0:3], v5 offset:48
	ds_load_2addr_b64 v[50:53], v31 offset1:16
	v_add_nc_u64_e32 v[20:21], 64, v[20:21]
	v_add_nc_u64_e32 v[22:23], s[14:15], v[22:23]
	s_add_co_i32 s18, s18, 8
	s_delay_alu instid0(SALU_CYCLE_1) | instskip(SKIP_2) | instid1(VALU_DEP_1)
	s_cmp_lt_i32 s18, s23
	s_wait_dscnt 0x0
	v_dual_mul_f32 v33, v39, v51 :: v_dual_mul_f32 v35, v38, v51
	v_dual_fma_f32 v33, v38, v50, -v33 :: v_dual_fmac_f32 v35, v39, v50
	s_delay_alu instid0(VALU_DEP_1) | instskip(SKIP_1) | instid1(VALU_DEP_1)
	v_dual_add_f32 v54, v34, v33 :: v_dual_add_f32 v55, v36, v35
	v_dual_mul_f32 v33, v39, v53 :: v_dual_mul_f32 v34, v38, v53
	v_dual_fma_f32 v33, v38, v52, -v33 :: v_dual_fmac_f32 v34, v39, v52
	s_delay_alu instid0(VALU_DEP_1) | instskip(SKIP_3) | instid1(VALU_DEP_1)
	v_dual_add_f32 v30, v30, v33 :: v_dual_add_f32 v56, v32, v34
	ds_load_b128 v[32:35], v5 offset:1024
	s_wait_dscnt 0x0
	v_dual_mul_f32 v36, v33, v51 :: v_dual_mul_f32 v37, v32, v51
	v_dual_fma_f32 v36, v32, v50, -v36 :: v_dual_fmac_f32 v37, v33, v50
	s_delay_alu instid0(VALU_DEP_1) | instskip(SKIP_1) | instid1(VALU_DEP_1)
	v_dual_add_f32 v26, v26, v36 :: v_dual_add_f32 v28, v28, v37
	v_mul_f32_e32 v36, v33, v53
	v_dual_fma_f32 v36, v32, v52, -v36 :: v_dual_mul_f32 v32, v32, v53
	s_delay_alu instid0(VALU_DEP_1) | instskip(SKIP_3) | instid1(VALU_DEP_1)
	v_add_f32_e32 v6, v6, v36
	ds_load_2addr_b64 v[36:39], v31 offset0:32 offset1:48
	s_wait_dscnt 0x0
	v_dual_fmac_f32 v32, v33, v52 :: v_dual_mul_f32 v33, v40, v37
	v_dual_add_f32 v24, v24, v32 :: v_dual_mul_f32 v32, v41, v37
	s_delay_alu instid0(VALU_DEP_1) | instskip(NEXT) | instid1(VALU_DEP_1)
	v_dual_fmac_f32 v33, v41, v36 :: v_dual_fma_f32 v32, v40, v36, -v32
	v_dual_add_f32 v50, v54, v32 :: v_dual_mul_f32 v32, v41, v39
	s_delay_alu instid0(VALU_DEP_1) | instskip(NEXT) | instid1(VALU_DEP_1)
	v_dual_add_f32 v51, v55, v33 :: v_dual_fma_f32 v32, v40, v38, -v32
	v_dual_mul_f32 v33, v40, v39 :: v_dual_add_f32 v30, v30, v32
	s_delay_alu instid0(VALU_DEP_1) | instskip(NEXT) | instid1(VALU_DEP_1)
	v_dual_fmac_f32 v33, v41, v38 :: v_dual_mul_f32 v32, v35, v37
	v_dual_add_f32 v40, v56, v33 :: v_dual_fma_f32 v32, v34, v36, -v32
	v_mul_f32_e32 v33, v34, v37
	s_delay_alu instid0(VALU_DEP_2) | instskip(NEXT) | instid1(VALU_DEP_1)
	v_dual_add_f32 v26, v26, v32 :: v_dual_mul_f32 v32, v35, v39
	v_dual_fmac_f32 v33, v35, v36 :: v_dual_fma_f32 v32, v34, v38, -v32
	s_delay_alu instid0(VALU_DEP_1) | instskip(NEXT) | instid1(VALU_DEP_1)
	v_dual_add_f32 v28, v28, v33 :: v_dual_mul_f32 v33, v34, v39
	v_dual_add_f32 v6, v6, v32 :: v_dual_fmac_f32 v33, v35, v38
	s_delay_alu instid0(VALU_DEP_1) | instskip(SKIP_3) | instid1(VALU_DEP_1)
	v_add_f32_e32 v24, v24, v33
	ds_load_2addr_b64 v[32:35], v31 offset0:64 offset1:80
	s_wait_dscnt 0x0
	v_dual_mul_f32 v36, v43, v33 :: v_dual_mul_f32 v37, v42, v33
	v_dual_fma_f32 v36, v42, v32, -v36 :: v_dual_fmac_f32 v37, v43, v32
	s_delay_alu instid0(VALU_DEP_1) | instskip(SKIP_1) | instid1(VALU_DEP_1)
	v_dual_add_f32 v41, v50, v36 :: v_dual_add_f32 v50, v51, v37
	v_dual_mul_f32 v36, v43, v35 :: v_dual_mul_f32 v37, v42, v35
	v_dual_fma_f32 v36, v42, v34, -v36 :: v_dual_fmac_f32 v37, v43, v34
	s_delay_alu instid0(VALU_DEP_1) | instskip(SKIP_3) | instid1(VALU_DEP_1)
	v_dual_add_f32 v30, v30, v36 :: v_dual_add_f32 v40, v40, v37
	ds_load_b128 v[36:39], v5 offset:1040
	s_wait_dscnt 0x0
	v_dual_mul_f32 v42, v37, v33 :: v_dual_mul_f32 v33, v36, v33
	v_dual_fma_f32 v42, v36, v32, -v42 :: v_dual_fmac_f32 v33, v37, v32
	s_delay_alu instid0(VALU_DEP_1) | instskip(NEXT) | instid1(VALU_DEP_2)
	v_dual_mul_f32 v32, v37, v35 :: v_dual_add_f32 v26, v26, v42
	v_add_f32_e32 v28, v28, v33
	s_delay_alu instid0(VALU_DEP_2) | instskip(NEXT) | instid1(VALU_DEP_1)
	v_dual_mul_f32 v33, v36, v35 :: v_dual_fma_f32 v32, v36, v34, -v32
	v_dual_fmac_f32 v33, v37, v34 :: v_dual_add_f32 v6, v6, v32
	s_delay_alu instid0(VALU_DEP_1) | instskip(SKIP_3) | instid1(VALU_DEP_1)
	v_add_f32_e32 v24, v24, v33
	ds_load_2addr_b64 v[32:35], v31 offset0:96 offset1:112
	s_wait_dscnt 0x0
	v_dual_mul_f32 v36, v45, v33 :: v_dual_mul_f32 v37, v44, v33
	v_dual_mul_f32 v42, v44, v35 :: v_dual_fma_f32 v36, v44, v32, -v36
	s_delay_alu instid0(VALU_DEP_1) | instskip(NEXT) | instid1(VALU_DEP_1)
	v_dual_fmac_f32 v37, v45, v32 :: v_dual_fmac_f32 v42, v45, v34
	v_dual_add_f32 v36, v41, v36 :: v_dual_add_f32 v37, v50, v37
	s_delay_alu instid0(VALU_DEP_2) | instskip(NEXT) | instid1(VALU_DEP_1)
	v_dual_mul_f32 v41, v45, v35 :: v_dual_add_f32 v40, v40, v42
	v_fma_f32 v41, v44, v34, -v41
	s_delay_alu instid0(VALU_DEP_1) | instskip(SKIP_1) | instid1(VALU_DEP_1)
	v_add_f32_e32 v30, v30, v41
	v_dual_mul_f32 v41, v39, v33 :: v_dual_mul_f32 v33, v38, v33
	v_fmac_f32_e32 v33, v39, v32
	s_delay_alu instid0(VALU_DEP_2) | instskip(NEXT) | instid1(VALU_DEP_2)
	v_dual_fma_f32 v41, v38, v32, -v41 :: v_dual_mul_f32 v32, v39, v35
	v_dual_add_f32 v28, v28, v33 :: v_dual_mul_f32 v33, v38, v35
	s_delay_alu instid0(VALU_DEP_2) | instskip(NEXT) | instid1(VALU_DEP_2)
	v_fma_f32 v32, v38, v34, -v32
	v_dual_add_f32 v26, v26, v41 :: v_dual_fmac_f32 v33, v39, v34
	s_delay_alu instid0(VALU_DEP_1) | instskip(SKIP_3) | instid1(VALU_DEP_1)
	v_dual_add_f32 v6, v6, v32 :: v_dual_add_f32 v24, v24, v33
	ds_load_2addr_b64 v[32:35], v31 offset0:128 offset1:144
	s_wait_dscnt 0x0
	v_dual_mul_f32 v38, v47, v33 :: v_dual_mul_f32 v39, v46, v33
	v_dual_fma_f32 v38, v46, v32, -v38 :: v_dual_fmac_f32 v39, v47, v32
	s_delay_alu instid0(VALU_DEP_1) | instskip(SKIP_1) | instid1(VALU_DEP_1)
	v_dual_add_f32 v41, v36, v38 :: v_dual_add_f32 v42, v37, v39
	v_dual_mul_f32 v36, v47, v35 :: v_dual_mul_f32 v37, v46, v35
	v_dual_fma_f32 v36, v46, v34, -v36 :: v_dual_fmac_f32 v37, v47, v34
	s_delay_alu instid0(VALU_DEP_1) | instskip(SKIP_3) | instid1(VALU_DEP_1)
	v_dual_add_f32 v30, v30, v36 :: v_dual_add_f32 v40, v40, v37
	ds_load_b128 v[36:39], v5 offset:1056
	s_wait_dscnt 0x0
	v_dual_mul_f32 v43, v37, v33 :: v_dual_mul_f32 v33, v36, v33
	v_dual_fma_f32 v43, v36, v32, -v43 :: v_dual_fmac_f32 v33, v37, v32
	v_mul_f32_e32 v32, v37, v35
	s_delay_alu instid0(VALU_DEP_2) | instskip(NEXT) | instid1(VALU_DEP_2)
	v_dual_add_f32 v26, v26, v43 :: v_dual_add_f32 v28, v28, v33
	v_dual_mul_f32 v33, v36, v35 :: v_dual_fma_f32 v32, v36, v34, -v32
	s_delay_alu instid0(VALU_DEP_1) | instskip(NEXT) | instid1(VALU_DEP_1)
	v_dual_fmac_f32 v33, v37, v34 :: v_dual_add_f32 v6, v6, v32
	v_add_f32_e32 v24, v24, v33
	ds_load_2addr_b64 v[32:35], v31 offset0:160 offset1:176
	s_wait_dscnt 0x0
	v_dual_mul_f32 v36, v49, v33 :: v_dual_mul_f32 v37, v48, v33
	s_delay_alu instid0(VALU_DEP_1) | instskip(NEXT) | instid1(VALU_DEP_1)
	v_dual_fma_f32 v36, v48, v32, -v36 :: v_dual_fmac_f32 v37, v49, v32
	v_dual_add_f32 v36, v41, v36 :: v_dual_add_f32 v37, v42, v37
	v_dual_mul_f32 v41, v49, v35 :: v_dual_mul_f32 v42, v48, v35
	s_delay_alu instid0(VALU_DEP_1) | instskip(NEXT) | instid1(VALU_DEP_1)
	v_dual_fma_f32 v41, v48, v34, -v41 :: v_dual_fmac_f32 v42, v49, v34
	v_dual_add_f32 v30, v30, v41 :: v_dual_add_f32 v40, v40, v42
	v_dual_mul_f32 v41, v39, v33 :: v_dual_mul_f32 v33, v38, v33
	s_delay_alu instid0(VALU_DEP_1) | instskip(NEXT) | instid1(VALU_DEP_2)
	v_fmac_f32_e32 v33, v39, v32
	v_dual_fma_f32 v41, v38, v32, -v41 :: v_dual_mul_f32 v32, v39, v35
	s_delay_alu instid0(VALU_DEP_2) | instskip(NEXT) | instid1(VALU_DEP_2)
	v_dual_add_f32 v28, v28, v33 :: v_dual_mul_f32 v33, v38, v35
	v_fma_f32 v32, v38, v34, -v32
	s_delay_alu instid0(VALU_DEP_2) | instskip(NEXT) | instid1(VALU_DEP_1)
	v_dual_add_f32 v26, v26, v41 :: v_dual_fmac_f32 v33, v39, v34
	v_dual_add_f32 v6, v6, v32 :: v_dual_add_f32 v24, v24, v33
	ds_load_2addr_b64 v[32:35], v31 offset0:192 offset1:208
	s_wait_dscnt 0x0
	v_dual_mul_f32 v38, v1, v33 :: v_dual_mul_f32 v39, v0, v33
	s_delay_alu instid0(VALU_DEP_1) | instskip(NEXT) | instid1(VALU_DEP_1)
	v_dual_fma_f32 v38, v0, v32, -v38 :: v_dual_fmac_f32 v39, v1, v32
	v_dual_add_f32 v44, v36, v38 :: v_dual_add_f32 v45, v37, v39
	v_mul_f32_e32 v36, v1, v35
	s_delay_alu instid0(VALU_DEP_1) | instskip(NEXT) | instid1(VALU_DEP_1)
	v_dual_fma_f32 v36, v0, v34, -v36 :: v_dual_mul_f32 v0, v0, v35
	v_dual_fmac_f32 v0, v1, v34 :: v_dual_add_f32 v1, v30, v36
	ds_load_b128 v[36:39], v5 offset:1072
	s_wait_dscnt 0x0
	v_dual_mul_f32 v30, v37, v33 :: v_dual_mul_f32 v33, v36, v33
	s_delay_alu instid0(VALU_DEP_1)
	v_fma_f32 v30, v36, v32, -v30
	v_add_f32_e32 v0, v40, v0
	ds_load_2addr_b64 v[40:43], v31 offset0:224 offset1:240
	v_dual_fmac_f32 v33, v37, v32 :: v_dual_mul_f32 v32, v36, v35
	v_dual_add_f32 v26, v26, v30 :: v_dual_mul_f32 v30, v37, v35
	s_wait_dscnt 0x0
	s_delay_alu instid0(VALU_DEP_2) | instskip(SKIP_1) | instid1(VALU_DEP_2)
	v_dual_add_f32 v28, v28, v33 :: v_dual_fmac_f32 v32, v37, v34
	s_barrier_signal -1
	v_fma_f32 v30, v36, v34, -v30
	s_barrier_wait -1
	s_delay_alu instid0(VALU_DEP_1) | instskip(SKIP_1) | instid1(VALU_DEP_1)
	v_dual_add_f32 v24, v24, v32 :: v_dual_add_f32 v6, v6, v30
	v_dual_mul_f32 v30, v3, v41 :: v_dual_mul_f32 v32, v2, v41
	v_dual_fma_f32 v30, v2, v40, -v30 :: v_dual_fmac_f32 v32, v3, v40
	s_delay_alu instid0(VALU_DEP_1) | instskip(SKIP_1) | instid1(VALU_DEP_1)
	v_dual_add_f32 v34, v44, v30 :: v_dual_add_f32 v36, v45, v32
	v_mul_f32_e32 v30, v3, v43
	v_dual_fma_f32 v30, v2, v42, -v30 :: v_dual_mul_f32 v2, v2, v43
	s_delay_alu instid0(VALU_DEP_1) | instskip(NEXT) | instid1(VALU_DEP_1)
	v_fmac_f32_e32 v2, v3, v42
	v_dual_add_f32 v32, v0, v2 :: v_dual_mul_f32 v0, v39, v41
	s_delay_alu instid0(VALU_DEP_3) | instskip(NEXT) | instid1(VALU_DEP_1)
	v_dual_add_f32 v30, v1, v30 :: v_dual_mul_f32 v1, v38, v41
	v_dual_fma_f32 v0, v38, v40, -v0 :: v_dual_fmac_f32 v1, v39, v40
	s_delay_alu instid0(VALU_DEP_1) | instskip(NEXT) | instid1(VALU_DEP_2)
	v_dual_add_f32 v26, v26, v0 :: v_dual_mul_f32 v0, v39, v43
	v_dual_add_f32 v28, v28, v1 :: v_dual_mul_f32 v1, v38, v43
	s_delay_alu instid0(VALU_DEP_1) | instskip(NEXT) | instid1(VALU_DEP_1)
	v_dual_fma_f32 v0, v38, v42, -v0 :: v_dual_fmac_f32 v1, v39, v42
	v_dual_add_f32 v6, v6, v0 :: v_dual_add_f32 v24, v24, v1
	s_cbranch_scc0 .LBB79_15
.LBB79_9:                               ;   Parent Loop BB79_6 Depth=1
                                        ; =>  This Inner Loop Header: Depth=2
	v_add_nc_u32_e32 v0, s18, v25
	s_delay_alu instid0(VALU_DEP_1) | instskip(SKIP_1) | instid1(SALU_CYCLE_1)
	v_cmp_le_i32_e32 vcc_lo, s23, v0
	s_or_b32 s19, s26, vcc_lo
	s_and_saveexec_b32 s27, s19
	s_delay_alu instid0(SALU_CYCLE_1)
	s_xor_b32 s19, exec_lo, s27
; %bb.10:                               ;   in Loop: Header=BB79_9 Depth=2
	ds_store_b32 v27, v7
; %bb.11:                               ;   in Loop: Header=BB79_9 Depth=2
	s_or_saveexec_b32 s19, s19
	v_dual_mov_b32 v0, 0 :: v_dual_mov_b32 v2, 0
	s_xor_b32 exec_lo, exec_lo, s19
	s_cbranch_execz .LBB79_13
; %bb.12:                               ;   in Loop: Header=BB79_9 Depth=2
	global_load_b64 v[38:39], v[20:21], off offset:-4
	s_wait_loadcnt 0x0
	v_xor_b32_e32 v2, 0x80000000, v39
	ds_store_b32 v27, v38
.LBB79_13:                              ;   in Loop: Header=BB79_9 Depth=2
	s_wait_xcnt 0x0
	s_or_b32 exec_lo, exec_lo, s19
	v_add_nc_u32_e32 v1, s18, v4
	ds_store_b32 v27, v2 offset:4
	v_cmp_gt_i32_e32 vcc_lo, s23, v1
	v_mov_b32_e32 v1, 0
	s_and_b32 s27, vcc_lo, s0
	s_delay_alu instid0(SALU_CYCLE_1)
	s_and_saveexec_b32 s19, s27
	s_cbranch_execz .LBB79_8
; %bb.14:                               ;   in Loop: Header=BB79_9 Depth=2
	global_load_b64 v[0:1], v[22:23], off
	s_branch .LBB79_8
.LBB79_15:                              ;   in Loop: Header=BB79_6 Depth=1
	s_mul_u64 s[18:19], s[24:25], s[8:9]
	s_delay_alu instid0(SALU_CYCLE_1) | instskip(NEXT) | instid1(SALU_CYCLE_1)
	s_lshl_b64 s[18:19], s[18:19], 3
	s_add_nc_u64 s[18:19], s[16:17], s[18:19]
	s_delay_alu instid0(SALU_CYCLE_1)
	v_lshl_add_u64 v[0:1], v[12:13], 3, s[18:19]
	s_and_saveexec_b32 s27, s30
	s_cbranch_execz .LBB79_20
; %bb.16:                               ;   in Loop: Header=BB79_6 Depth=1
	v_mov_b64_e32 v[2:3], s[10:11]
	v_mov_b64_e32 v[20:21], s[6:7]
	s_and_b32 vcc_lo, exec_lo, s29
	s_mov_b32 s34, -1
	s_delay_alu instid0(VALU_DEP_2) | instskip(NEXT) | instid1(VALU_DEP_1)
	v_pk_mul_f32 v[2:3], v[36:37], v[2:3] op_sel_hi:[0,1]
	v_pk_fma_f32 v[22:23], v[34:35], v[20:21], v[2:3] op_sel_hi:[0,1,1]
	v_pk_fma_f32 v[2:3], v[34:35], v[20:21], v[2:3] neg_lo:[0,0,1] neg_hi:[0,0,1]
	v_lshl_add_u64 v[20:21], v[8:9], 3, v[0:1]
	s_delay_alu instid0(VALU_DEP_3)
	v_mov_b32_e32 v3, v23
	s_cbranch_vccz .LBB79_18
; %bb.17:                               ;   in Loop: Header=BB79_6 Depth=1
	global_load_b64 v[22:23], v[20:21], off
	v_mov_b64_e32 v[34:35], s[20:21]
	v_mov_b64_e32 v[36:37], s[2:3]
	s_mov_b32 s34, 0
	s_wait_loadcnt 0x0
	s_delay_alu instid0(VALU_DEP_2) | instskip(NEXT) | instid1(VALU_DEP_1)
	v_pk_mul_f32 v[34:35], v[22:23], v[34:35]
	v_pk_fma_f32 v[38:39], v[22:23], v[36:37], v[34:35] op_sel:[0,0,1] op_sel_hi:[1,1,0]
	v_pk_fma_f32 v[22:23], v[22:23], v[36:37], v[34:35] op_sel:[0,0,1] op_sel_hi:[1,1,0] neg_lo:[0,0,1] neg_hi:[0,0,1]
	s_delay_alu instid0(VALU_DEP_2) | instskip(NEXT) | instid1(VALU_DEP_1)
	v_mov_b32_e32 v23, v39
	v_pk_add_f32 v[22:23], v[2:3], v[22:23]
	global_store_b64 v[20:21], v[22:23], off
.LBB79_18:                              ;   in Loop: Header=BB79_6 Depth=1
	s_and_not1_b32 vcc_lo, exec_lo, s34
	s_cbranch_vccnz .LBB79_20
; %bb.19:                               ;   in Loop: Header=BB79_6 Depth=1
	global_store_b64 v[20:21], v[2:3], off
.LBB79_20:                              ;   in Loop: Header=BB79_6 Depth=1
	s_wait_xcnt 0x0
	s_or_b32 exec_lo, exec_lo, s27
	s_and_saveexec_b32 s27, s31
	s_cbranch_execz .LBB79_25
; %bb.21:                               ;   in Loop: Header=BB79_6 Depth=1
	v_mov_b64_e32 v[2:3], s[10:11]
	v_mov_b64_e32 v[20:21], s[6:7]
	v_lshl_add_u64 v[0:1], v[10:11], 3, v[0:1]
	s_and_not1_b32 vcc_lo, exec_lo, s29
	s_mov_b32 s34, -1
	s_delay_alu instid0(VALU_DEP_3) | instskip(NEXT) | instid1(VALU_DEP_1)
	v_pk_mul_f32 v[2:3], v[32:33], v[2:3] op_sel_hi:[0,1]
	v_pk_fma_f32 v[22:23], v[30:31], v[20:21], v[2:3] op_sel_hi:[0,1,1]
	v_pk_fma_f32 v[2:3], v[30:31], v[20:21], v[2:3] neg_lo:[0,0,1] neg_hi:[0,0,1]
	s_delay_alu instid0(VALU_DEP_2)
	v_mov_b32_e32 v3, v23
	s_cbranch_vccnz .LBB79_23
; %bb.22:                               ;   in Loop: Header=BB79_6 Depth=1
	global_load_b64 v[20:21], v[0:1], off
	v_mov_b64_e32 v[22:23], s[20:21]
	v_mov_b64_e32 v[32:33], s[2:3]
	s_mov_b32 s34, 0
	s_wait_loadcnt 0x0
	s_delay_alu instid0(VALU_DEP_2) | instskip(NEXT) | instid1(VALU_DEP_1)
	v_pk_mul_f32 v[22:23], v[20:21], v[22:23]
	v_pk_fma_f32 v[34:35], v[20:21], v[32:33], v[22:23] op_sel:[0,0,1] op_sel_hi:[1,1,0]
	v_pk_fma_f32 v[20:21], v[20:21], v[32:33], v[22:23] op_sel:[0,0,1] op_sel_hi:[1,1,0] neg_lo:[0,0,1] neg_hi:[0,0,1]
	s_delay_alu instid0(VALU_DEP_2) | instskip(NEXT) | instid1(VALU_DEP_1)
	v_mov_b32_e32 v21, v35
	v_pk_add_f32 v[20:21], v[2:3], v[20:21]
	global_store_b64 v[0:1], v[20:21], off
.LBB79_23:                              ;   in Loop: Header=BB79_6 Depth=1
	s_and_not1_b32 vcc_lo, exec_lo, s34
	s_cbranch_vccnz .LBB79_25
; %bb.24:                               ;   in Loop: Header=BB79_6 Depth=1
	global_store_b64 v[0:1], v[2:3], off
.LBB79_25:                              ;   in Loop: Header=BB79_6 Depth=1
	s_wait_xcnt 0x0
	s_or_b32 exec_lo, exec_lo, s27
	v_lshl_add_u64 v[0:1], v[14:15], 3, s[18:19]
	s_and_saveexec_b32 s18, s22
	s_cbranch_execz .LBB79_30
; %bb.26:                               ;   in Loop: Header=BB79_6 Depth=1
	v_mov_b64_e32 v[2:3], s[10:11]
	v_mov_b64_e32 v[20:21], s[6:7]
	s_and_not1_b32 vcc_lo, exec_lo, s29
	s_mov_b32 s19, -1
	s_delay_alu instid0(VALU_DEP_2) | instskip(NEXT) | instid1(VALU_DEP_1)
	v_pk_mul_f32 v[2:3], v[28:29], v[2:3] op_sel_hi:[0,1]
	v_pk_fma_f32 v[22:23], v[26:27], v[20:21], v[2:3] op_sel_hi:[0,1,1]
	v_pk_fma_f32 v[2:3], v[26:27], v[20:21], v[2:3] neg_lo:[0,0,1] neg_hi:[0,0,1]
	v_lshl_add_u64 v[20:21], v[8:9], 3, v[0:1]
	s_delay_alu instid0(VALU_DEP_3)
	v_mov_b32_e32 v3, v23
	s_cbranch_vccnz .LBB79_28
; %bb.27:                               ;   in Loop: Header=BB79_6 Depth=1
	global_load_b64 v[22:23], v[20:21], off
	v_mov_b64_e32 v[32:33], s[20:21]
	v_mov_b64_e32 v[34:35], s[2:3]
	s_mov_b32 s19, 0
	s_wait_loadcnt 0x0
	s_delay_alu instid0(VALU_DEP_2) | instskip(NEXT) | instid1(VALU_DEP_1)
	v_pk_mul_f32 v[32:33], v[22:23], v[32:33]
	v_pk_fma_f32 v[36:37], v[22:23], v[34:35], v[32:33] op_sel:[0,0,1] op_sel_hi:[1,1,0]
	v_pk_fma_f32 v[22:23], v[22:23], v[34:35], v[32:33] op_sel:[0,0,1] op_sel_hi:[1,1,0] neg_lo:[0,0,1] neg_hi:[0,0,1]
	s_delay_alu instid0(VALU_DEP_2) | instskip(NEXT) | instid1(VALU_DEP_1)
	v_mov_b32_e32 v23, v37
	v_pk_add_f32 v[22:23], v[2:3], v[22:23]
	global_store_b64 v[20:21], v[22:23], off
.LBB79_28:                              ;   in Loop: Header=BB79_6 Depth=1
	s_and_not1_b32 vcc_lo, exec_lo, s19
	s_cbranch_vccnz .LBB79_30
; %bb.29:                               ;   in Loop: Header=BB79_6 Depth=1
	global_store_b64 v[20:21], v[2:3], off
.LBB79_30:                              ;   in Loop: Header=BB79_6 Depth=1
	s_wait_xcnt 0x0
	s_or_b32 exec_lo, exec_lo, s18
	s_and_saveexec_b32 s18, s1
	s_cbranch_execz .LBB79_5
; %bb.31:                               ;   in Loop: Header=BB79_6 Depth=1
	v_mov_b64_e32 v[2:3], s[10:11]
	v_mov_b64_e32 v[20:21], s[6:7]
	v_lshl_add_u64 v[0:1], v[10:11], 3, v[0:1]
	s_and_not1_b32 vcc_lo, exec_lo, s29
	s_mov_b32 s19, -1
	s_delay_alu instid0(VALU_DEP_3) | instskip(NEXT) | instid1(VALU_DEP_1)
	v_pk_mul_f32 v[2:3], v[24:25], v[2:3] op_sel_hi:[0,1]
	v_pk_fma_f32 v[22:23], v[6:7], v[20:21], v[2:3] op_sel_hi:[0,1,1]
	v_pk_fma_f32 v[2:3], v[6:7], v[20:21], v[2:3] neg_lo:[0,0,1] neg_hi:[0,0,1]
	s_delay_alu instid0(VALU_DEP_2)
	v_mov_b32_e32 v3, v23
	s_cbranch_vccnz .LBB79_33
; %bb.32:                               ;   in Loop: Header=BB79_6 Depth=1
	global_load_b64 v[20:21], v[0:1], off
	v_mov_b64_e32 v[22:23], s[20:21]
	v_mov_b64_e32 v[32:33], s[2:3]
	s_mov_b32 s19, 0
	s_wait_loadcnt 0x0
	s_delay_alu instid0(VALU_DEP_2) | instskip(NEXT) | instid1(VALU_DEP_1)
	v_pk_mul_f32 v[22:23], v[20:21], v[22:23]
	v_pk_fma_f32 v[34:35], v[20:21], v[32:33], v[22:23] op_sel:[0,0,1] op_sel_hi:[1,1,0]
	v_pk_fma_f32 v[20:21], v[20:21], v[32:33], v[22:23] op_sel:[0,0,1] op_sel_hi:[1,1,0] neg_lo:[0,0,1] neg_hi:[0,0,1]
	s_delay_alu instid0(VALU_DEP_2) | instskip(NEXT) | instid1(VALU_DEP_1)
	v_mov_b32_e32 v21, v35
	v_pk_add_f32 v[20:21], v[2:3], v[20:21]
	global_store_b64 v[0:1], v[20:21], off
.LBB79_33:                              ;   in Loop: Header=BB79_6 Depth=1
	s_and_not1_b32 vcc_lo, exec_lo, s19
	s_cbranch_vccnz .LBB79_5
; %bb.34:                               ;   in Loop: Header=BB79_6 Depth=1
	global_store_b64 v[0:1], v[2:3], off
	s_branch .LBB79_5
.LBB79_35:
	s_endpgm
	.section	.rodata,"a",@progbits
	.p2align	6, 0x0
	.amdhsa_kernel _ZL29rocblas_internal_gemmt_kernelIiLi16ELi32ELi8ELc67ELc84ELc85ELb1ELb0E19rocblas_complex_numIfEPKS1_S3_PS1_EviT_T9_T10_S5_lS7_S5_lS6_T11_S5_li
		.amdhsa_group_segment_fixed_size 4096
		.amdhsa_private_segment_fixed_size 0
		.amdhsa_kernarg_size 100
		.amdhsa_user_sgpr_count 2
		.amdhsa_user_sgpr_dispatch_ptr 0
		.amdhsa_user_sgpr_queue_ptr 0
		.amdhsa_user_sgpr_kernarg_segment_ptr 1
		.amdhsa_user_sgpr_dispatch_id 0
		.amdhsa_user_sgpr_kernarg_preload_length 0
		.amdhsa_user_sgpr_kernarg_preload_offset 0
		.amdhsa_user_sgpr_private_segment_size 0
		.amdhsa_wavefront_size32 1
		.amdhsa_uses_dynamic_stack 0
		.amdhsa_enable_private_segment 0
		.amdhsa_system_sgpr_workgroup_id_x 1
		.amdhsa_system_sgpr_workgroup_id_y 1
		.amdhsa_system_sgpr_workgroup_id_z 1
		.amdhsa_system_sgpr_workgroup_info 0
		.amdhsa_system_vgpr_workitem_id 1
		.amdhsa_next_free_vgpr 57
		.amdhsa_next_free_sgpr 35
		.amdhsa_named_barrier_count 0
		.amdhsa_reserve_vcc 1
		.amdhsa_float_round_mode_32 0
		.amdhsa_float_round_mode_16_64 0
		.amdhsa_float_denorm_mode_32 3
		.amdhsa_float_denorm_mode_16_64 3
		.amdhsa_fp16_overflow 0
		.amdhsa_memory_ordered 1
		.amdhsa_forward_progress 1
		.amdhsa_inst_pref_size 26
		.amdhsa_round_robin_scheduling 0
		.amdhsa_exception_fp_ieee_invalid_op 0
		.amdhsa_exception_fp_denorm_src 0
		.amdhsa_exception_fp_ieee_div_zero 0
		.amdhsa_exception_fp_ieee_overflow 0
		.amdhsa_exception_fp_ieee_underflow 0
		.amdhsa_exception_fp_ieee_inexact 0
		.amdhsa_exception_int_div_zero 0
	.end_amdhsa_kernel
	.section	.text._ZL29rocblas_internal_gemmt_kernelIiLi16ELi32ELi8ELc67ELc84ELc85ELb1ELb0E19rocblas_complex_numIfEPKS1_S3_PS1_EviT_T9_T10_S5_lS7_S5_lS6_T11_S5_li,"axG",@progbits,_ZL29rocblas_internal_gemmt_kernelIiLi16ELi32ELi8ELc67ELc84ELc85ELb1ELb0E19rocblas_complex_numIfEPKS1_S3_PS1_EviT_T9_T10_S5_lS7_S5_lS6_T11_S5_li,comdat
.Lfunc_end79:
	.size	_ZL29rocblas_internal_gemmt_kernelIiLi16ELi32ELi8ELc67ELc84ELc85ELb1ELb0E19rocblas_complex_numIfEPKS1_S3_PS1_EviT_T9_T10_S5_lS7_S5_lS6_T11_S5_li, .Lfunc_end79-_ZL29rocblas_internal_gemmt_kernelIiLi16ELi32ELi8ELc67ELc84ELc85ELb1ELb0E19rocblas_complex_numIfEPKS1_S3_PS1_EviT_T9_T10_S5_lS7_S5_lS6_T11_S5_li
                                        ; -- End function
	.set _ZL29rocblas_internal_gemmt_kernelIiLi16ELi32ELi8ELc67ELc84ELc85ELb1ELb0E19rocblas_complex_numIfEPKS1_S3_PS1_EviT_T9_T10_S5_lS7_S5_lS6_T11_S5_li.num_vgpr, 57
	.set _ZL29rocblas_internal_gemmt_kernelIiLi16ELi32ELi8ELc67ELc84ELc85ELb1ELb0E19rocblas_complex_numIfEPKS1_S3_PS1_EviT_T9_T10_S5_lS7_S5_lS6_T11_S5_li.num_agpr, 0
	.set _ZL29rocblas_internal_gemmt_kernelIiLi16ELi32ELi8ELc67ELc84ELc85ELb1ELb0E19rocblas_complex_numIfEPKS1_S3_PS1_EviT_T9_T10_S5_lS7_S5_lS6_T11_S5_li.numbered_sgpr, 35
	.set _ZL29rocblas_internal_gemmt_kernelIiLi16ELi32ELi8ELc67ELc84ELc85ELb1ELb0E19rocblas_complex_numIfEPKS1_S3_PS1_EviT_T9_T10_S5_lS7_S5_lS6_T11_S5_li.num_named_barrier, 0
	.set _ZL29rocblas_internal_gemmt_kernelIiLi16ELi32ELi8ELc67ELc84ELc85ELb1ELb0E19rocblas_complex_numIfEPKS1_S3_PS1_EviT_T9_T10_S5_lS7_S5_lS6_T11_S5_li.private_seg_size, 0
	.set _ZL29rocblas_internal_gemmt_kernelIiLi16ELi32ELi8ELc67ELc84ELc85ELb1ELb0E19rocblas_complex_numIfEPKS1_S3_PS1_EviT_T9_T10_S5_lS7_S5_lS6_T11_S5_li.uses_vcc, 1
	.set _ZL29rocblas_internal_gemmt_kernelIiLi16ELi32ELi8ELc67ELc84ELc85ELb1ELb0E19rocblas_complex_numIfEPKS1_S3_PS1_EviT_T9_T10_S5_lS7_S5_lS6_T11_S5_li.uses_flat_scratch, 0
	.set _ZL29rocblas_internal_gemmt_kernelIiLi16ELi32ELi8ELc67ELc84ELc85ELb1ELb0E19rocblas_complex_numIfEPKS1_S3_PS1_EviT_T9_T10_S5_lS7_S5_lS6_T11_S5_li.has_dyn_sized_stack, 0
	.set _ZL29rocblas_internal_gemmt_kernelIiLi16ELi32ELi8ELc67ELc84ELc85ELb1ELb0E19rocblas_complex_numIfEPKS1_S3_PS1_EviT_T9_T10_S5_lS7_S5_lS6_T11_S5_li.has_recursion, 0
	.set _ZL29rocblas_internal_gemmt_kernelIiLi16ELi32ELi8ELc67ELc84ELc85ELb1ELb0E19rocblas_complex_numIfEPKS1_S3_PS1_EviT_T9_T10_S5_lS7_S5_lS6_T11_S5_li.has_indirect_call, 0
	.section	.AMDGPU.csdata,"",@progbits
; Kernel info:
; codeLenInByte = 3268
; TotalNumSgprs: 37
; NumVgprs: 57
; ScratchSize: 0
; MemoryBound: 0
; FloatMode: 240
; IeeeMode: 1
; LDSByteSize: 4096 bytes/workgroup (compile time only)
; SGPRBlocks: 0
; VGPRBlocks: 3
; NumSGPRsForWavesPerEU: 37
; NumVGPRsForWavesPerEU: 57
; NamedBarCnt: 0
; Occupancy: 16
; WaveLimiterHint : 0
; COMPUTE_PGM_RSRC2:SCRATCH_EN: 0
; COMPUTE_PGM_RSRC2:USER_SGPR: 2
; COMPUTE_PGM_RSRC2:TRAP_HANDLER: 0
; COMPUTE_PGM_RSRC2:TGID_X_EN: 1
; COMPUTE_PGM_RSRC2:TGID_Y_EN: 1
; COMPUTE_PGM_RSRC2:TGID_Z_EN: 1
; COMPUTE_PGM_RSRC2:TIDIG_COMP_CNT: 1
	.section	.text._ZL29rocblas_internal_gemmt_kernelIiLi16ELi32ELi8ELc67ELc67ELc85ELb1ELb1E19rocblas_complex_numIfEPKS1_S3_PS1_EviT_T9_T10_S5_lS7_S5_lS6_T11_S5_li,"axG",@progbits,_ZL29rocblas_internal_gemmt_kernelIiLi16ELi32ELi8ELc67ELc67ELc85ELb1ELb1E19rocblas_complex_numIfEPKS1_S3_PS1_EviT_T9_T10_S5_lS7_S5_lS6_T11_S5_li,comdat
	.globl	_ZL29rocblas_internal_gemmt_kernelIiLi16ELi32ELi8ELc67ELc67ELc85ELb1ELb1E19rocblas_complex_numIfEPKS1_S3_PS1_EviT_T9_T10_S5_lS7_S5_lS6_T11_S5_li ; -- Begin function _ZL29rocblas_internal_gemmt_kernelIiLi16ELi32ELi8ELc67ELc67ELc85ELb1ELb1E19rocblas_complex_numIfEPKS1_S3_PS1_EviT_T9_T10_S5_lS7_S5_lS6_T11_S5_li
	.p2align	8
	.type	_ZL29rocblas_internal_gemmt_kernelIiLi16ELi32ELi8ELc67ELc67ELc85ELb1ELb1E19rocblas_complex_numIfEPKS1_S3_PS1_EviT_T9_T10_S5_lS7_S5_lS6_T11_S5_li,@function
_ZL29rocblas_internal_gemmt_kernelIiLi16ELi32ELi8ELc67ELc67ELc85ELb1ELb1E19rocblas_complex_numIfEPKS1_S3_PS1_EviT_T9_T10_S5_lS7_S5_lS6_T11_S5_li: ; @_ZL29rocblas_internal_gemmt_kernelIiLi16ELi32ELi8ELc67ELc67ELc85ELb1ELb1E19rocblas_complex_numIfEPKS1_S3_PS1_EviT_T9_T10_S5_lS7_S5_lS6_T11_S5_li
; %bb.0:
	s_load_b128 s[4:7], s[0:1], 0x38
	s_wait_kmcnt 0x0
	s_load_b64 s[20:21], s[6:7], 0x0
	s_clause 0x1
	s_load_b128 s[8:11], s[0:1], 0x8
	s_load_b64 s[22:23], s[0:1], 0x0
	s_wait_kmcnt 0x0
	s_cmp_neq_f32 s20, 1.0
	s_load_b64 s[6:7], s[8:9], 0x0
	s_cselect_b32 s2, -1, 0
	s_and_b32 s3, s21, 0x7fffffff
	s_delay_alu instid0(SALU_CYCLE_1) | instskip(SKIP_3) | instid1(SALU_CYCLE_1)
	s_cmp_eq_u32 s3, 0
	s_cselect_b32 s29, -1, 0
	s_cmp_lg_u32 s3, 0
	s_cselect_b32 s3, -1, 0
	s_or_b32 s2, s2, s3
	s_delay_alu instid0(SALU_CYCLE_1)
	s_and_b32 vcc_lo, exec_lo, s2
	s_cbranch_vccnz .LBB80_2
; %bb.1:
	s_cmp_lg_u32 s23, 0
	s_cselect_b32 s2, -1, 0
	s_wait_kmcnt 0x0
	s_cmp_neq_f32 s6, 0
	s_cselect_b32 s3, -1, 0
	s_cmp_neq_f32 s7, 0
	s_cselect_b32 s8, -1, 0
	s_delay_alu instid0(SALU_CYCLE_1) | instskip(NEXT) | instid1(SALU_CYCLE_1)
	s_or_b32 s3, s3, s8
	s_and_b32 s2, s2, s3
.LBB80_2:
	s_delay_alu instid0(SALU_CYCLE_1)
	s_and_not1_b32 vcc_lo, exec_lo, s2
	s_cbranch_vccnz .LBB80_37
; %bb.3:
	s_load_b32 s28, s[0:1], 0x60
	s_bfe_u32 s2, ttmp6, 0x40014
	s_lshr_b32 s3, ttmp7, 16
	s_add_co_i32 s2, s2, 1
	s_wait_xcnt 0x0
	s_bfe_u32 s8, ttmp6, 0x40008
	s_mul_i32 s2, s3, s2
	s_getreg_b32 s30, hwreg(HW_REG_IB_STS2, 6, 4)
	s_add_co_i32 s8, s8, s2
	s_cmp_eq_u32 s30, 0
	s_mov_b32 s9, 0
	s_cselect_b32 s8, s3, s8
	s_wait_kmcnt 0x0
	s_cmp_ge_u32 s8, s28
	s_cbranch_scc1 .LBB80_37
; %bb.4:
	s_clause 0x3
	s_load_b32 s2, s[0:1], 0x18
	s_load_b32 s26, s[0:1], 0x30
	s_load_b96 s[16:18], s[0:1], 0x48
	s_load_b128 s[12:15], s[0:1], 0x20
	v_and_b32_e32 v6, 0x3ff, v0
	v_bfe_u32 v8, v0, 10, 10
	s_load_b64 s[24:25], s[0:1], 0x58
	s_wait_xcnt 0x0
	s_bfe_u32 s1, ttmp6, 0x4000c
	s_bfe_u32 s3, ttmp6, 0x40010
	s_and_b32 s31, ttmp7, 0xffff
	v_lshl_add_u32 v1, v8, 4, v6
	s_add_co_i32 s1, s1, 1
	s_add_co_i32 s3, s3, 1
	s_and_b32 s0, ttmp6, 15
	s_bfe_u32 s33, ttmp6, 0x40004
	s_mul_i32 s1, ttmp9, s1
	s_mul_i32 s34, s31, s3
	s_add_co_i32 s0, s0, s1
	s_add_co_i32 s33, s33, s34
	v_dual_lshrrev_b32 v25, 5, v1 :: v_dual_bitop2_b32 v4, 7, v0 bitop3:0x40
	s_wait_kmcnt 0x0
	s_ashr_i32 s3, s2, 31
	s_ashr_i32 s27, s26, 31
	;; [unrolled: 1-line block ×3, first 2 shown]
	v_dual_mov_b32 v7, 0 :: v_dual_lshlrev_b32 v9, 3, v4
	s_cmp_eq_u32 s30, 0
	v_dual_lshrrev_b32 v1, 3, v1 :: v_dual_bitop2_b32 v3, 31, v1 bitop3:0x40
	s_cselect_b32 s0, ttmp9, s0
	s_cselect_b32 s1, s31, s33
	s_lshl_b32 s30, s0, 5
	v_mov_b32_e32 v5, v7
	s_lshl_b32 s1, s1, 5
	s_delay_alu instid0(SALU_CYCLE_1) | instskip(SKIP_1) | instid1(VALU_DEP_3)
	v_dual_add_nc_u32 v2, s1, v1 :: v_dual_bitop2_b32 v0, s30, v3 bitop3:0x54
	v_lshlrev_b32_e32 v3, 3, v3
	v_mul_u64_e32 v[16:17], s[26:27], v[4:5]
	v_lshl_or_b32 v9, v1, 6, v9
	s_delay_alu instid0(VALU_DEP_4)
	v_ashrrev_i32_e32 v1, 31, v0
	v_dual_add_nc_u32 v18, s1, v8 :: v_dual_lshlrev_b32 v29, 3, v6
	v_cmp_gt_i32_e32 vcc_lo, s22, v0
	v_lshl_or_b32 v5, v25, 8, v3
	v_ashrrev_i32_e32 v3, 31, v2
	v_mul_u64_e32 v[0:1], s[2:3], v[0:1]
	v_dual_add_nc_u32 v20, 16, v18 :: v_dual_ashrrev_i32 v19, 31, v18
	v_lshl_add_u32 v31, v8, 6, 0x800
	v_add_nc_u32_e32 v8, s30, v6
	s_cmp_neq_f32 s6, 0
	s_delay_alu instid0(VALU_DEP_3)
	v_ashrrev_i32_e32 v21, 31, v20
	v_mul_u64_e32 v[12:13], s[18:19], v[18:19]
	v_add_nc_u32_e32 v27, 0x800, v9
	s_cselect_b32 s0, -1, 0
	s_cmp_neq_f32 s7, 0
	v_mul_u64_e32 v[14:15], s[18:19], v[20:21]
	v_dual_add_nc_u32 v10, 16, v8 :: v_dual_ashrrev_i32 v9, 31, v8
	s_cselect_b32 s31, -1, 0
	v_lshlrev_b32_e32 v6, 3, v25
	s_or_b32 s31, s0, s31
	v_cmp_gt_i32_e64 s0, s22, v2
	v_lshlrev_b64_e32 v[2:3], 3, v[2:3]
	v_ashrrev_i32_e32 v11, 31, v10
	s_cmp_gt_i32 s23, 0
	v_cmp_gt_i32_e64 s1, s22, v18
	s_cselect_b32 s33, -1, 0
	s_cmp_neq_f32 s20, 0
	v_cmp_le_i32_e64 s2, v8, v18
	v_lshl_add_u64 v[2:3], v[16:17], 3, v[2:3]
	v_cmp_le_i32_e64 s3, v10, v18
	s_cselect_b32 s30, -1, 0
	s_xor_b32 s29, s29, -1
	s_and_b32 s19, s1, s2
	v_add_nc_u64_e32 v[2:3], s[14:15], v[2:3]
	s_or_b32 s18, s30, s29
	v_lshl_add_u64 v[0:1], v[0:1], 3, v[6:7]
	s_and_b32 s29, s1, s3
	v_cmp_gt_i32_e64 s1, s22, v20
	v_cmp_le_i32_e64 s2, v8, v20
	v_cmp_le_i32_e64 s3, v10, v20
	v_add_nc_u64_e32 v[16:17], s[10:11], v[0:1]
	v_add_nc_u64_e32 v[18:19], 4, v[2:3]
	s_mov_b32 s14, s7
	s_and_b32 s22, s1, s2
	s_and_b32 s30, s1, s3
	s_mov_b32 s2, s20
	s_mov_b32 s3, s20
	;; [unrolled: 1-line block ×4, first 2 shown]
	s_lshl_b64 s[10:11], s[12:13], 3
	s_lshl_b64 s[4:5], s[4:5], 3
	s_and_b32 s31, s31, s33
	s_lshl_b64 s[12:13], s[26:27], 6
	s_xor_b32 s26, vcc_lo, -1
	s_xor_b32 s27, s0, -1
	s_branch .LBB80_6
.LBB80_5:                               ;   in Loop: Header=BB80_6 Depth=1
	s_wait_xcnt 0x0
	s_or_b32 exec_lo, exec_lo, s0
	s_add_co_i32 s8, s8, 0x10000
	s_delay_alu instid0(SALU_CYCLE_1)
	s_cmp_lt_u32 s8, s28
	s_cbranch_scc0 .LBB80_37
.LBB80_6:                               ; =>This Loop Header: Depth=1
                                        ;     Child Loop BB80_9 Depth 2
	v_dual_mov_b32 v34, 0 :: v_dual_mov_b32 v36, 0
	v_dual_mov_b32 v30, 0 :: v_dual_mov_b32 v32, 0
	;; [unrolled: 1-line block ×4, first 2 shown]
	s_and_not1_b32 vcc_lo, exec_lo, s31
	s_cbranch_vccnz .LBB80_17
; %bb.7:                                ;   in Loop: Header=BB80_6 Depth=1
	v_mad_nc_u64_u32 v[20:21], s10, s8, v[16:17]
	v_mad_nc_u64_u32 v[22:23], s4, s8, v[18:19]
	v_dual_mov_b32 v24, 0 :: v_dual_mov_b32 v6, 0
	v_dual_mov_b32 v28, 0 :: v_dual_mov_b32 v26, 0
	;; [unrolled: 1-line block ×4, first 2 shown]
	s_mov_b32 s0, 0
	v_mad_u32 v21, s11, s8, v21
	v_mad_u32 v23, s5, s8, v23
	s_branch .LBB80_9
.LBB80_8:                               ;   in Loop: Header=BB80_9 Depth=2
	s_wait_xcnt 0x0
	s_or_b32 exec_lo, exec_lo, s1
	ds_store_b32 v27, v0 offset:4
	s_wait_dscnt 0x0
	s_barrier_signal -1
	s_barrier_wait -1
	ds_load_b128 v[38:41], v31
	ds_load_b128 v[42:45], v31 offset:16
	ds_load_b128 v[46:49], v31 offset:32
	;; [unrolled: 1-line block ×3, first 2 shown]
	ds_load_2addr_b64 v[50:53], v29 offset1:16
	v_add_nc_u64_e32 v[20:21], 64, v[20:21]
	v_add_nc_u64_e32 v[22:23], s[12:13], v[22:23]
	s_add_co_i32 s0, s0, 8
	s_delay_alu instid0(SALU_CYCLE_1) | instskip(SKIP_2) | instid1(VALU_DEP_1)
	s_cmp_lt_i32 s0, s23
	s_wait_dscnt 0x0
	v_dual_mul_f32 v33, v39, v51 :: v_dual_mul_f32 v35, v38, v51
	v_dual_fma_f32 v33, v38, v50, -v33 :: v_dual_fmac_f32 v35, v39, v50
	s_delay_alu instid0(VALU_DEP_1) | instskip(SKIP_1) | instid1(VALU_DEP_1)
	v_dual_add_f32 v54, v34, v33 :: v_dual_add_f32 v55, v36, v35
	v_dual_mul_f32 v33, v39, v53 :: v_dual_mul_f32 v34, v38, v53
	v_dual_fma_f32 v33, v38, v52, -v33 :: v_dual_fmac_f32 v34, v39, v52
	s_delay_alu instid0(VALU_DEP_1) | instskip(SKIP_3) | instid1(VALU_DEP_1)
	v_dual_add_f32 v30, v30, v33 :: v_dual_add_f32 v56, v32, v34
	ds_load_b128 v[32:35], v31 offset:1024
	s_wait_dscnt 0x0
	v_dual_mul_f32 v36, v33, v51 :: v_dual_mul_f32 v37, v32, v51
	v_dual_fma_f32 v36, v32, v50, -v36 :: v_dual_fmac_f32 v37, v33, v50
	s_delay_alu instid0(VALU_DEP_1) | instskip(SKIP_1) | instid1(VALU_DEP_1)
	v_dual_add_f32 v26, v26, v36 :: v_dual_add_f32 v28, v28, v37
	v_mul_f32_e32 v36, v33, v53
	v_dual_fma_f32 v36, v32, v52, -v36 :: v_dual_mul_f32 v32, v32, v53
	s_delay_alu instid0(VALU_DEP_1) | instskip(SKIP_3) | instid1(VALU_DEP_1)
	v_add_f32_e32 v6, v6, v36
	ds_load_2addr_b64 v[36:39], v29 offset0:32 offset1:48
	s_wait_dscnt 0x0
	v_dual_fmac_f32 v32, v33, v52 :: v_dual_mul_f32 v33, v40, v37
	v_dual_add_f32 v24, v24, v32 :: v_dual_mul_f32 v32, v41, v37
	s_delay_alu instid0(VALU_DEP_1) | instskip(NEXT) | instid1(VALU_DEP_1)
	v_dual_fmac_f32 v33, v41, v36 :: v_dual_fma_f32 v32, v40, v36, -v32
	v_dual_add_f32 v50, v54, v32 :: v_dual_mul_f32 v32, v41, v39
	s_delay_alu instid0(VALU_DEP_1) | instskip(NEXT) | instid1(VALU_DEP_1)
	v_dual_add_f32 v51, v55, v33 :: v_dual_fma_f32 v32, v40, v38, -v32
	v_dual_mul_f32 v33, v40, v39 :: v_dual_add_f32 v30, v30, v32
	s_delay_alu instid0(VALU_DEP_1) | instskip(NEXT) | instid1(VALU_DEP_1)
	v_dual_fmac_f32 v33, v41, v38 :: v_dual_mul_f32 v32, v35, v37
	v_dual_add_f32 v40, v56, v33 :: v_dual_fma_f32 v32, v34, v36, -v32
	v_mul_f32_e32 v33, v34, v37
	s_delay_alu instid0(VALU_DEP_2) | instskip(NEXT) | instid1(VALU_DEP_1)
	v_dual_add_f32 v26, v26, v32 :: v_dual_mul_f32 v32, v35, v39
	v_dual_fmac_f32 v33, v35, v36 :: v_dual_fma_f32 v32, v34, v38, -v32
	s_delay_alu instid0(VALU_DEP_1) | instskip(NEXT) | instid1(VALU_DEP_1)
	v_dual_add_f32 v28, v28, v33 :: v_dual_mul_f32 v33, v34, v39
	v_dual_add_f32 v6, v6, v32 :: v_dual_fmac_f32 v33, v35, v38
	s_delay_alu instid0(VALU_DEP_1) | instskip(SKIP_3) | instid1(VALU_DEP_1)
	v_add_f32_e32 v24, v24, v33
	ds_load_2addr_b64 v[32:35], v29 offset0:64 offset1:80
	s_wait_dscnt 0x0
	v_dual_mul_f32 v36, v43, v33 :: v_dual_mul_f32 v37, v42, v33
	v_dual_fma_f32 v36, v42, v32, -v36 :: v_dual_fmac_f32 v37, v43, v32
	s_delay_alu instid0(VALU_DEP_1) | instskip(SKIP_1) | instid1(VALU_DEP_1)
	v_dual_add_f32 v41, v50, v36 :: v_dual_add_f32 v50, v51, v37
	v_dual_mul_f32 v36, v43, v35 :: v_dual_mul_f32 v37, v42, v35
	v_dual_fma_f32 v36, v42, v34, -v36 :: v_dual_fmac_f32 v37, v43, v34
	s_delay_alu instid0(VALU_DEP_1) | instskip(SKIP_3) | instid1(VALU_DEP_1)
	v_dual_add_f32 v30, v30, v36 :: v_dual_add_f32 v40, v40, v37
	ds_load_b128 v[36:39], v31 offset:1040
	s_wait_dscnt 0x0
	v_dual_mul_f32 v42, v37, v33 :: v_dual_mul_f32 v33, v36, v33
	v_dual_fma_f32 v42, v36, v32, -v42 :: v_dual_fmac_f32 v33, v37, v32
	s_delay_alu instid0(VALU_DEP_1) | instskip(NEXT) | instid1(VALU_DEP_2)
	v_dual_mul_f32 v32, v37, v35 :: v_dual_add_f32 v26, v26, v42
	v_add_f32_e32 v28, v28, v33
	s_delay_alu instid0(VALU_DEP_2) | instskip(NEXT) | instid1(VALU_DEP_1)
	v_dual_mul_f32 v33, v36, v35 :: v_dual_fma_f32 v32, v36, v34, -v32
	v_dual_fmac_f32 v33, v37, v34 :: v_dual_add_f32 v6, v6, v32
	s_delay_alu instid0(VALU_DEP_1) | instskip(SKIP_3) | instid1(VALU_DEP_1)
	v_add_f32_e32 v24, v24, v33
	ds_load_2addr_b64 v[32:35], v29 offset0:96 offset1:112
	s_wait_dscnt 0x0
	v_dual_mul_f32 v36, v45, v33 :: v_dual_mul_f32 v37, v44, v33
	v_dual_mul_f32 v42, v44, v35 :: v_dual_fma_f32 v36, v44, v32, -v36
	s_delay_alu instid0(VALU_DEP_1) | instskip(NEXT) | instid1(VALU_DEP_1)
	v_dual_fmac_f32 v37, v45, v32 :: v_dual_fmac_f32 v42, v45, v34
	v_dual_add_f32 v36, v41, v36 :: v_dual_add_f32 v37, v50, v37
	s_delay_alu instid0(VALU_DEP_2) | instskip(NEXT) | instid1(VALU_DEP_1)
	v_dual_mul_f32 v41, v45, v35 :: v_dual_add_f32 v40, v40, v42
	v_fma_f32 v41, v44, v34, -v41
	s_delay_alu instid0(VALU_DEP_1) | instskip(SKIP_1) | instid1(VALU_DEP_1)
	v_add_f32_e32 v30, v30, v41
	v_dual_mul_f32 v41, v39, v33 :: v_dual_mul_f32 v33, v38, v33
	v_fmac_f32_e32 v33, v39, v32
	s_delay_alu instid0(VALU_DEP_2) | instskip(NEXT) | instid1(VALU_DEP_2)
	v_dual_fma_f32 v41, v38, v32, -v41 :: v_dual_mul_f32 v32, v39, v35
	v_dual_add_f32 v28, v28, v33 :: v_dual_mul_f32 v33, v38, v35
	s_delay_alu instid0(VALU_DEP_2) | instskip(NEXT) | instid1(VALU_DEP_2)
	v_fma_f32 v32, v38, v34, -v32
	v_dual_add_f32 v26, v26, v41 :: v_dual_fmac_f32 v33, v39, v34
	s_delay_alu instid0(VALU_DEP_1) | instskip(SKIP_3) | instid1(VALU_DEP_1)
	v_dual_add_f32 v6, v6, v32 :: v_dual_add_f32 v24, v24, v33
	ds_load_2addr_b64 v[32:35], v29 offset0:128 offset1:144
	s_wait_dscnt 0x0
	v_dual_mul_f32 v38, v47, v33 :: v_dual_mul_f32 v39, v46, v33
	v_dual_fma_f32 v38, v46, v32, -v38 :: v_dual_fmac_f32 v39, v47, v32
	s_delay_alu instid0(VALU_DEP_1) | instskip(SKIP_1) | instid1(VALU_DEP_1)
	v_dual_add_f32 v41, v36, v38 :: v_dual_add_f32 v42, v37, v39
	v_dual_mul_f32 v36, v47, v35 :: v_dual_mul_f32 v37, v46, v35
	v_dual_fma_f32 v36, v46, v34, -v36 :: v_dual_fmac_f32 v37, v47, v34
	s_delay_alu instid0(VALU_DEP_1) | instskip(SKIP_3) | instid1(VALU_DEP_1)
	v_dual_add_f32 v30, v30, v36 :: v_dual_add_f32 v40, v40, v37
	ds_load_b128 v[36:39], v31 offset:1056
	s_wait_dscnt 0x0
	v_dual_mul_f32 v43, v37, v33 :: v_dual_mul_f32 v33, v36, v33
	v_dual_fma_f32 v43, v36, v32, -v43 :: v_dual_fmac_f32 v33, v37, v32
	v_mul_f32_e32 v32, v37, v35
	s_delay_alu instid0(VALU_DEP_2) | instskip(NEXT) | instid1(VALU_DEP_2)
	v_dual_add_f32 v26, v26, v43 :: v_dual_add_f32 v28, v28, v33
	v_dual_mul_f32 v33, v36, v35 :: v_dual_fma_f32 v32, v36, v34, -v32
	s_delay_alu instid0(VALU_DEP_1) | instskip(NEXT) | instid1(VALU_DEP_1)
	v_dual_fmac_f32 v33, v37, v34 :: v_dual_add_f32 v6, v6, v32
	v_add_f32_e32 v24, v24, v33
	ds_load_2addr_b64 v[32:35], v29 offset0:160 offset1:176
	s_wait_dscnt 0x0
	v_dual_mul_f32 v36, v49, v33 :: v_dual_mul_f32 v37, v48, v33
	s_delay_alu instid0(VALU_DEP_1) | instskip(NEXT) | instid1(VALU_DEP_1)
	v_dual_fma_f32 v36, v48, v32, -v36 :: v_dual_fmac_f32 v37, v49, v32
	v_dual_add_f32 v36, v41, v36 :: v_dual_add_f32 v37, v42, v37
	v_dual_mul_f32 v41, v49, v35 :: v_dual_mul_f32 v42, v48, v35
	s_delay_alu instid0(VALU_DEP_1) | instskip(NEXT) | instid1(VALU_DEP_1)
	v_dual_fma_f32 v41, v48, v34, -v41 :: v_dual_fmac_f32 v42, v49, v34
	v_dual_add_f32 v30, v30, v41 :: v_dual_add_f32 v40, v40, v42
	v_dual_mul_f32 v41, v39, v33 :: v_dual_mul_f32 v33, v38, v33
	s_delay_alu instid0(VALU_DEP_1) | instskip(NEXT) | instid1(VALU_DEP_2)
	v_fmac_f32_e32 v33, v39, v32
	v_dual_fma_f32 v41, v38, v32, -v41 :: v_dual_mul_f32 v32, v39, v35
	s_delay_alu instid0(VALU_DEP_2) | instskip(NEXT) | instid1(VALU_DEP_2)
	v_dual_add_f32 v28, v28, v33 :: v_dual_mul_f32 v33, v38, v35
	v_fma_f32 v32, v38, v34, -v32
	s_delay_alu instid0(VALU_DEP_2) | instskip(NEXT) | instid1(VALU_DEP_1)
	v_dual_add_f32 v26, v26, v41 :: v_dual_fmac_f32 v33, v39, v34
	v_dual_add_f32 v6, v6, v32 :: v_dual_add_f32 v24, v24, v33
	ds_load_2addr_b64 v[32:35], v29 offset0:192 offset1:208
	s_wait_dscnt 0x0
	v_dual_mul_f32 v38, v1, v33 :: v_dual_mul_f32 v39, v0, v33
	s_delay_alu instid0(VALU_DEP_1) | instskip(NEXT) | instid1(VALU_DEP_1)
	v_dual_fma_f32 v38, v0, v32, -v38 :: v_dual_fmac_f32 v39, v1, v32
	v_dual_add_f32 v44, v36, v38 :: v_dual_add_f32 v45, v37, v39
	v_mul_f32_e32 v36, v1, v35
	s_delay_alu instid0(VALU_DEP_1) | instskip(NEXT) | instid1(VALU_DEP_1)
	v_dual_fma_f32 v36, v0, v34, -v36 :: v_dual_mul_f32 v0, v0, v35
	v_dual_fmac_f32 v0, v1, v34 :: v_dual_add_f32 v1, v30, v36
	ds_load_b128 v[36:39], v31 offset:1072
	s_wait_dscnt 0x0
	v_dual_mul_f32 v30, v37, v33 :: v_dual_mul_f32 v33, v36, v33
	s_delay_alu instid0(VALU_DEP_1)
	v_fma_f32 v30, v36, v32, -v30
	v_add_f32_e32 v0, v40, v0
	ds_load_2addr_b64 v[40:43], v29 offset0:224 offset1:240
	v_dual_fmac_f32 v33, v37, v32 :: v_dual_mul_f32 v32, v36, v35
	v_dual_add_f32 v26, v26, v30 :: v_dual_mul_f32 v30, v37, v35
	s_wait_dscnt 0x0
	s_delay_alu instid0(VALU_DEP_2) | instskip(SKIP_1) | instid1(VALU_DEP_2)
	v_dual_add_f32 v28, v28, v33 :: v_dual_fmac_f32 v32, v37, v34
	s_barrier_signal -1
	v_fma_f32 v30, v36, v34, -v30
	s_barrier_wait -1
	s_delay_alu instid0(VALU_DEP_1) | instskip(SKIP_1) | instid1(VALU_DEP_1)
	v_dual_add_f32 v24, v24, v32 :: v_dual_add_f32 v6, v6, v30
	v_dual_mul_f32 v30, v3, v41 :: v_dual_mul_f32 v32, v2, v41
	v_dual_fma_f32 v30, v2, v40, -v30 :: v_dual_fmac_f32 v32, v3, v40
	s_delay_alu instid0(VALU_DEP_1) | instskip(SKIP_1) | instid1(VALU_DEP_1)
	v_dual_add_f32 v34, v44, v30 :: v_dual_add_f32 v36, v45, v32
	v_mul_f32_e32 v30, v3, v43
	v_dual_fma_f32 v30, v2, v42, -v30 :: v_dual_mul_f32 v2, v2, v43
	s_delay_alu instid0(VALU_DEP_1) | instskip(NEXT) | instid1(VALU_DEP_1)
	v_fmac_f32_e32 v2, v3, v42
	v_dual_add_f32 v32, v0, v2 :: v_dual_mul_f32 v0, v39, v41
	s_delay_alu instid0(VALU_DEP_3) | instskip(NEXT) | instid1(VALU_DEP_1)
	v_dual_add_f32 v30, v1, v30 :: v_dual_mul_f32 v1, v38, v41
	v_dual_fma_f32 v0, v38, v40, -v0 :: v_dual_fmac_f32 v1, v39, v40
	s_delay_alu instid0(VALU_DEP_1) | instskip(NEXT) | instid1(VALU_DEP_2)
	v_dual_add_f32 v26, v26, v0 :: v_dual_mul_f32 v0, v39, v43
	v_dual_add_f32 v28, v28, v1 :: v_dual_mul_f32 v1, v38, v43
	s_delay_alu instid0(VALU_DEP_1) | instskip(NEXT) | instid1(VALU_DEP_1)
	v_dual_fma_f32 v0, v38, v42, -v0 :: v_dual_fmac_f32 v1, v39, v42
	v_dual_add_f32 v6, v6, v0 :: v_dual_add_f32 v24, v24, v1
	s_cbranch_scc0 .LBB80_17
.LBB80_9:                               ;   Parent Loop BB80_6 Depth=1
                                        ; =>  This Inner Loop Header: Depth=2
	v_add_nc_u32_e32 v0, s0, v25
	s_delay_alu instid0(VALU_DEP_1) | instskip(SKIP_1) | instid1(SALU_CYCLE_1)
	v_cmp_le_i32_e32 vcc_lo, s23, v0
	s_or_b32 s1, s26, vcc_lo
	s_and_saveexec_b32 s33, s1
	s_delay_alu instid0(SALU_CYCLE_1)
	s_xor_b32 s1, exec_lo, s33
; %bb.10:                               ;   in Loop: Header=BB80_9 Depth=2
	ds_store_b32 v5, v7
; %bb.11:                               ;   in Loop: Header=BB80_9 Depth=2
	s_or_saveexec_b32 s1, s1
	v_mov_b32_e32 v0, 0
	s_xor_b32 exec_lo, exec_lo, s1
	s_cbranch_execz .LBB80_13
; %bb.12:                               ;   in Loop: Header=BB80_9 Depth=2
	global_load_b64 v[2:3], v[20:21], off
	s_wait_loadcnt 0x0
	v_xor_b32_e32 v0, 0x80000000, v3
	ds_store_b32 v5, v2
.LBB80_13:                              ;   in Loop: Header=BB80_9 Depth=2
	s_wait_xcnt 0x0
	s_or_b32 exec_lo, exec_lo, s1
	v_add_nc_u32_e32 v1, s0, v4
	ds_store_b32 v5, v0 offset:4
	v_cmp_le_i32_e32 vcc_lo, s23, v1
	s_or_b32 s1, vcc_lo, s27
	s_delay_alu instid0(SALU_CYCLE_1) | instskip(NEXT) | instid1(SALU_CYCLE_1)
	s_and_saveexec_b32 s33, s1
	s_xor_b32 s1, exec_lo, s33
; %bb.14:                               ;   in Loop: Header=BB80_9 Depth=2
	ds_store_b32 v27, v7
; %bb.15:                               ;   in Loop: Header=BB80_9 Depth=2
	s_or_saveexec_b32 s1, s1
	v_mov_b32_e32 v0, 0
	s_xor_b32 exec_lo, exec_lo, s1
	s_cbranch_execz .LBB80_8
; %bb.16:                               ;   in Loop: Header=BB80_9 Depth=2
	global_load_b64 v[2:3], v[22:23], off offset:-4
	s_wait_loadcnt 0x0
	v_xor_b32_e32 v0, 0x80000000, v3
	ds_store_b32 v27, v2
	s_branch .LBB80_8
.LBB80_17:                              ;   in Loop: Header=BB80_6 Depth=1
	s_mul_u64 s[0:1], s[24:25], s[8:9]
	s_delay_alu instid0(SALU_CYCLE_1) | instskip(NEXT) | instid1(SALU_CYCLE_1)
	s_lshl_b64 s[0:1], s[0:1], 3
	s_add_nc_u64 s[0:1], s[16:17], s[0:1]
	s_delay_alu instid0(SALU_CYCLE_1)
	v_lshl_add_u64 v[0:1], v[12:13], 3, s[0:1]
	s_and_saveexec_b32 s33, s19
	s_cbranch_execz .LBB80_22
; %bb.18:                               ;   in Loop: Header=BB80_6 Depth=1
	v_mov_b64_e32 v[2:3], s[14:15]
	v_mov_b64_e32 v[20:21], s[6:7]
	s_and_b32 vcc_lo, exec_lo, s18
	s_mov_b32 s34, -1
	s_delay_alu instid0(VALU_DEP_2) | instskip(NEXT) | instid1(VALU_DEP_1)
	v_pk_mul_f32 v[2:3], v[36:37], v[2:3] op_sel_hi:[0,1]
	v_pk_fma_f32 v[22:23], v[34:35], v[20:21], v[2:3] op_sel_hi:[0,1,1]
	v_pk_fma_f32 v[2:3], v[34:35], v[20:21], v[2:3] neg_lo:[0,0,1] neg_hi:[0,0,1]
	v_lshl_add_u64 v[20:21], v[8:9], 3, v[0:1]
	s_delay_alu instid0(VALU_DEP_3)
	v_mov_b32_e32 v3, v23
	s_cbranch_vccz .LBB80_20
; %bb.19:                               ;   in Loop: Header=BB80_6 Depth=1
	global_load_b64 v[22:23], v[20:21], off
	v_mov_b64_e32 v[34:35], s[20:21]
	v_mov_b64_e32 v[36:37], s[2:3]
	s_mov_b32 s34, 0
	s_wait_loadcnt 0x0
	s_delay_alu instid0(VALU_DEP_2) | instskip(NEXT) | instid1(VALU_DEP_1)
	v_pk_mul_f32 v[34:35], v[22:23], v[34:35]
	v_pk_fma_f32 v[38:39], v[22:23], v[36:37], v[34:35] op_sel:[0,0,1] op_sel_hi:[1,1,0]
	v_pk_fma_f32 v[22:23], v[22:23], v[36:37], v[34:35] op_sel:[0,0,1] op_sel_hi:[1,1,0] neg_lo:[0,0,1] neg_hi:[0,0,1]
	s_delay_alu instid0(VALU_DEP_2) | instskip(NEXT) | instid1(VALU_DEP_1)
	v_mov_b32_e32 v23, v39
	v_pk_add_f32 v[22:23], v[2:3], v[22:23]
	global_store_b64 v[20:21], v[22:23], off
.LBB80_20:                              ;   in Loop: Header=BB80_6 Depth=1
	s_and_not1_b32 vcc_lo, exec_lo, s34
	s_cbranch_vccnz .LBB80_22
; %bb.21:                               ;   in Loop: Header=BB80_6 Depth=1
	global_store_b64 v[20:21], v[2:3], off
.LBB80_22:                              ;   in Loop: Header=BB80_6 Depth=1
	s_wait_xcnt 0x0
	s_or_b32 exec_lo, exec_lo, s33
	s_and_saveexec_b32 s33, s29
	s_cbranch_execz .LBB80_27
; %bb.23:                               ;   in Loop: Header=BB80_6 Depth=1
	v_mov_b64_e32 v[2:3], s[14:15]
	v_mov_b64_e32 v[20:21], s[6:7]
	v_lshl_add_u64 v[0:1], v[10:11], 3, v[0:1]
	s_and_not1_b32 vcc_lo, exec_lo, s18
	s_mov_b32 s34, -1
	s_delay_alu instid0(VALU_DEP_3) | instskip(NEXT) | instid1(VALU_DEP_1)
	v_pk_mul_f32 v[2:3], v[32:33], v[2:3] op_sel_hi:[0,1]
	v_pk_fma_f32 v[22:23], v[30:31], v[20:21], v[2:3] op_sel_hi:[0,1,1]
	v_pk_fma_f32 v[2:3], v[30:31], v[20:21], v[2:3] neg_lo:[0,0,1] neg_hi:[0,0,1]
	s_delay_alu instid0(VALU_DEP_2)
	v_mov_b32_e32 v3, v23
	s_cbranch_vccnz .LBB80_25
; %bb.24:                               ;   in Loop: Header=BB80_6 Depth=1
	global_load_b64 v[20:21], v[0:1], off
	v_mov_b64_e32 v[22:23], s[20:21]
	v_mov_b64_e32 v[32:33], s[2:3]
	s_mov_b32 s34, 0
	s_wait_loadcnt 0x0
	s_delay_alu instid0(VALU_DEP_2) | instskip(NEXT) | instid1(VALU_DEP_1)
	v_pk_mul_f32 v[22:23], v[20:21], v[22:23]
	v_pk_fma_f32 v[34:35], v[20:21], v[32:33], v[22:23] op_sel:[0,0,1] op_sel_hi:[1,1,0]
	v_pk_fma_f32 v[20:21], v[20:21], v[32:33], v[22:23] op_sel:[0,0,1] op_sel_hi:[1,1,0] neg_lo:[0,0,1] neg_hi:[0,0,1]
	s_delay_alu instid0(VALU_DEP_2) | instskip(NEXT) | instid1(VALU_DEP_1)
	v_mov_b32_e32 v21, v35
	v_pk_add_f32 v[20:21], v[2:3], v[20:21]
	global_store_b64 v[0:1], v[20:21], off
.LBB80_25:                              ;   in Loop: Header=BB80_6 Depth=1
	s_and_not1_b32 vcc_lo, exec_lo, s34
	s_cbranch_vccnz .LBB80_27
; %bb.26:                               ;   in Loop: Header=BB80_6 Depth=1
	global_store_b64 v[0:1], v[2:3], off
.LBB80_27:                              ;   in Loop: Header=BB80_6 Depth=1
	s_wait_xcnt 0x0
	s_or_b32 exec_lo, exec_lo, s33
	v_lshl_add_u64 v[0:1], v[14:15], 3, s[0:1]
	s_and_saveexec_b32 s0, s22
	s_cbranch_execz .LBB80_32
; %bb.28:                               ;   in Loop: Header=BB80_6 Depth=1
	v_mov_b64_e32 v[2:3], s[14:15]
	v_mov_b64_e32 v[20:21], s[6:7]
	s_and_not1_b32 vcc_lo, exec_lo, s18
	s_mov_b32 s1, -1
	s_delay_alu instid0(VALU_DEP_2) | instskip(NEXT) | instid1(VALU_DEP_1)
	v_pk_mul_f32 v[2:3], v[28:29], v[2:3] op_sel_hi:[0,1]
	v_pk_fma_f32 v[22:23], v[26:27], v[20:21], v[2:3] op_sel_hi:[0,1,1]
	v_pk_fma_f32 v[2:3], v[26:27], v[20:21], v[2:3] neg_lo:[0,0,1] neg_hi:[0,0,1]
	v_lshl_add_u64 v[20:21], v[8:9], 3, v[0:1]
	s_delay_alu instid0(VALU_DEP_3)
	v_mov_b32_e32 v3, v23
	s_cbranch_vccnz .LBB80_30
; %bb.29:                               ;   in Loop: Header=BB80_6 Depth=1
	global_load_b64 v[22:23], v[20:21], off
	v_mov_b64_e32 v[32:33], s[20:21]
	v_mov_b64_e32 v[34:35], s[2:3]
	s_mov_b32 s1, 0
	s_wait_loadcnt 0x0
	s_delay_alu instid0(VALU_DEP_2) | instskip(NEXT) | instid1(VALU_DEP_1)
	v_pk_mul_f32 v[32:33], v[22:23], v[32:33]
	v_pk_fma_f32 v[36:37], v[22:23], v[34:35], v[32:33] op_sel:[0,0,1] op_sel_hi:[1,1,0]
	v_pk_fma_f32 v[22:23], v[22:23], v[34:35], v[32:33] op_sel:[0,0,1] op_sel_hi:[1,1,0] neg_lo:[0,0,1] neg_hi:[0,0,1]
	s_delay_alu instid0(VALU_DEP_2) | instskip(NEXT) | instid1(VALU_DEP_1)
	v_mov_b32_e32 v23, v37
	v_pk_add_f32 v[22:23], v[2:3], v[22:23]
	global_store_b64 v[20:21], v[22:23], off
.LBB80_30:                              ;   in Loop: Header=BB80_6 Depth=1
	s_and_not1_b32 vcc_lo, exec_lo, s1
	s_cbranch_vccnz .LBB80_32
; %bb.31:                               ;   in Loop: Header=BB80_6 Depth=1
	global_store_b64 v[20:21], v[2:3], off
.LBB80_32:                              ;   in Loop: Header=BB80_6 Depth=1
	s_wait_xcnt 0x0
	s_or_b32 exec_lo, exec_lo, s0
	s_and_saveexec_b32 s0, s30
	s_cbranch_execz .LBB80_5
; %bb.33:                               ;   in Loop: Header=BB80_6 Depth=1
	v_mov_b64_e32 v[2:3], s[14:15]
	v_mov_b64_e32 v[20:21], s[6:7]
	v_lshl_add_u64 v[0:1], v[10:11], 3, v[0:1]
	s_and_not1_b32 vcc_lo, exec_lo, s18
	s_mov_b32 s1, -1
	s_delay_alu instid0(VALU_DEP_3) | instskip(NEXT) | instid1(VALU_DEP_1)
	v_pk_mul_f32 v[2:3], v[24:25], v[2:3] op_sel_hi:[0,1]
	v_pk_fma_f32 v[22:23], v[6:7], v[20:21], v[2:3] op_sel_hi:[0,1,1]
	v_pk_fma_f32 v[2:3], v[6:7], v[20:21], v[2:3] neg_lo:[0,0,1] neg_hi:[0,0,1]
	s_delay_alu instid0(VALU_DEP_2)
	v_mov_b32_e32 v3, v23
	s_cbranch_vccnz .LBB80_35
; %bb.34:                               ;   in Loop: Header=BB80_6 Depth=1
	global_load_b64 v[20:21], v[0:1], off
	v_mov_b64_e32 v[22:23], s[20:21]
	v_mov_b64_e32 v[32:33], s[2:3]
	s_mov_b32 s1, 0
	s_wait_loadcnt 0x0
	s_delay_alu instid0(VALU_DEP_2) | instskip(NEXT) | instid1(VALU_DEP_1)
	v_pk_mul_f32 v[22:23], v[20:21], v[22:23]
	v_pk_fma_f32 v[34:35], v[20:21], v[32:33], v[22:23] op_sel:[0,0,1] op_sel_hi:[1,1,0]
	v_pk_fma_f32 v[20:21], v[20:21], v[32:33], v[22:23] op_sel:[0,0,1] op_sel_hi:[1,1,0] neg_lo:[0,0,1] neg_hi:[0,0,1]
	s_delay_alu instid0(VALU_DEP_2) | instskip(NEXT) | instid1(VALU_DEP_1)
	v_mov_b32_e32 v21, v35
	v_pk_add_f32 v[20:21], v[2:3], v[20:21]
	global_store_b64 v[0:1], v[20:21], off
.LBB80_35:                              ;   in Loop: Header=BB80_6 Depth=1
	s_and_not1_b32 vcc_lo, exec_lo, s1
	s_cbranch_vccnz .LBB80_5
; %bb.36:                               ;   in Loop: Header=BB80_6 Depth=1
	global_store_b64 v[0:1], v[2:3], off
	s_branch .LBB80_5
.LBB80_37:
	s_endpgm
	.section	.rodata,"a",@progbits
	.p2align	6, 0x0
	.amdhsa_kernel _ZL29rocblas_internal_gemmt_kernelIiLi16ELi32ELi8ELc67ELc67ELc85ELb1ELb1E19rocblas_complex_numIfEPKS1_S3_PS1_EviT_T9_T10_S5_lS7_S5_lS6_T11_S5_li
		.amdhsa_group_segment_fixed_size 4096
		.amdhsa_private_segment_fixed_size 0
		.amdhsa_kernarg_size 100
		.amdhsa_user_sgpr_count 2
		.amdhsa_user_sgpr_dispatch_ptr 0
		.amdhsa_user_sgpr_queue_ptr 0
		.amdhsa_user_sgpr_kernarg_segment_ptr 1
		.amdhsa_user_sgpr_dispatch_id 0
		.amdhsa_user_sgpr_kernarg_preload_length 0
		.amdhsa_user_sgpr_kernarg_preload_offset 0
		.amdhsa_user_sgpr_private_segment_size 0
		.amdhsa_wavefront_size32 1
		.amdhsa_uses_dynamic_stack 0
		.amdhsa_enable_private_segment 0
		.amdhsa_system_sgpr_workgroup_id_x 1
		.amdhsa_system_sgpr_workgroup_id_y 1
		.amdhsa_system_sgpr_workgroup_id_z 1
		.amdhsa_system_sgpr_workgroup_info 0
		.amdhsa_system_vgpr_workitem_id 1
		.amdhsa_next_free_vgpr 57
		.amdhsa_next_free_sgpr 35
		.amdhsa_named_barrier_count 0
		.amdhsa_reserve_vcc 1
		.amdhsa_float_round_mode_32 0
		.amdhsa_float_round_mode_16_64 0
		.amdhsa_float_denorm_mode_32 3
		.amdhsa_float_denorm_mode_16_64 3
		.amdhsa_fp16_overflow 0
		.amdhsa_memory_ordered 1
		.amdhsa_forward_progress 1
		.amdhsa_inst_pref_size 26
		.amdhsa_round_robin_scheduling 0
		.amdhsa_exception_fp_ieee_invalid_op 0
		.amdhsa_exception_fp_denorm_src 0
		.amdhsa_exception_fp_ieee_div_zero 0
		.amdhsa_exception_fp_ieee_overflow 0
		.amdhsa_exception_fp_ieee_underflow 0
		.amdhsa_exception_fp_ieee_inexact 0
		.amdhsa_exception_int_div_zero 0
	.end_amdhsa_kernel
	.section	.text._ZL29rocblas_internal_gemmt_kernelIiLi16ELi32ELi8ELc67ELc67ELc85ELb1ELb1E19rocblas_complex_numIfEPKS1_S3_PS1_EviT_T9_T10_S5_lS7_S5_lS6_T11_S5_li,"axG",@progbits,_ZL29rocblas_internal_gemmt_kernelIiLi16ELi32ELi8ELc67ELc67ELc85ELb1ELb1E19rocblas_complex_numIfEPKS1_S3_PS1_EviT_T9_T10_S5_lS7_S5_lS6_T11_S5_li,comdat
.Lfunc_end80:
	.size	_ZL29rocblas_internal_gemmt_kernelIiLi16ELi32ELi8ELc67ELc67ELc85ELb1ELb1E19rocblas_complex_numIfEPKS1_S3_PS1_EviT_T9_T10_S5_lS7_S5_lS6_T11_S5_li, .Lfunc_end80-_ZL29rocblas_internal_gemmt_kernelIiLi16ELi32ELi8ELc67ELc67ELc85ELb1ELb1E19rocblas_complex_numIfEPKS1_S3_PS1_EviT_T9_T10_S5_lS7_S5_lS6_T11_S5_li
                                        ; -- End function
	.set _ZL29rocblas_internal_gemmt_kernelIiLi16ELi32ELi8ELc67ELc67ELc85ELb1ELb1E19rocblas_complex_numIfEPKS1_S3_PS1_EviT_T9_T10_S5_lS7_S5_lS6_T11_S5_li.num_vgpr, 57
	.set _ZL29rocblas_internal_gemmt_kernelIiLi16ELi32ELi8ELc67ELc67ELc85ELb1ELb1E19rocblas_complex_numIfEPKS1_S3_PS1_EviT_T9_T10_S5_lS7_S5_lS6_T11_S5_li.num_agpr, 0
	.set _ZL29rocblas_internal_gemmt_kernelIiLi16ELi32ELi8ELc67ELc67ELc85ELb1ELb1E19rocblas_complex_numIfEPKS1_S3_PS1_EviT_T9_T10_S5_lS7_S5_lS6_T11_S5_li.numbered_sgpr, 35
	.set _ZL29rocblas_internal_gemmt_kernelIiLi16ELi32ELi8ELc67ELc67ELc85ELb1ELb1E19rocblas_complex_numIfEPKS1_S3_PS1_EviT_T9_T10_S5_lS7_S5_lS6_T11_S5_li.num_named_barrier, 0
	.set _ZL29rocblas_internal_gemmt_kernelIiLi16ELi32ELi8ELc67ELc67ELc85ELb1ELb1E19rocblas_complex_numIfEPKS1_S3_PS1_EviT_T9_T10_S5_lS7_S5_lS6_T11_S5_li.private_seg_size, 0
	.set _ZL29rocblas_internal_gemmt_kernelIiLi16ELi32ELi8ELc67ELc67ELc85ELb1ELb1E19rocblas_complex_numIfEPKS1_S3_PS1_EviT_T9_T10_S5_lS7_S5_lS6_T11_S5_li.uses_vcc, 1
	.set _ZL29rocblas_internal_gemmt_kernelIiLi16ELi32ELi8ELc67ELc67ELc85ELb1ELb1E19rocblas_complex_numIfEPKS1_S3_PS1_EviT_T9_T10_S5_lS7_S5_lS6_T11_S5_li.uses_flat_scratch, 0
	.set _ZL29rocblas_internal_gemmt_kernelIiLi16ELi32ELi8ELc67ELc67ELc85ELb1ELb1E19rocblas_complex_numIfEPKS1_S3_PS1_EviT_T9_T10_S5_lS7_S5_lS6_T11_S5_li.has_dyn_sized_stack, 0
	.set _ZL29rocblas_internal_gemmt_kernelIiLi16ELi32ELi8ELc67ELc67ELc85ELb1ELb1E19rocblas_complex_numIfEPKS1_S3_PS1_EviT_T9_T10_S5_lS7_S5_lS6_T11_S5_li.has_recursion, 0
	.set _ZL29rocblas_internal_gemmt_kernelIiLi16ELi32ELi8ELc67ELc67ELc85ELb1ELb1E19rocblas_complex_numIfEPKS1_S3_PS1_EviT_T9_T10_S5_lS7_S5_lS6_T11_S5_li.has_indirect_call, 0
	.section	.AMDGPU.csdata,"",@progbits
; Kernel info:
; codeLenInByte = 3292
; TotalNumSgprs: 37
; NumVgprs: 57
; ScratchSize: 0
; MemoryBound: 0
; FloatMode: 240
; IeeeMode: 1
; LDSByteSize: 4096 bytes/workgroup (compile time only)
; SGPRBlocks: 0
; VGPRBlocks: 3
; NumSGPRsForWavesPerEU: 37
; NumVGPRsForWavesPerEU: 57
; NamedBarCnt: 0
; Occupancy: 16
; WaveLimiterHint : 0
; COMPUTE_PGM_RSRC2:SCRATCH_EN: 0
; COMPUTE_PGM_RSRC2:USER_SGPR: 2
; COMPUTE_PGM_RSRC2:TRAP_HANDLER: 0
; COMPUTE_PGM_RSRC2:TGID_X_EN: 1
; COMPUTE_PGM_RSRC2:TGID_Y_EN: 1
; COMPUTE_PGM_RSRC2:TGID_Z_EN: 1
; COMPUTE_PGM_RSRC2:TIDIG_COMP_CNT: 1
	.section	.text._ZL29rocblas_internal_gemmt_kernelIiLi16ELi32ELi8ELc78ELc78ELc76ELb0ELb0E19rocblas_complex_numIfEPKS1_S3_PS1_EviT_T9_T10_S5_lS7_S5_lS6_T11_S5_li,"axG",@progbits,_ZL29rocblas_internal_gemmt_kernelIiLi16ELi32ELi8ELc78ELc78ELc76ELb0ELb0E19rocblas_complex_numIfEPKS1_S3_PS1_EviT_T9_T10_S5_lS7_S5_lS6_T11_S5_li,comdat
	.globl	_ZL29rocblas_internal_gemmt_kernelIiLi16ELi32ELi8ELc78ELc78ELc76ELb0ELb0E19rocblas_complex_numIfEPKS1_S3_PS1_EviT_T9_T10_S5_lS7_S5_lS6_T11_S5_li ; -- Begin function _ZL29rocblas_internal_gemmt_kernelIiLi16ELi32ELi8ELc78ELc78ELc76ELb0ELb0E19rocblas_complex_numIfEPKS1_S3_PS1_EviT_T9_T10_S5_lS7_S5_lS6_T11_S5_li
	.p2align	8
	.type	_ZL29rocblas_internal_gemmt_kernelIiLi16ELi32ELi8ELc78ELc78ELc76ELb0ELb0E19rocblas_complex_numIfEPKS1_S3_PS1_EviT_T9_T10_S5_lS7_S5_lS6_T11_S5_li,@function
_ZL29rocblas_internal_gemmt_kernelIiLi16ELi32ELi8ELc78ELc78ELc76ELb0ELb0E19rocblas_complex_numIfEPKS1_S3_PS1_EviT_T9_T10_S5_lS7_S5_lS6_T11_S5_li: ; @_ZL29rocblas_internal_gemmt_kernelIiLi16ELi32ELi8ELc78ELc78ELc76ELb0ELb0E19rocblas_complex_numIfEPKS1_S3_PS1_EviT_T9_T10_S5_lS7_S5_lS6_T11_S5_li
; %bb.0:
	s_load_b128 s[8:11], s[0:1], 0x38
	s_wait_kmcnt 0x0
	s_load_b64 s[20:21], s[10:11], 0x0
	s_clause 0x1
	s_load_b128 s[4:7], s[0:1], 0x8
	s_load_b64 s[22:23], s[0:1], 0x0
	s_wait_kmcnt 0x0
	s_cmp_neq_f32 s20, 1.0
	s_load_b64 s[10:11], s[4:5], 0x0
	s_cselect_b32 s2, -1, 0
	s_and_b32 s3, s21, 0x7fffffff
	s_delay_alu instid0(SALU_CYCLE_1) | instskip(SKIP_3) | instid1(SALU_CYCLE_1)
	s_cmp_eq_u32 s3, 0
	s_cselect_b32 s30, -1, 0
	s_cmp_lg_u32 s3, 0
	s_cselect_b32 s3, -1, 0
	s_or_b32 s2, s2, s3
	s_delay_alu instid0(SALU_CYCLE_1)
	s_and_b32 vcc_lo, exec_lo, s2
	s_cbranch_vccnz .LBB81_2
; %bb.1:
	s_cmp_lg_u32 s23, 0
	s_cselect_b32 s2, -1, 0
	s_wait_kmcnt 0x0
	s_cmp_neq_f32 s10, 0
	s_cselect_b32 s3, -1, 0
	s_cmp_neq_f32 s11, 0
	s_cselect_b32 s4, -1, 0
	s_delay_alu instid0(SALU_CYCLE_1) | instskip(NEXT) | instid1(SALU_CYCLE_1)
	s_or_b32 s3, s3, s4
	s_and_b32 s2, s2, s3
.LBB81_2:
	s_delay_alu instid0(SALU_CYCLE_1)
	s_and_not1_b32 vcc_lo, exec_lo, s2
	s_cbranch_vccnz .LBB81_33
; %bb.3:
	s_load_b32 s19, s[0:1], 0x60
	s_bfe_u32 s2, ttmp6, 0x40014
	s_lshr_b32 s3, ttmp7, 16
	s_add_co_i32 s2, s2, 1
	s_wait_xcnt 0x0
	s_bfe_u32 s5, ttmp6, 0x40008
	s_mul_i32 s2, s3, s2
	s_getreg_b32 s4, hwreg(HW_REG_IB_STS2, 6, 4)
	s_add_co_i32 s5, s5, s2
	s_cmp_eq_u32 s4, 0
	s_mov_b32 s25, 0
	s_cselect_b32 s24, s3, s5
	s_wait_kmcnt 0x0
	s_cmp_ge_u32 s24, s19
	s_cbranch_scc1 .LBB81_33
; %bb.4:
	s_clause 0x3
	s_load_b32 s28, s[0:1], 0x18
	s_load_b32 s2, s[0:1], 0x30
	s_load_b96 s[16:18], s[0:1], 0x48
	s_load_b128 s[12:15], s[0:1], 0x20
	v_and_b32_e32 v1, 0x3ff, v0
	v_bfe_u32 v3, v0, 10, 10
	s_load_b64 s[26:27], s[0:1], 0x58
	s_wait_xcnt 0x0
	s_bfe_u32 s1, ttmp6, 0x4000c
	s_bfe_u32 s3, ttmp6, 0x40010
	s_and_b32 s31, ttmp7, 0xffff
	s_add_co_i32 s1, s1, 1
	s_add_co_i32 s3, s3, 1
	v_lshl_add_u32 v2, v3, 4, v1
	s_and_b32 s0, ttmp6, 15
	s_bfe_u32 s5, ttmp6, 0x40004
	s_mul_i32 s1, ttmp9, s1
	s_mul_i32 s3, s31, s3
	s_add_co_i32 s0, s0, s1
	s_add_co_i32 s1, s5, s3
	v_dual_lshrrev_b32 v4, 5, v2 :: v_dual_bitop2_b32 v5, 31, v2 bitop3:0x40
	s_wait_kmcnt 0x0
	s_ashr_i32 s29, s28, 31
	s_ashr_i32 s3, s2, 31
	;; [unrolled: 1-line block ×3, first 2 shown]
	s_cmp_eq_u32 s4, 0
	v_dual_lshrrev_b32 v7, 3, v2 :: v_dual_bitop2_b32 v23, 7, v0 bitop3:0x40
	s_cselect_b32 s0, ttmp9, s0
	s_cselect_b32 s1, s31, s1
	s_lshl_b32 s31, s0, 5
	s_lshl_b32 s33, s1, 5
	v_dual_lshlrev_b32 v5, 3, v5 :: v_dual_bitop2_b32 v0, s31, v5 bitop3:0x54
	v_lshlrev_b32_e32 v2, 3, v23
	v_add_nc_u32_e32 v14, s33, v3
	v_add_nc_u32_e32 v6, s33, v7
	s_cmp_neq_f32 s10, 0
	v_lshl_or_b32 v25, v4, 8, v5
	v_mov_b32_e32 v5, 0
	v_lshl_or_b32 v8, v7, 6, v2
	v_add_nc_u32_e32 v20, 16, v14
	v_dual_ashrrev_i32 v7, 31, v6 :: v_dual_lshlrev_b32 v29, 3, v1
	s_delay_alu instid0(VALU_DEP_4) | instskip(SKIP_2) | instid1(VALU_DEP_2)
	v_mul_u64_e32 v[16:17], s[28:29], v[4:5]
	s_cselect_b32 s0, -1, 0
	s_cmp_neq_f32 s11, 0
	v_mul_u64_e32 v[18:19], s[2:3], v[6:7]
	v_ashrrev_i32_e32 v21, 31, v20
	s_mov_b32 s4, s18
	s_cselect_b32 s1, -1, 0
	v_add_nc_u32_e32 v27, 0x800, v8
	s_or_b32 s34, s0, s1
	v_cmp_gt_i32_e64 s1, s22, v6
	v_dual_add_nc_u32 v6, s31, v1 :: v_dual_ashrrev_i32 v15, 31, v14
	v_mul_u64_e32 v[12:13], s[4:5], v[20:21]
	v_ashrrev_i32_e32 v1, 31, v0
	s_cmp_gt_i32 s23, 0
	s_delay_alu instid0(VALU_DEP_3)
	v_add_nc_u32_e32 v10, 16, v6
	v_mul_u64_e32 v[8:9], s[4:5], v[14:15]
	v_cmp_gt_i32_e64 s0, s22, v0
	v_lshlrev_b64_e32 v[0:1], 3, v[0:1]
	s_cselect_b32 s35, -1, 0
	s_cmp_neq_f32 s20, 0
	v_lshl_add_u32 v31, v3, 6, 0x800
	v_dual_ashrrev_i32 v7, 31, v6 :: v_dual_mov_b32 v3, v5
	s_cselect_b32 s3, -1, 0
	s_xor_b32 s18, s30, -1
	v_cmp_le_i32_e32 vcc_lo, v14, v6
	v_cmp_gt_i32_e64 s2, s22, v6
	s_or_b32 s18, s3, s18
	v_cmp_le_i32_e64 s3, v14, v10
	v_cmp_gt_i32_e64 s4, s22, v10
	v_ashrrev_i32_e32 v11, 31, v10
	v_lshl_add_u64 v[0:1], v[16:17], 3, v[0:1]
	s_and_b32 s22, vcc_lo, s2
	v_cmp_le_i32_e32 vcc_lo, v20, v6
	v_lshl_add_u64 v[2:3], v[18:19], 3, v[2:3]
	s_and_b32 s30, s3, s4
	v_cmp_le_i32_e64 s3, v20, v10
	v_add_nc_u64_e32 v[14:15], s[6:7], v[0:1]
	s_and_b32 s31, vcc_lo, s2
	v_add_nc_u64_e32 v[16:17], s[14:15], v[2:3]
	s_mov_b32 s2, s20
	s_and_b32 s33, s3, s4
	s_mov_b32 s3, s20
	s_mov_b32 s20, s21
	;; [unrolled: 1-line block ×4, first 2 shown]
	s_and_b32 s34, s34, s35
	s_lshl_b64 s[6:7], s[12:13], 3
	s_lshl_b64 s[12:13], s[28:29], 6
	;; [unrolled: 1-line block ×3, first 2 shown]
	s_branch .LBB81_6
.LBB81_5:                               ;   in Loop: Header=BB81_6 Depth=1
	s_wait_xcnt 0x0
	s_or_b32 exec_lo, exec_lo, s14
	s_add_co_i32 s24, s24, 0x10000
	s_delay_alu instid0(SALU_CYCLE_1)
	s_cmp_lt_u32 s24, s19
	s_cbranch_scc0 .LBB81_33
.LBB81_6:                               ; =>This Loop Header: Depth=1
                                        ;     Child Loop BB81_9 Depth 2
	v_dual_mov_b32 v34, 0 :: v_dual_mov_b32 v36, 0
	v_dual_mov_b32 v30, 0 :: v_dual_mov_b32 v32, 0
	v_dual_mov_b32 v26, 0 :: v_dual_mov_b32 v28, 0
	v_dual_mov_b32 v22, 0 :: v_dual_mov_b32 v24, 0
	s_and_not1_b32 vcc_lo, exec_lo, s34
	s_cbranch_vccnz .LBB81_13
; %bb.7:                                ;   in Loop: Header=BB81_6 Depth=1
	v_mad_nc_u64_u32 v[18:19], s6, s24, v[14:15]
	v_mad_nc_u64_u32 v[20:21], s8, s24, v[16:17]
	v_dual_mov_b32 v24, 0 :: v_dual_mov_b32 v22, 0
	v_dual_mov_b32 v28, 0 :: v_dual_mov_b32 v26, 0
	;; [unrolled: 1-line block ×4, first 2 shown]
	s_mov_b32 s14, 0
	v_mad_u32 v19, s7, s24, v19
	v_mad_u32 v21, s9, s24, v21
	s_branch .LBB81_9
.LBB81_8:                               ;   in Loop: Header=BB81_9 Depth=2
	s_wait_xcnt 0x0
	s_or_b32 exec_lo, exec_lo, s15
	s_wait_loadcnt 0x0
	ds_store_b64 v27, v[2:3]
	s_wait_dscnt 0x0
	s_barrier_signal -1
	s_barrier_wait -1
	ds_load_b128 v[38:41], v31
	ds_load_b128 v[42:45], v31 offset:16
	ds_load_b128 v[46:49], v31 offset:32
	;; [unrolled: 1-line block ×3, first 2 shown]
	ds_load_2addr_b64 v[50:53], v29 offset1:16
	v_add_nc_u64_e32 v[18:19], s[12:13], v[18:19]
	v_add_nc_u64_e32 v[20:21], 64, v[20:21]
	s_add_co_i32 s14, s14, 8
	s_delay_alu instid0(SALU_CYCLE_1) | instskip(SKIP_2) | instid1(VALU_DEP_1)
	s_cmp_lt_i32 s14, s23
	s_wait_dscnt 0x0
	v_dual_mul_f32 v5, v39, v51 :: v_dual_mul_f32 v33, v38, v51
	v_fmac_f32_e32 v33, v39, v50
	s_delay_alu instid0(VALU_DEP_1) | instskip(NEXT) | instid1(VALU_DEP_1)
	v_dual_fma_f32 v5, v38, v50, -v5 :: v_dual_add_f32 v54, v36, v33
	v_add_f32_e32 v5, v34, v5
	v_dual_mul_f32 v33, v39, v53 :: v_dual_mul_f32 v34, v38, v53
	s_delay_alu instid0(VALU_DEP_1) | instskip(NEXT) | instid1(VALU_DEP_1)
	v_dual_fma_f32 v33, v38, v52, -v33 :: v_dual_fmac_f32 v34, v39, v52
	v_dual_add_f32 v30, v30, v33 :: v_dual_add_f32 v55, v32, v34
	ds_load_b128 v[32:35], v31 offset:1024
	s_wait_dscnt 0x0
	v_dual_mul_f32 v36, v33, v51 :: v_dual_mul_f32 v37, v32, v51
	s_delay_alu instid0(VALU_DEP_1) | instskip(NEXT) | instid1(VALU_DEP_1)
	v_dual_fma_f32 v36, v32, v50, -v36 :: v_dual_fmac_f32 v37, v33, v50
	v_dual_add_f32 v26, v26, v36 :: v_dual_add_f32 v28, v28, v37
	v_mul_f32_e32 v36, v33, v53
	s_delay_alu instid0(VALU_DEP_1) | instskip(NEXT) | instid1(VALU_DEP_1)
	v_dual_fma_f32 v36, v32, v52, -v36 :: v_dual_mul_f32 v32, v32, v53
	v_add_f32_e32 v22, v22, v36
	ds_load_2addr_b64 v[36:39], v29 offset0:32 offset1:48
	s_wait_dscnt 0x0
	v_dual_fmac_f32 v32, v33, v52 :: v_dual_mul_f32 v33, v40, v37
	s_delay_alu instid0(VALU_DEP_1) | instskip(NEXT) | instid1(VALU_DEP_1)
	v_dual_add_f32 v24, v24, v32 :: v_dual_mul_f32 v32, v41, v37
	v_dual_fmac_f32 v33, v41, v36 :: v_dual_fma_f32 v32, v40, v36, -v32
	s_delay_alu instid0(VALU_DEP_1) | instskip(NEXT) | instid1(VALU_DEP_2)
	v_add_f32_e32 v5, v5, v32
	v_dual_mul_f32 v32, v41, v39 :: v_dual_add_f32 v50, v54, v33
	s_delay_alu instid0(VALU_DEP_1) | instskip(NEXT) | instid1(VALU_DEP_1)
	v_dual_fma_f32 v32, v40, v38, -v32 :: v_dual_mul_f32 v33, v40, v39
	v_dual_add_f32 v30, v30, v32 :: v_dual_fmac_f32 v33, v41, v38
	v_mul_f32_e32 v32, v35, v37
	s_delay_alu instid0(VALU_DEP_1) | instskip(SKIP_1) | instid1(VALU_DEP_2)
	v_dual_add_f32 v40, v55, v33 :: v_dual_fma_f32 v32, v34, v36, -v32
	v_mul_f32_e32 v33, v34, v37
	v_dual_add_f32 v26, v26, v32 :: v_dual_mul_f32 v32, v35, v39
	s_delay_alu instid0(VALU_DEP_1) | instskip(NEXT) | instid1(VALU_DEP_1)
	v_dual_fmac_f32 v33, v35, v36 :: v_dual_fma_f32 v32, v34, v38, -v32
	v_dual_add_f32 v28, v28, v33 :: v_dual_mul_f32 v33, v34, v39
	s_delay_alu instid0(VALU_DEP_1) | instskip(NEXT) | instid1(VALU_DEP_1)
	v_dual_add_f32 v22, v22, v32 :: v_dual_fmac_f32 v33, v35, v38
	v_add_f32_e32 v24, v24, v33
	ds_load_2addr_b64 v[32:35], v29 offset0:64 offset1:80
	s_wait_dscnt 0x0
	v_dual_mul_f32 v36, v43, v33 :: v_dual_mul_f32 v37, v42, v33
	s_delay_alu instid0(VALU_DEP_1) | instskip(NEXT) | instid1(VALU_DEP_1)
	v_dual_fma_f32 v36, v42, v32, -v36 :: v_dual_fmac_f32 v37, v43, v32
	v_dual_add_f32 v5, v5, v36 :: v_dual_add_f32 v41, v50, v37
	v_dual_mul_f32 v36, v43, v35 :: v_dual_mul_f32 v37, v42, v35
	s_delay_alu instid0(VALU_DEP_1) | instskip(NEXT) | instid1(VALU_DEP_1)
	v_dual_fma_f32 v36, v42, v34, -v36 :: v_dual_fmac_f32 v37, v43, v34
	v_dual_add_f32 v30, v30, v36 :: v_dual_add_f32 v40, v40, v37
	ds_load_b128 v[36:39], v31 offset:1040
	s_wait_dscnt 0x0
	v_dual_mul_f32 v42, v37, v33 :: v_dual_mul_f32 v33, v36, v33
	s_delay_alu instid0(VALU_DEP_1) | instskip(NEXT) | instid1(VALU_DEP_1)
	v_dual_fma_f32 v42, v36, v32, -v42 :: v_dual_fmac_f32 v33, v37, v32
	v_dual_mul_f32 v32, v37, v35 :: v_dual_add_f32 v26, v26, v42
	s_delay_alu instid0(VALU_DEP_2) | instskip(NEXT) | instid1(VALU_DEP_2)
	v_add_f32_e32 v28, v28, v33
	v_dual_mul_f32 v33, v36, v35 :: v_dual_fma_f32 v32, v36, v34, -v32
	s_delay_alu instid0(VALU_DEP_1) | instskip(NEXT) | instid1(VALU_DEP_1)
	v_dual_fmac_f32 v33, v37, v34 :: v_dual_add_f32 v22, v22, v32
	v_add_f32_e32 v24, v24, v33
	ds_load_2addr_b64 v[32:35], v29 offset0:96 offset1:112
	s_wait_dscnt 0x0
	v_dual_mul_f32 v36, v45, v33 :: v_dual_mul_f32 v37, v44, v33
	s_delay_alu instid0(VALU_DEP_1) | instskip(NEXT) | instid1(VALU_DEP_1)
	v_dual_fma_f32 v36, v44, v32, -v36 :: v_dual_fmac_f32 v37, v45, v32
	v_add_f32_e32 v5, v5, v36
	s_delay_alu instid0(VALU_DEP_2) | instskip(NEXT) | instid1(VALU_DEP_1)
	v_dual_add_f32 v36, v41, v37 :: v_dual_mul_f32 v41, v44, v35
	v_dual_mul_f32 v37, v45, v35 :: v_dual_fmac_f32 v41, v45, v34
	s_delay_alu instid0(VALU_DEP_1) | instskip(NEXT) | instid1(VALU_DEP_1)
	v_fma_f32 v37, v44, v34, -v37
	v_add_f32_e32 v30, v30, v37
	s_delay_alu instid0(VALU_DEP_3) | instskip(SKIP_1) | instid1(VALU_DEP_1)
	v_add_f32_e32 v37, v40, v41
	v_dual_mul_f32 v40, v39, v33 :: v_dual_mul_f32 v33, v38, v33
	v_dual_fma_f32 v40, v38, v32, -v40 :: v_dual_fmac_f32 v33, v39, v32
	s_delay_alu instid0(VALU_DEP_1) | instskip(NEXT) | instid1(VALU_DEP_2)
	v_dual_mul_f32 v32, v39, v35 :: v_dual_add_f32 v26, v26, v40
	v_dual_add_f32 v28, v28, v33 :: v_dual_mul_f32 v33, v38, v35
	s_delay_alu instid0(VALU_DEP_1) | instskip(NEXT) | instid1(VALU_DEP_1)
	v_dual_fma_f32 v32, v38, v34, -v32 :: v_dual_fmac_f32 v33, v39, v34
	v_dual_add_f32 v22, v22, v32 :: v_dual_add_f32 v24, v24, v33
	ds_load_2addr_b64 v[32:35], v29 offset0:128 offset1:144
	s_wait_dscnt 0x0
	v_dual_mul_f32 v38, v47, v33 :: v_dual_mul_f32 v39, v46, v33
	s_delay_alu instid0(VALU_DEP_1) | instskip(NEXT) | instid1(VALU_DEP_1)
	v_dual_fma_f32 v38, v46, v32, -v38 :: v_dual_fmac_f32 v39, v47, v32
	v_dual_add_f32 v5, v5, v38 :: v_dual_add_f32 v40, v36, v39
	v_dual_mul_f32 v36, v47, v35 :: v_dual_mul_f32 v38, v46, v35
	s_delay_alu instid0(VALU_DEP_1) | instskip(NEXT) | instid1(VALU_DEP_1)
	v_dual_fma_f32 v36, v46, v34, -v36 :: v_dual_fmac_f32 v38, v47, v34
	v_dual_add_f32 v30, v30, v36 :: v_dual_add_f32 v41, v37, v38
	ds_load_b128 v[36:39], v31 offset:1056
	s_wait_dscnt 0x0
	v_dual_mul_f32 v42, v37, v33 :: v_dual_mul_f32 v33, v36, v33
	s_delay_alu instid0(VALU_DEP_1) | instskip(NEXT) | instid1(VALU_DEP_1)
	v_dual_fma_f32 v42, v36, v32, -v42 :: v_dual_fmac_f32 v33, v37, v32
	v_dual_mul_f32 v32, v37, v35 :: v_dual_add_f32 v26, v26, v42
	s_delay_alu instid0(VALU_DEP_2) | instskip(NEXT) | instid1(VALU_DEP_2)
	v_add_f32_e32 v28, v28, v33
	v_dual_mul_f32 v33, v36, v35 :: v_dual_fma_f32 v32, v36, v34, -v32
	s_delay_alu instid0(VALU_DEP_1) | instskip(NEXT) | instid1(VALU_DEP_1)
	v_dual_fmac_f32 v33, v37, v34 :: v_dual_add_f32 v22, v22, v32
	v_add_f32_e32 v24, v24, v33
	ds_load_2addr_b64 v[32:35], v29 offset0:160 offset1:176
	s_wait_dscnt 0x0
	v_dual_mul_f32 v36, v49, v33 :: v_dual_mul_f32 v37, v48, v33
	s_delay_alu instid0(VALU_DEP_1) | instskip(NEXT) | instid1(VALU_DEP_1)
	v_dual_fma_f32 v36, v48, v32, -v36 :: v_dual_fmac_f32 v37, v49, v32
	v_dual_add_f32 v5, v5, v36 :: v_dual_add_f32 v36, v40, v37
	v_dual_mul_f32 v37, v49, v35 :: v_dual_mul_f32 v40, v48, v35
	s_delay_alu instid0(VALU_DEP_1) | instskip(NEXT) | instid1(VALU_DEP_1)
	v_dual_fma_f32 v37, v48, v34, -v37 :: v_dual_fmac_f32 v40, v49, v34
	v_dual_add_f32 v30, v30, v37 :: v_dual_add_f32 v37, v41, v40
	v_dual_mul_f32 v40, v39, v33 :: v_dual_mul_f32 v33, v38, v33
	s_delay_alu instid0(VALU_DEP_1) | instskip(NEXT) | instid1(VALU_DEP_1)
	v_dual_fma_f32 v40, v38, v32, -v40 :: v_dual_fmac_f32 v33, v39, v32
	v_dual_mul_f32 v32, v39, v35 :: v_dual_add_f32 v26, v26, v40
	s_delay_alu instid0(VALU_DEP_2) | instskip(NEXT) | instid1(VALU_DEP_2)
	v_dual_add_f32 v28, v28, v33 :: v_dual_mul_f32 v33, v38, v35
	v_fma_f32 v32, v38, v34, -v32
	ds_load_2addr_b64 v[40:43], v29 offset0:224 offset1:240
	v_dual_fmac_f32 v33, v39, v34 :: v_dual_add_f32 v22, v22, v32
	s_delay_alu instid0(VALU_DEP_1) | instskip(SKIP_3) | instid1(VALU_DEP_1)
	v_add_f32_e32 v24, v24, v33
	ds_load_2addr_b64 v[32:35], v29 offset0:192 offset1:208
	s_wait_dscnt 0x0
	v_dual_mul_f32 v38, v1, v33 :: v_dual_mul_f32 v39, v0, v33
	v_dual_fma_f32 v38, v0, v32, -v38 :: v_dual_fmac_f32 v39, v1, v32
	s_delay_alu instid0(VALU_DEP_1) | instskip(SKIP_1) | instid1(VALU_DEP_1)
	v_dual_add_f32 v5, v5, v38 :: v_dual_add_f32 v44, v36, v39
	v_mul_f32_e32 v36, v1, v35
	v_dual_fma_f32 v36, v0, v34, -v36 :: v_dual_mul_f32 v0, v0, v35
	s_delay_alu instid0(VALU_DEP_1) | instskip(NEXT) | instid1(VALU_DEP_1)
	v_fmac_f32_e32 v0, v1, v34
	v_add_f32_e32 v0, v37, v0
	s_delay_alu instid0(VALU_DEP_3)
	v_add_f32_e32 v1, v30, v36
	ds_load_b128 v[36:39], v31 offset:1072
	s_wait_dscnt 0x0
	s_barrier_signal -1
	s_barrier_wait -1
	v_dual_mul_f32 v30, v37, v33 :: v_dual_mul_f32 v33, v36, v33
	s_delay_alu instid0(VALU_DEP_1) | instskip(NEXT) | instid1(VALU_DEP_1)
	v_dual_fma_f32 v30, v36, v32, -v30 :: v_dual_fmac_f32 v33, v37, v32
	v_dual_mul_f32 v32, v36, v35 :: v_dual_add_f32 v26, v26, v30
	s_delay_alu instid0(VALU_DEP_2) | instskip(NEXT) | instid1(VALU_DEP_1)
	v_dual_add_f32 v28, v28, v33 :: v_dual_mul_f32 v30, v37, v35
	v_dual_fmac_f32 v32, v37, v34 :: v_dual_fma_f32 v30, v36, v34, -v30
	s_delay_alu instid0(VALU_DEP_1) | instskip(NEXT) | instid1(VALU_DEP_2)
	v_dual_add_f32 v24, v24, v32 :: v_dual_mul_f32 v32, v2, v41
	v_dual_add_f32 v22, v22, v30 :: v_dual_mul_f32 v30, v3, v41
	s_delay_alu instid0(VALU_DEP_1) | instskip(NEXT) | instid1(VALU_DEP_1)
	v_dual_fmac_f32 v32, v3, v40 :: v_dual_fma_f32 v30, v2, v40, -v30
	v_dual_add_f32 v36, v44, v32 :: v_dual_add_f32 v34, v5, v30
	v_mul_f32_e32 v5, v3, v43
	s_delay_alu instid0(VALU_DEP_1) | instskip(NEXT) | instid1(VALU_DEP_1)
	v_dual_fma_f32 v5, v2, v42, -v5 :: v_dual_mul_f32 v2, v2, v43
	v_dual_fmac_f32 v2, v3, v42 :: v_dual_add_f32 v30, v1, v5
	s_delay_alu instid0(VALU_DEP_1) | instskip(NEXT) | instid1(VALU_DEP_1)
	v_dual_mul_f32 v1, v38, v41 :: v_dual_add_f32 v32, v0, v2
	v_dual_mul_f32 v0, v39, v41 :: v_dual_fmac_f32 v1, v39, v40
	s_delay_alu instid0(VALU_DEP_1) | instskip(SKIP_1) | instid1(VALU_DEP_2)
	v_dual_fma_f32 v0, v38, v40, -v0 :: v_dual_add_f32 v28, v28, v1
	v_mul_f32_e32 v1, v38, v43
	v_dual_add_f32 v26, v26, v0 :: v_dual_mul_f32 v0, v39, v43
	s_delay_alu instid0(VALU_DEP_1) | instskip(NEXT) | instid1(VALU_DEP_1)
	v_dual_fmac_f32 v1, v39, v42 :: v_dual_fma_f32 v0, v38, v42, -v0
	v_dual_add_f32 v24, v24, v1 :: v_dual_add_f32 v22, v22, v0
	s_cbranch_scc0 .LBB81_13
.LBB81_9:                               ;   Parent Loop BB81_6 Depth=1
                                        ; =>  This Inner Loop Header: Depth=2
	v_dual_mov_b32 v1, 0 :: v_dual_add_nc_u32 v0, s14, v4
	s_delay_alu instid0(VALU_DEP_1) | instskip(SKIP_2) | instid1(SALU_CYCLE_1)
	v_cmp_gt_i32_e32 vcc_lo, s23, v0
	v_mov_b32_e32 v0, 0
	s_and_b32 s28, s0, vcc_lo
	s_and_saveexec_b32 s15, s28
	s_cbranch_execz .LBB81_11
; %bb.10:                               ;   in Loop: Header=BB81_9 Depth=2
	global_load_b64 v[0:1], v[18:19], off
.LBB81_11:                              ;   in Loop: Header=BB81_9 Depth=2
	s_wait_xcnt 0x0
	s_or_b32 exec_lo, exec_lo, s15
	v_dual_mov_b32 v3, 0 :: v_dual_add_nc_u32 v2, s14, v23
	s_wait_loadcnt 0x0
	ds_store_b64 v25, v[0:1]
	v_cmp_gt_i32_e32 vcc_lo, s23, v2
	v_mov_b32_e32 v2, 0
	s_and_b32 s28, vcc_lo, s1
	s_delay_alu instid0(SALU_CYCLE_1)
	s_and_saveexec_b32 s15, s28
	s_cbranch_execz .LBB81_8
; %bb.12:                               ;   in Loop: Header=BB81_9 Depth=2
	global_load_b64 v[2:3], v[20:21], off
	s_branch .LBB81_8
.LBB81_13:                              ;   in Loop: Header=BB81_6 Depth=1
	s_mul_u64 s[14:15], s[26:27], s[24:25]
	s_delay_alu instid0(SALU_CYCLE_1) | instskip(NEXT) | instid1(SALU_CYCLE_1)
	s_lshl_b64 s[14:15], s[14:15], 3
	s_add_nc_u64 s[14:15], s[16:17], s[14:15]
	s_delay_alu instid0(SALU_CYCLE_1)
	v_lshl_add_u64 v[0:1], v[8:9], 3, s[14:15]
	s_and_saveexec_b32 s28, s22
	s_cbranch_execz .LBB81_18
; %bb.14:                               ;   in Loop: Header=BB81_6 Depth=1
	v_mov_b64_e32 v[2:3], s[4:5]
	v_mov_b64_e32 v[18:19], s[10:11]
	s_and_b32 vcc_lo, exec_lo, s18
	s_mov_b32 s29, -1
	s_delay_alu instid0(VALU_DEP_2) | instskip(NEXT) | instid1(VALU_DEP_1)
	v_pk_mul_f32 v[2:3], v[36:37], v[2:3] op_sel_hi:[0,1]
	v_pk_fma_f32 v[20:21], v[34:35], v[18:19], v[2:3] op_sel_hi:[0,1,1]
	v_pk_fma_f32 v[2:3], v[34:35], v[18:19], v[2:3] neg_lo:[0,0,1] neg_hi:[0,0,1]
	v_lshl_add_u64 v[18:19], v[6:7], 3, v[0:1]
	s_delay_alu instid0(VALU_DEP_3)
	v_mov_b32_e32 v3, v21
	s_cbranch_vccz .LBB81_16
; %bb.15:                               ;   in Loop: Header=BB81_6 Depth=1
	global_load_b64 v[20:21], v[18:19], off
	v_mov_b64_e32 v[34:35], s[20:21]
	v_mov_b64_e32 v[36:37], s[2:3]
	s_mov_b32 s29, 0
	s_wait_loadcnt 0x0
	s_delay_alu instid0(VALU_DEP_2) | instskip(NEXT) | instid1(VALU_DEP_1)
	v_pk_mul_f32 v[34:35], v[20:21], v[34:35]
	v_pk_fma_f32 v[38:39], v[20:21], v[36:37], v[34:35] op_sel:[0,0,1] op_sel_hi:[1,1,0]
	v_pk_fma_f32 v[20:21], v[20:21], v[36:37], v[34:35] op_sel:[0,0,1] op_sel_hi:[1,1,0] neg_lo:[0,0,1] neg_hi:[0,0,1]
	s_delay_alu instid0(VALU_DEP_2) | instskip(NEXT) | instid1(VALU_DEP_1)
	v_mov_b32_e32 v21, v39
	v_pk_add_f32 v[20:21], v[2:3], v[20:21]
	global_store_b64 v[18:19], v[20:21], off
.LBB81_16:                              ;   in Loop: Header=BB81_6 Depth=1
	s_and_not1_b32 vcc_lo, exec_lo, s29
	s_cbranch_vccnz .LBB81_18
; %bb.17:                               ;   in Loop: Header=BB81_6 Depth=1
	global_store_b64 v[18:19], v[2:3], off
.LBB81_18:                              ;   in Loop: Header=BB81_6 Depth=1
	s_wait_xcnt 0x0
	s_or_b32 exec_lo, exec_lo, s28
	s_and_saveexec_b32 s28, s30
	s_cbranch_execz .LBB81_23
; %bb.19:                               ;   in Loop: Header=BB81_6 Depth=1
	v_mov_b64_e32 v[2:3], s[4:5]
	v_mov_b64_e32 v[18:19], s[10:11]
	v_lshl_add_u64 v[0:1], v[10:11], 3, v[0:1]
	s_and_not1_b32 vcc_lo, exec_lo, s18
	s_mov_b32 s29, -1
	s_delay_alu instid0(VALU_DEP_3) | instskip(NEXT) | instid1(VALU_DEP_1)
	v_pk_mul_f32 v[2:3], v[32:33], v[2:3] op_sel_hi:[0,1]
	v_pk_fma_f32 v[20:21], v[30:31], v[18:19], v[2:3] op_sel_hi:[0,1,1]
	v_pk_fma_f32 v[2:3], v[30:31], v[18:19], v[2:3] neg_lo:[0,0,1] neg_hi:[0,0,1]
	s_delay_alu instid0(VALU_DEP_2)
	v_mov_b32_e32 v3, v21
	s_cbranch_vccnz .LBB81_21
; %bb.20:                               ;   in Loop: Header=BB81_6 Depth=1
	global_load_b64 v[18:19], v[0:1], off
	v_mov_b64_e32 v[20:21], s[20:21]
	v_mov_b64_e32 v[32:33], s[2:3]
	s_mov_b32 s29, 0
	s_wait_loadcnt 0x0
	s_delay_alu instid0(VALU_DEP_2) | instskip(NEXT) | instid1(VALU_DEP_1)
	v_pk_mul_f32 v[20:21], v[18:19], v[20:21]
	v_pk_fma_f32 v[34:35], v[18:19], v[32:33], v[20:21] op_sel:[0,0,1] op_sel_hi:[1,1,0]
	v_pk_fma_f32 v[18:19], v[18:19], v[32:33], v[20:21] op_sel:[0,0,1] op_sel_hi:[1,1,0] neg_lo:[0,0,1] neg_hi:[0,0,1]
	s_delay_alu instid0(VALU_DEP_2) | instskip(NEXT) | instid1(VALU_DEP_1)
	v_mov_b32_e32 v19, v35
	v_pk_add_f32 v[18:19], v[2:3], v[18:19]
	global_store_b64 v[0:1], v[18:19], off
.LBB81_21:                              ;   in Loop: Header=BB81_6 Depth=1
	s_and_not1_b32 vcc_lo, exec_lo, s29
	s_cbranch_vccnz .LBB81_23
; %bb.22:                               ;   in Loop: Header=BB81_6 Depth=1
	global_store_b64 v[0:1], v[2:3], off
.LBB81_23:                              ;   in Loop: Header=BB81_6 Depth=1
	s_wait_xcnt 0x0
	s_or_b32 exec_lo, exec_lo, s28
	v_lshl_add_u64 v[0:1], v[12:13], 3, s[14:15]
	s_and_saveexec_b32 s14, s31
	s_cbranch_execz .LBB81_28
; %bb.24:                               ;   in Loop: Header=BB81_6 Depth=1
	v_mov_b64_e32 v[2:3], s[4:5]
	v_mov_b64_e32 v[18:19], s[10:11]
	s_and_not1_b32 vcc_lo, exec_lo, s18
	s_mov_b32 s15, -1
	s_delay_alu instid0(VALU_DEP_2) | instskip(NEXT) | instid1(VALU_DEP_1)
	v_pk_mul_f32 v[2:3], v[28:29], v[2:3] op_sel_hi:[0,1]
	v_pk_fma_f32 v[20:21], v[26:27], v[18:19], v[2:3] op_sel_hi:[0,1,1]
	v_pk_fma_f32 v[2:3], v[26:27], v[18:19], v[2:3] neg_lo:[0,0,1] neg_hi:[0,0,1]
	v_lshl_add_u64 v[18:19], v[6:7], 3, v[0:1]
	s_delay_alu instid0(VALU_DEP_3)
	v_mov_b32_e32 v3, v21
	s_cbranch_vccnz .LBB81_26
; %bb.25:                               ;   in Loop: Header=BB81_6 Depth=1
	global_load_b64 v[20:21], v[18:19], off
	v_mov_b64_e32 v[32:33], s[20:21]
	v_mov_b64_e32 v[34:35], s[2:3]
	s_mov_b32 s15, 0
	s_wait_loadcnt 0x0
	s_delay_alu instid0(VALU_DEP_2) | instskip(NEXT) | instid1(VALU_DEP_1)
	v_pk_mul_f32 v[32:33], v[20:21], v[32:33]
	v_pk_fma_f32 v[36:37], v[20:21], v[34:35], v[32:33] op_sel:[0,0,1] op_sel_hi:[1,1,0]
	v_pk_fma_f32 v[20:21], v[20:21], v[34:35], v[32:33] op_sel:[0,0,1] op_sel_hi:[1,1,0] neg_lo:[0,0,1] neg_hi:[0,0,1]
	s_delay_alu instid0(VALU_DEP_2) | instskip(NEXT) | instid1(VALU_DEP_1)
	v_mov_b32_e32 v21, v37
	v_pk_add_f32 v[20:21], v[2:3], v[20:21]
	global_store_b64 v[18:19], v[20:21], off
.LBB81_26:                              ;   in Loop: Header=BB81_6 Depth=1
	s_and_not1_b32 vcc_lo, exec_lo, s15
	s_cbranch_vccnz .LBB81_28
; %bb.27:                               ;   in Loop: Header=BB81_6 Depth=1
	global_store_b64 v[18:19], v[2:3], off
.LBB81_28:                              ;   in Loop: Header=BB81_6 Depth=1
	s_wait_xcnt 0x0
	s_or_b32 exec_lo, exec_lo, s14
	s_and_saveexec_b32 s14, s33
	s_cbranch_execz .LBB81_5
; %bb.29:                               ;   in Loop: Header=BB81_6 Depth=1
	v_mov_b64_e32 v[2:3], s[4:5]
	v_mov_b64_e32 v[18:19], s[10:11]
	v_lshl_add_u64 v[0:1], v[10:11], 3, v[0:1]
	s_and_not1_b32 vcc_lo, exec_lo, s18
	s_mov_b32 s15, -1
	s_delay_alu instid0(VALU_DEP_3) | instskip(NEXT) | instid1(VALU_DEP_1)
	v_pk_mul_f32 v[2:3], v[24:25], v[2:3] op_sel_hi:[0,1]
	v_pk_fma_f32 v[20:21], v[22:23], v[18:19], v[2:3] op_sel_hi:[0,1,1]
	v_pk_fma_f32 v[2:3], v[22:23], v[18:19], v[2:3] neg_lo:[0,0,1] neg_hi:[0,0,1]
	s_delay_alu instid0(VALU_DEP_2)
	v_mov_b32_e32 v3, v21
	s_cbranch_vccnz .LBB81_31
; %bb.30:                               ;   in Loop: Header=BB81_6 Depth=1
	global_load_b64 v[18:19], v[0:1], off
	v_mov_b64_e32 v[20:21], s[20:21]
	v_mov_b64_e32 v[32:33], s[2:3]
	s_mov_b32 s15, 0
	s_wait_loadcnt 0x0
	s_delay_alu instid0(VALU_DEP_2) | instskip(NEXT) | instid1(VALU_DEP_1)
	v_pk_mul_f32 v[20:21], v[18:19], v[20:21]
	v_pk_fma_f32 v[34:35], v[18:19], v[32:33], v[20:21] op_sel:[0,0,1] op_sel_hi:[1,1,0]
	v_pk_fma_f32 v[18:19], v[18:19], v[32:33], v[20:21] op_sel:[0,0,1] op_sel_hi:[1,1,0] neg_lo:[0,0,1] neg_hi:[0,0,1]
	s_delay_alu instid0(VALU_DEP_2) | instskip(NEXT) | instid1(VALU_DEP_1)
	v_mov_b32_e32 v19, v35
	v_pk_add_f32 v[18:19], v[2:3], v[18:19]
	global_store_b64 v[0:1], v[18:19], off
.LBB81_31:                              ;   in Loop: Header=BB81_6 Depth=1
	s_and_not1_b32 vcc_lo, exec_lo, s15
	s_cbranch_vccnz .LBB81_5
; %bb.32:                               ;   in Loop: Header=BB81_6 Depth=1
	global_store_b64 v[0:1], v[2:3], off
	s_branch .LBB81_5
.LBB81_33:
	s_endpgm
	.section	.rodata,"a",@progbits
	.p2align	6, 0x0
	.amdhsa_kernel _ZL29rocblas_internal_gemmt_kernelIiLi16ELi32ELi8ELc78ELc78ELc76ELb0ELb0E19rocblas_complex_numIfEPKS1_S3_PS1_EviT_T9_T10_S5_lS7_S5_lS6_T11_S5_li
		.amdhsa_group_segment_fixed_size 4096
		.amdhsa_private_segment_fixed_size 0
		.amdhsa_kernarg_size 100
		.amdhsa_user_sgpr_count 2
		.amdhsa_user_sgpr_dispatch_ptr 0
		.amdhsa_user_sgpr_queue_ptr 0
		.amdhsa_user_sgpr_kernarg_segment_ptr 1
		.amdhsa_user_sgpr_dispatch_id 0
		.amdhsa_user_sgpr_kernarg_preload_length 0
		.amdhsa_user_sgpr_kernarg_preload_offset 0
		.amdhsa_user_sgpr_private_segment_size 0
		.amdhsa_wavefront_size32 1
		.amdhsa_uses_dynamic_stack 0
		.amdhsa_enable_private_segment 0
		.amdhsa_system_sgpr_workgroup_id_x 1
		.amdhsa_system_sgpr_workgroup_id_y 1
		.amdhsa_system_sgpr_workgroup_id_z 1
		.amdhsa_system_sgpr_workgroup_info 0
		.amdhsa_system_vgpr_workitem_id 1
		.amdhsa_next_free_vgpr 56
		.amdhsa_next_free_sgpr 36
		.amdhsa_named_barrier_count 0
		.amdhsa_reserve_vcc 1
		.amdhsa_float_round_mode_32 0
		.amdhsa_float_round_mode_16_64 0
		.amdhsa_float_denorm_mode_32 3
		.amdhsa_float_denorm_mode_16_64 3
		.amdhsa_fp16_overflow 0
		.amdhsa_memory_ordered 1
		.amdhsa_forward_progress 1
		.amdhsa_inst_pref_size 25
		.amdhsa_round_robin_scheduling 0
		.amdhsa_exception_fp_ieee_invalid_op 0
		.amdhsa_exception_fp_denorm_src 0
		.amdhsa_exception_fp_ieee_div_zero 0
		.amdhsa_exception_fp_ieee_overflow 0
		.amdhsa_exception_fp_ieee_underflow 0
		.amdhsa_exception_fp_ieee_inexact 0
		.amdhsa_exception_int_div_zero 0
	.end_amdhsa_kernel
	.section	.text._ZL29rocblas_internal_gemmt_kernelIiLi16ELi32ELi8ELc78ELc78ELc76ELb0ELb0E19rocblas_complex_numIfEPKS1_S3_PS1_EviT_T9_T10_S5_lS7_S5_lS6_T11_S5_li,"axG",@progbits,_ZL29rocblas_internal_gemmt_kernelIiLi16ELi32ELi8ELc78ELc78ELc76ELb0ELb0E19rocblas_complex_numIfEPKS1_S3_PS1_EviT_T9_T10_S5_lS7_S5_lS6_T11_S5_li,comdat
.Lfunc_end81:
	.size	_ZL29rocblas_internal_gemmt_kernelIiLi16ELi32ELi8ELc78ELc78ELc76ELb0ELb0E19rocblas_complex_numIfEPKS1_S3_PS1_EviT_T9_T10_S5_lS7_S5_lS6_T11_S5_li, .Lfunc_end81-_ZL29rocblas_internal_gemmt_kernelIiLi16ELi32ELi8ELc78ELc78ELc76ELb0ELb0E19rocblas_complex_numIfEPKS1_S3_PS1_EviT_T9_T10_S5_lS7_S5_lS6_T11_S5_li
                                        ; -- End function
	.set _ZL29rocblas_internal_gemmt_kernelIiLi16ELi32ELi8ELc78ELc78ELc76ELb0ELb0E19rocblas_complex_numIfEPKS1_S3_PS1_EviT_T9_T10_S5_lS7_S5_lS6_T11_S5_li.num_vgpr, 56
	.set _ZL29rocblas_internal_gemmt_kernelIiLi16ELi32ELi8ELc78ELc78ELc76ELb0ELb0E19rocblas_complex_numIfEPKS1_S3_PS1_EviT_T9_T10_S5_lS7_S5_lS6_T11_S5_li.num_agpr, 0
	.set _ZL29rocblas_internal_gemmt_kernelIiLi16ELi32ELi8ELc78ELc78ELc76ELb0ELb0E19rocblas_complex_numIfEPKS1_S3_PS1_EviT_T9_T10_S5_lS7_S5_lS6_T11_S5_li.numbered_sgpr, 36
	.set _ZL29rocblas_internal_gemmt_kernelIiLi16ELi32ELi8ELc78ELc78ELc76ELb0ELb0E19rocblas_complex_numIfEPKS1_S3_PS1_EviT_T9_T10_S5_lS7_S5_lS6_T11_S5_li.num_named_barrier, 0
	.set _ZL29rocblas_internal_gemmt_kernelIiLi16ELi32ELi8ELc78ELc78ELc76ELb0ELb0E19rocblas_complex_numIfEPKS1_S3_PS1_EviT_T9_T10_S5_lS7_S5_lS6_T11_S5_li.private_seg_size, 0
	.set _ZL29rocblas_internal_gemmt_kernelIiLi16ELi32ELi8ELc78ELc78ELc76ELb0ELb0E19rocblas_complex_numIfEPKS1_S3_PS1_EviT_T9_T10_S5_lS7_S5_lS6_T11_S5_li.uses_vcc, 1
	.set _ZL29rocblas_internal_gemmt_kernelIiLi16ELi32ELi8ELc78ELc78ELc76ELb0ELb0E19rocblas_complex_numIfEPKS1_S3_PS1_EviT_T9_T10_S5_lS7_S5_lS6_T11_S5_li.uses_flat_scratch, 0
	.set _ZL29rocblas_internal_gemmt_kernelIiLi16ELi32ELi8ELc78ELc78ELc76ELb0ELb0E19rocblas_complex_numIfEPKS1_S3_PS1_EviT_T9_T10_S5_lS7_S5_lS6_T11_S5_li.has_dyn_sized_stack, 0
	.set _ZL29rocblas_internal_gemmt_kernelIiLi16ELi32ELi8ELc78ELc78ELc76ELb0ELb0E19rocblas_complex_numIfEPKS1_S3_PS1_EviT_T9_T10_S5_lS7_S5_lS6_T11_S5_li.has_recursion, 0
	.set _ZL29rocblas_internal_gemmt_kernelIiLi16ELi32ELi8ELc78ELc78ELc76ELb0ELb0E19rocblas_complex_numIfEPKS1_S3_PS1_EviT_T9_T10_S5_lS7_S5_lS6_T11_S5_li.has_indirect_call, 0
	.section	.AMDGPU.csdata,"",@progbits
; Kernel info:
; codeLenInByte = 3196
; TotalNumSgprs: 38
; NumVgprs: 56
; ScratchSize: 0
; MemoryBound: 0
; FloatMode: 240
; IeeeMode: 1
; LDSByteSize: 4096 bytes/workgroup (compile time only)
; SGPRBlocks: 0
; VGPRBlocks: 3
; NumSGPRsForWavesPerEU: 38
; NumVGPRsForWavesPerEU: 56
; NamedBarCnt: 0
; Occupancy: 16
; WaveLimiterHint : 0
; COMPUTE_PGM_RSRC2:SCRATCH_EN: 0
; COMPUTE_PGM_RSRC2:USER_SGPR: 2
; COMPUTE_PGM_RSRC2:TRAP_HANDLER: 0
; COMPUTE_PGM_RSRC2:TGID_X_EN: 1
; COMPUTE_PGM_RSRC2:TGID_Y_EN: 1
; COMPUTE_PGM_RSRC2:TGID_Z_EN: 1
; COMPUTE_PGM_RSRC2:TIDIG_COMP_CNT: 1
	.section	.text._ZL29rocblas_internal_gemmt_kernelIiLi16ELi32ELi8ELc78ELc84ELc76ELb0ELb0E19rocblas_complex_numIfEPKS1_S3_PS1_EviT_T9_T10_S5_lS7_S5_lS6_T11_S5_li,"axG",@progbits,_ZL29rocblas_internal_gemmt_kernelIiLi16ELi32ELi8ELc78ELc84ELc76ELb0ELb0E19rocblas_complex_numIfEPKS1_S3_PS1_EviT_T9_T10_S5_lS7_S5_lS6_T11_S5_li,comdat
	.globl	_ZL29rocblas_internal_gemmt_kernelIiLi16ELi32ELi8ELc78ELc84ELc76ELb0ELb0E19rocblas_complex_numIfEPKS1_S3_PS1_EviT_T9_T10_S5_lS7_S5_lS6_T11_S5_li ; -- Begin function _ZL29rocblas_internal_gemmt_kernelIiLi16ELi32ELi8ELc78ELc84ELc76ELb0ELb0E19rocblas_complex_numIfEPKS1_S3_PS1_EviT_T9_T10_S5_lS7_S5_lS6_T11_S5_li
	.p2align	8
	.type	_ZL29rocblas_internal_gemmt_kernelIiLi16ELi32ELi8ELc78ELc84ELc76ELb0ELb0E19rocblas_complex_numIfEPKS1_S3_PS1_EviT_T9_T10_S5_lS7_S5_lS6_T11_S5_li,@function
_ZL29rocblas_internal_gemmt_kernelIiLi16ELi32ELi8ELc78ELc84ELc76ELb0ELb0E19rocblas_complex_numIfEPKS1_S3_PS1_EviT_T9_T10_S5_lS7_S5_lS6_T11_S5_li: ; @_ZL29rocblas_internal_gemmt_kernelIiLi16ELi32ELi8ELc78ELc84ELc76ELb0ELb0E19rocblas_complex_numIfEPKS1_S3_PS1_EviT_T9_T10_S5_lS7_S5_lS6_T11_S5_li
; %bb.0:
	s_load_b128 s[8:11], s[0:1], 0x38
	s_wait_kmcnt 0x0
	s_load_b64 s[20:21], s[10:11], 0x0
	s_clause 0x1
	s_load_b128 s[4:7], s[0:1], 0x8
	s_load_b64 s[22:23], s[0:1], 0x0
	s_wait_kmcnt 0x0
	s_cmp_neq_f32 s20, 1.0
	s_load_b64 s[10:11], s[4:5], 0x0
	s_cselect_b32 s2, -1, 0
	s_wait_xcnt 0x0
	s_and_b32 s4, s21, 0x7fffffff
	s_delay_alu instid0(SALU_CYCLE_1) | instskip(SKIP_3) | instid1(SALU_CYCLE_1)
	s_cmp_eq_u32 s4, 0
	s_cselect_b32 s3, -1, 0
	s_cmp_lg_u32 s4, 0
	s_cselect_b32 s4, -1, 0
	s_or_b32 s2, s2, s4
	s_delay_alu instid0(SALU_CYCLE_1)
	s_and_b32 vcc_lo, exec_lo, s2
	s_cbranch_vccnz .LBB82_2
; %bb.1:
	s_cmp_lg_u32 s23, 0
	s_cselect_b32 s2, -1, 0
	s_wait_kmcnt 0x0
	s_cmp_neq_f32 s10, 0
	s_cselect_b32 s4, -1, 0
	s_cmp_neq_f32 s11, 0
	s_cselect_b32 s5, -1, 0
	s_delay_alu instid0(SALU_CYCLE_1) | instskip(NEXT) | instid1(SALU_CYCLE_1)
	s_or_b32 s4, s4, s5
	s_and_b32 s2, s2, s4
.LBB82_2:
	s_delay_alu instid0(SALU_CYCLE_1)
	s_and_not1_b32 vcc_lo, exec_lo, s2
	s_cbranch_vccnz .LBB82_33
; %bb.3:
	s_load_b32 s33, s[0:1], 0x60
	s_bfe_u32 s2, ttmp6, 0x40014
	s_lshr_b32 s4, ttmp7, 16
	s_add_co_i32 s2, s2, 1
	s_bfe_u32 s12, ttmp6, 0x40008
	s_mul_i32 s5, s4, s2
	s_getreg_b32 s2, hwreg(HW_REG_IB_STS2, 6, 4)
	s_add_co_i32 s12, s12, s5
	s_cmp_eq_u32 s2, 0
	s_mov_b32 s25, 0
	s_cselect_b32 s24, s4, s12
	s_wait_kmcnt 0x0
	s_cmp_ge_u32 s24, s33
	s_cbranch_scc1 .LBB82_33
; %bb.4:
	s_clause 0x3
	s_load_b32 s28, s[0:1], 0x18
	s_load_b32 s30, s[0:1], 0x30
	s_load_b96 s[16:18], s[0:1], 0x48
	s_load_b128 s[12:15], s[0:1], 0x20
	v_and_b32_e32 v1, 0x3ff, v0
	v_bfe_u32 v9, v0, 10, 10
	s_load_b64 s[26:27], s[0:1], 0x58
	s_wait_xcnt 0x0
	s_bfe_u32 s1, ttmp6, 0x4000c
	s_bfe_u32 s5, ttmp6, 0x40010
	s_and_b32 s4, ttmp7, 0xffff
	v_lshl_add_u32 v2, v9, 4, v1
	s_add_co_i32 s1, s1, 1
	s_add_co_i32 s5, s5, 1
	v_and_b32_e32 v6, 7, v0
	s_and_b32 s0, ttmp6, 15
	v_lshrrev_b32_e32 v4, 5, v2
	s_bfe_u32 s19, ttmp6, 0x40004
	s_mul_i32 s1, ttmp9, s1
	s_mul_i32 s34, s4, s5
	s_add_co_i32 s0, s0, s1
	s_wait_kmcnt 0x0
	s_ashr_i32 s29, s28, 31
	s_ashr_i32 s31, s30, 31
	;; [unrolled: 1-line block ×3, first 2 shown]
	s_add_co_i32 s19, s19, s34
	s_cmp_eq_u32 s2, 0
	v_dual_lshrrev_b32 v5, 3, v2 :: v_dual_bitop2_b32 v3, 31, v2 bitop3:0x40
	v_lshlrev_b32_e32 v7, 3, v6
	s_cselect_b32 s0, ttmp9, s0
	s_cselect_b32 s1, s4, s19
	s_lshl_b32 s2, s0, 5
	s_lshl_b32 s19, s1, 5
	s_delay_alu instid0(SALU_CYCLE_1) | instskip(SKIP_4) | instid1(VALU_DEP_3)
	v_dual_add_nc_u32 v2, s19, v5 :: v_dual_bitop2_b32 v0, s2, v3 bitop3:0x54
	v_lshlrev_b32_e32 v3, 3, v3
	v_lshl_or_b32 v7, v5, 6, v7
	v_dual_mov_b32 v5, 0 :: v_dual_add_nc_u32 v16, s19, v9
	s_mov_b32 s4, s18
	v_lshl_or_b32 v25, v4, 8, v3
	s_delay_alu instid0(VALU_DEP_3) | instskip(NEXT) | instid1(VALU_DEP_3)
	v_add_nc_u32_e32 v27, 0x800, v7
	v_dual_ashrrev_i32 v3, 31, v2 :: v_dual_mov_b32 v7, v5
	v_mul_u64_e32 v[18:19], s[28:29], v[4:5]
	v_dual_lshlrev_b32 v5, 3, v1 :: v_dual_add_nc_u32 v22, 16, v16
	v_dual_ashrrev_i32 v17, 31, v16 :: v_dual_add_nc_u32 v8, s2, v1
	s_delay_alu instid0(VALU_DEP_4) | instskip(SKIP_1) | instid1(VALU_DEP_3)
	v_mul_u64_e32 v[20:21], s[30:31], v[6:7]
	s_cmp_neq_f32 s10, 0
	v_ashrrev_i32_e32 v23, 31, v22
	s_delay_alu instid0(VALU_DEP_3)
	v_mul_u64_e32 v[10:11], s[4:5], v[16:17]
	v_add_nc_u32_e32 v12, 16, v8
	s_cselect_b32 s0, -1, 0
	s_cmp_neq_f32 s11, 0
	v_mul_u64_e32 v[14:15], s[4:5], v[22:23]
	v_ashrrev_i32_e32 v1, 31, v0
	v_cmp_le_i32_e32 vcc_lo, v16, v8
	s_cselect_b32 s1, -1, 0
	v_cmp_gt_i32_e64 s2, s22, v8
	s_or_b32 s18, s0, s1
	v_cmp_gt_i32_e64 s0, s22, v0
	v_cmp_gt_i32_e64 s1, s22, v2
	v_lshlrev_b64_e32 v[0:1], 3, v[0:1]
	v_lshlrev_b64_e32 v[2:3], 3, v[2:3]
	s_cmp_gt_i32 s23, 0
	v_cmp_gt_i32_e64 s4, s22, v12
	s_cselect_b32 s38, -1, 0
	s_cmp_neq_f32 s20, 0
	v_lshl_add_u32 v7, v9, 6, 0x800
	v_ashrrev_i32_e32 v9, 31, v8
	v_ashrrev_i32_e32 v13, 31, v12
	s_cselect_b32 s19, -1, 0
	s_xor_b32 s5, s3, -1
	v_cmp_le_i32_e64 s3, v16, v12
	v_lshl_add_u64 v[0:1], v[18:19], 3, v[0:1]
	s_and_b32 s34, vcc_lo, s2
	v_cmp_le_i32_e32 vcc_lo, v22, v8
	s_or_b32 s22, s19, s5
	s_and_b32 s35, s3, s4
	v_lshl_add_u64 v[2:3], v[20:21], 3, v[2:3]
	v_cmp_le_i32_e64 s3, v22, v12
	v_add_nc_u64_e32 v[16:17], s[6:7], v[0:1]
	s_and_b32 s36, vcc_lo, s2
	s_mov_b32 s2, s20
	v_add_nc_u64_e32 v[18:19], s[14:15], v[2:3]
	s_and_b32 s37, s3, s4
	s_mov_b32 s3, s20
	s_mov_b32 s20, s21
	;; [unrolled: 1-line block ×4, first 2 shown]
	s_lshl_b64 s[6:7], s[12:13], 3
	s_and_b32 s38, s18, s38
	s_lshl_b64 s[12:13], s[28:29], 6
	s_lshl_b64 s[8:9], s[8:9], 3
	;; [unrolled: 1-line block ×3, first 2 shown]
	s_branch .LBB82_6
.LBB82_5:                               ;   in Loop: Header=BB82_6 Depth=1
	s_wait_xcnt 0x0
	s_or_b32 exec_lo, exec_lo, s18
	s_add_co_i32 s24, s24, 0x10000
	s_delay_alu instid0(SALU_CYCLE_1)
	s_cmp_lt_u32 s24, s33
	s_cbranch_scc0 .LBB82_33
.LBB82_6:                               ; =>This Loop Header: Depth=1
                                        ;     Child Loop BB82_9 Depth 2
	v_dual_mov_b32 v36, 0 :: v_dual_mov_b32 v38, 0
	v_dual_mov_b32 v32, 0 :: v_dual_mov_b32 v34, 0
	;; [unrolled: 1-line block ×4, first 2 shown]
	s_and_not1_b32 vcc_lo, exec_lo, s38
	s_cbranch_vccnz .LBB82_13
; %bb.7:                                ;   in Loop: Header=BB82_6 Depth=1
	v_mad_nc_u64_u32 v[20:21], s6, s24, v[16:17]
	v_mad_nc_u64_u32 v[22:23], s8, s24, v[18:19]
	v_dual_mov_b32 v26, 0 :: v_dual_mov_b32 v24, 0
	v_dual_mov_b32 v30, 0 :: v_dual_mov_b32 v28, 0
	;; [unrolled: 1-line block ×4, first 2 shown]
	s_mov_b32 s18, 0
	v_mad_u32 v21, s7, s24, v21
	v_mad_u32 v23, s9, s24, v23
	s_branch .LBB82_9
.LBB82_8:                               ;   in Loop: Header=BB82_9 Depth=2
	s_wait_xcnt 0x0
	s_or_b32 exec_lo, exec_lo, s19
	s_wait_loadcnt 0x0
	ds_store_b64 v27, v[2:3]
	s_wait_dscnt 0x0
	s_barrier_signal -1
	s_barrier_wait -1
	ds_load_b128 v[40:43], v7
	ds_load_b128 v[44:47], v7 offset:16
	ds_load_b128 v[48:51], v7 offset:32
	;; [unrolled: 1-line block ×3, first 2 shown]
	ds_load_2addr_b64 v[52:55], v5 offset1:16
	v_add_nc_u64_e32 v[20:21], s[12:13], v[20:21]
	v_add_nc_u64_e32 v[22:23], s[14:15], v[22:23]
	s_add_co_i32 s18, s18, 8
	s_delay_alu instid0(SALU_CYCLE_1) | instskip(SKIP_2) | instid1(VALU_DEP_1)
	s_cmp_lt_i32 s18, s23
	s_wait_dscnt 0x0
	v_dual_mul_f32 v29, v41, v53 :: v_dual_mul_f32 v31, v40, v53
	v_dual_fma_f32 v29, v40, v52, -v29 :: v_dual_fmac_f32 v31, v41, v52
	s_delay_alu instid0(VALU_DEP_1) | instskip(SKIP_1) | instid1(VALU_DEP_1)
	v_dual_add_f32 v36, v36, v29 :: v_dual_add_f32 v37, v38, v31
	v_dual_mul_f32 v29, v41, v55 :: v_dual_mul_f32 v31, v40, v55
	v_dual_fma_f32 v29, v40, v54, -v29 :: v_dual_fmac_f32 v31, v41, v54
	s_delay_alu instid0(VALU_DEP_1) | instskip(SKIP_3) | instid1(VALU_DEP_1)
	v_dual_add_f32 v38, v32, v29 :: v_dual_add_f32 v39, v34, v31
	ds_load_b128 v[32:35], v7 offset:1024
	s_wait_dscnt 0x0
	v_dual_mul_f32 v29, v33, v53 :: v_dual_mul_f32 v31, v32, v53
	v_dual_fma_f32 v29, v32, v52, -v29 :: v_dual_fmac_f32 v31, v33, v52
	s_delay_alu instid0(VALU_DEP_1) | instskip(SKIP_1) | instid1(VALU_DEP_1)
	v_dual_add_f32 v40, v28, v29 :: v_dual_add_f32 v41, v30, v31
	v_dual_mul_f32 v28, v33, v55 :: v_dual_mul_f32 v29, v32, v55
	v_dual_fma_f32 v28, v32, v54, -v28 :: v_dual_fmac_f32 v29, v33, v54
	s_delay_alu instid0(VALU_DEP_1) | instskip(SKIP_3) | instid1(VALU_DEP_1)
	v_dual_add_f32 v24, v24, v28 :: v_dual_add_f32 v26, v26, v29
	ds_load_2addr_b64 v[28:31], v5 offset0:32 offset1:48
	s_wait_dscnt 0x0
	v_dual_mul_f32 v32, v43, v29 :: v_dual_mul_f32 v33, v42, v29
	v_dual_fma_f32 v32, v42, v28, -v32 :: v_dual_fmac_f32 v33, v43, v28
	s_delay_alu instid0(VALU_DEP_1) | instskip(SKIP_1) | instid1(VALU_DEP_1)
	v_dual_add_f32 v32, v36, v32 :: v_dual_add_f32 v33, v37, v33
	v_dual_mul_f32 v36, v43, v31 :: v_dual_mul_f32 v37, v42, v31
	v_dual_fma_f32 v36, v42, v30, -v36 :: v_dual_fmac_f32 v37, v43, v30
	s_delay_alu instid0(VALU_DEP_1) | instskip(SKIP_1) | instid1(VALU_DEP_1)
	v_dual_add_f32 v36, v38, v36 :: v_dual_add_f32 v37, v39, v37
	v_dual_mul_f32 v38, v35, v29 :: v_dual_mul_f32 v29, v34, v29
	v_dual_fma_f32 v38, v34, v28, -v38 :: v_dual_fmac_f32 v29, v35, v28
	s_delay_alu instid0(VALU_DEP_1) | instskip(NEXT) | instid1(VALU_DEP_2)
	v_dual_mul_f32 v28, v35, v31 :: v_dual_add_f32 v38, v40, v38
	v_dual_add_f32 v39, v41, v29 :: v_dual_mul_f32 v29, v34, v31
	s_delay_alu instid0(VALU_DEP_1) | instskip(NEXT) | instid1(VALU_DEP_1)
	v_dual_fma_f32 v28, v34, v30, -v28 :: v_dual_fmac_f32 v29, v35, v30
	v_dual_add_f32 v24, v24, v28 :: v_dual_add_f32 v26, v26, v29
	ds_load_2addr_b64 v[28:31], v5 offset0:64 offset1:80
	s_wait_dscnt 0x0
	v_dual_mul_f32 v34, v45, v29 :: v_dual_mul_f32 v35, v44, v29
	s_delay_alu instid0(VALU_DEP_1) | instskip(NEXT) | instid1(VALU_DEP_1)
	v_dual_fma_f32 v34, v44, v28, -v34 :: v_dual_fmac_f32 v35, v45, v28
	v_dual_add_f32 v40, v32, v34 :: v_dual_add_f32 v41, v33, v35
	v_dual_mul_f32 v32, v45, v31 :: v_dual_mul_f32 v33, v44, v31
	s_delay_alu instid0(VALU_DEP_1) | instskip(NEXT) | instid1(VALU_DEP_1)
	v_dual_fma_f32 v32, v44, v30, -v32 :: v_dual_fmac_f32 v33, v45, v30
	v_dual_add_f32 v36, v36, v32 :: v_dual_add_f32 v37, v37, v33
	ds_load_b128 v[32:35], v7 offset:1040
	s_wait_dscnt 0x0
	v_dual_mul_f32 v42, v33, v29 :: v_dual_mul_f32 v29, v32, v29
	s_delay_alu instid0(VALU_DEP_1) | instskip(NEXT) | instid1(VALU_DEP_1)
	v_dual_fma_f32 v42, v32, v28, -v42 :: v_dual_fmac_f32 v29, v33, v28
	v_dual_mul_f32 v28, v33, v31 :: v_dual_add_f32 v38, v38, v42
	s_delay_alu instid0(VALU_DEP_2) | instskip(NEXT) | instid1(VALU_DEP_1)
	v_dual_add_f32 v39, v39, v29 :: v_dual_mul_f32 v29, v32, v31
	v_dual_fma_f32 v28, v32, v30, -v28 :: v_dual_fmac_f32 v29, v33, v30
	s_delay_alu instid0(VALU_DEP_1) | instskip(SKIP_3) | instid1(VALU_DEP_1)
	v_dual_add_f32 v24, v24, v28 :: v_dual_add_f32 v26, v26, v29
	ds_load_2addr_b64 v[28:31], v5 offset0:96 offset1:112
	s_wait_dscnt 0x0
	v_dual_mul_f32 v32, v47, v29 :: v_dual_mul_f32 v33, v46, v29
	v_dual_fma_f32 v32, v46, v28, -v32 :: v_dual_fmac_f32 v33, v47, v28
	s_delay_alu instid0(VALU_DEP_1) | instskip(SKIP_1) | instid1(VALU_DEP_1)
	v_dual_add_f32 v32, v40, v32 :: v_dual_add_f32 v33, v41, v33
	v_dual_mul_f32 v40, v47, v31 :: v_dual_mul_f32 v41, v46, v31
	v_dual_fma_f32 v40, v46, v30, -v40 :: v_dual_fmac_f32 v41, v47, v30
	s_delay_alu instid0(VALU_DEP_1) | instskip(SKIP_1) | instid1(VALU_DEP_1)
	v_dual_add_f32 v36, v36, v40 :: v_dual_add_f32 v37, v37, v41
	v_dual_mul_f32 v40, v35, v29 :: v_dual_mul_f32 v29, v34, v29
	v_dual_fma_f32 v40, v34, v28, -v40 :: v_dual_fmac_f32 v29, v35, v28
	s_delay_alu instid0(VALU_DEP_1) | instskip(NEXT) | instid1(VALU_DEP_2)
	v_dual_mul_f32 v28, v35, v31 :: v_dual_add_f32 v38, v38, v40
	v_dual_add_f32 v39, v39, v29 :: v_dual_mul_f32 v29, v34, v31
	s_delay_alu instid0(VALU_DEP_1) | instskip(NEXT) | instid1(VALU_DEP_1)
	v_dual_fma_f32 v28, v34, v30, -v28 :: v_dual_fmac_f32 v29, v35, v30
	v_dual_add_f32 v24, v24, v28 :: v_dual_add_f32 v26, v26, v29
	ds_load_2addr_b64 v[28:31], v5 offset0:128 offset1:144
	s_wait_dscnt 0x0
	v_dual_mul_f32 v34, v49, v29 :: v_dual_mul_f32 v35, v48, v29
	s_delay_alu instid0(VALU_DEP_1) | instskip(NEXT) | instid1(VALU_DEP_1)
	v_dual_fma_f32 v34, v48, v28, -v34 :: v_dual_fmac_f32 v35, v49, v28
	v_dual_add_f32 v40, v32, v34 :: v_dual_add_f32 v41, v33, v35
	v_dual_mul_f32 v32, v49, v31 :: v_dual_mul_f32 v33, v48, v31
	s_delay_alu instid0(VALU_DEP_1) | instskip(NEXT) | instid1(VALU_DEP_1)
	v_dual_fma_f32 v32, v48, v30, -v32 :: v_dual_fmac_f32 v33, v49, v30
	v_dual_add_f32 v36, v36, v32 :: v_dual_add_f32 v37, v37, v33
	ds_load_b128 v[32:35], v7 offset:1056
	s_wait_dscnt 0x0
	v_dual_mul_f32 v42, v33, v29 :: v_dual_mul_f32 v29, v32, v29
	s_delay_alu instid0(VALU_DEP_1) | instskip(NEXT) | instid1(VALU_DEP_1)
	v_dual_fma_f32 v42, v32, v28, -v42 :: v_dual_fmac_f32 v29, v33, v28
	v_dual_mul_f32 v28, v33, v31 :: v_dual_add_f32 v38, v38, v42
	s_delay_alu instid0(VALU_DEP_2) | instskip(NEXT) | instid1(VALU_DEP_1)
	v_dual_add_f32 v39, v39, v29 :: v_dual_mul_f32 v29, v32, v31
	v_dual_fma_f32 v28, v32, v30, -v28 :: v_dual_fmac_f32 v29, v33, v30
	s_delay_alu instid0(VALU_DEP_1) | instskip(SKIP_3) | instid1(VALU_DEP_1)
	v_dual_add_f32 v24, v24, v28 :: v_dual_add_f32 v26, v26, v29
	ds_load_2addr_b64 v[28:31], v5 offset0:160 offset1:176
	s_wait_dscnt 0x0
	v_dual_mul_f32 v32, v51, v29 :: v_dual_mul_f32 v33, v50, v29
	v_dual_fma_f32 v32, v50, v28, -v32 :: v_dual_fmac_f32 v33, v51, v28
	s_delay_alu instid0(VALU_DEP_1) | instskip(SKIP_1) | instid1(VALU_DEP_1)
	v_dual_add_f32 v32, v40, v32 :: v_dual_add_f32 v33, v41, v33
	v_dual_mul_f32 v40, v51, v31 :: v_dual_mul_f32 v41, v50, v31
	v_dual_fma_f32 v40, v50, v30, -v40 :: v_dual_fmac_f32 v41, v51, v30
	s_delay_alu instid0(VALU_DEP_1) | instskip(SKIP_1) | instid1(VALU_DEP_1)
	v_dual_add_f32 v36, v36, v40 :: v_dual_add_f32 v37, v37, v41
	v_dual_mul_f32 v40, v35, v29 :: v_dual_mul_f32 v29, v34, v29
	v_dual_fma_f32 v40, v34, v28, -v40 :: v_dual_fmac_f32 v29, v35, v28
	s_delay_alu instid0(VALU_DEP_1) | instskip(NEXT) | instid1(VALU_DEP_2)
	v_dual_mul_f32 v28, v35, v31 :: v_dual_add_f32 v42, v38, v40
	v_dual_add_f32 v43, v39, v29 :: v_dual_mul_f32 v29, v34, v31
	s_delay_alu instid0(VALU_DEP_2) | instskip(SKIP_2) | instid1(VALU_DEP_1)
	v_fma_f32 v28, v34, v30, -v28
	ds_load_b128 v[38:41], v7 offset:1072
	v_dual_fmac_f32 v29, v35, v30 :: v_dual_add_f32 v24, v24, v28
	v_add_f32_e32 v26, v26, v29
	ds_load_2addr_b64 v[28:31], v5 offset0:192 offset1:208
	s_wait_dscnt 0x0
	v_dual_mul_f32 v34, v1, v29 :: v_dual_mul_f32 v35, v0, v29
	s_delay_alu instid0(VALU_DEP_1) | instskip(NEXT) | instid1(VALU_DEP_1)
	v_dual_fma_f32 v34, v0, v28, -v34 :: v_dual_fmac_f32 v35, v1, v28
	v_dual_add_f32 v32, v32, v34 :: v_dual_add_f32 v33, v33, v35
	v_mul_f32_e32 v34, v1, v31
	s_delay_alu instid0(VALU_DEP_1) | instskip(NEXT) | instid1(VALU_DEP_1)
	v_dual_fma_f32 v34, v0, v30, -v34 :: v_dual_mul_f32 v0, v0, v31
	v_fmac_f32_e32 v0, v1, v30
	s_delay_alu instid0(VALU_DEP_2) | instskip(NEXT) | instid1(VALU_DEP_2)
	v_dual_add_f32 v1, v36, v34 :: v_dual_mul_f32 v34, v39, v29
	v_dual_mul_f32 v29, v38, v29 :: v_dual_add_f32 v0, v37, v0
	s_delay_alu instid0(VALU_DEP_1) | instskip(NEXT) | instid1(VALU_DEP_1)
	v_dual_fma_f32 v34, v38, v28, -v34 :: v_dual_fmac_f32 v29, v39, v28
	v_dual_add_f32 v28, v42, v34 :: v_dual_add_f32 v29, v43, v29
	ds_load_2addr_b64 v[42:45], v5 offset0:224 offset1:240
	v_dual_mul_f32 v34, v39, v31 :: v_dual_mul_f32 v31, v38, v31
	s_wait_dscnt 0x0
	s_barrier_signal -1
	s_barrier_wait -1
	s_delay_alu instid0(VALU_DEP_1) | instskip(NEXT) | instid1(VALU_DEP_1)
	v_dual_fma_f32 v34, v38, v30, -v34 :: v_dual_fmac_f32 v31, v39, v30
	v_dual_add_f32 v24, v24, v34 :: v_dual_add_f32 v26, v26, v31
	v_dual_mul_f32 v30, v3, v43 :: v_dual_mul_f32 v31, v2, v43
	s_delay_alu instid0(VALU_DEP_1) | instskip(NEXT) | instid1(VALU_DEP_1)
	v_dual_fma_f32 v30, v2, v42, -v30 :: v_dual_fmac_f32 v31, v3, v42
	v_dual_add_f32 v36, v32, v30 :: v_dual_add_f32 v38, v33, v31
	v_mul_f32_e32 v30, v3, v45
	s_delay_alu instid0(VALU_DEP_1) | instskip(NEXT) | instid1(VALU_DEP_1)
	v_dual_fma_f32 v30, v2, v44, -v30 :: v_dual_mul_f32 v2, v2, v45
	v_fmac_f32_e32 v2, v3, v44
	s_delay_alu instid0(VALU_DEP_1) | instskip(NEXT) | instid1(VALU_DEP_3)
	v_add_f32_e32 v34, v0, v2
	v_add_f32_e32 v32, v1, v30
	v_dual_mul_f32 v0, v41, v43 :: v_dual_mul_f32 v1, v40, v43
	s_delay_alu instid0(VALU_DEP_1) | instskip(NEXT) | instid1(VALU_DEP_1)
	v_dual_fma_f32 v0, v40, v42, -v0 :: v_dual_fmac_f32 v1, v41, v42
	v_dual_add_f32 v28, v28, v0 :: v_dual_add_f32 v30, v29, v1
	v_dual_mul_f32 v0, v41, v45 :: v_dual_mul_f32 v1, v40, v45
	s_delay_alu instid0(VALU_DEP_1) | instskip(NEXT) | instid1(VALU_DEP_1)
	v_dual_fma_f32 v0, v40, v44, -v0 :: v_dual_fmac_f32 v1, v41, v44
	v_dual_add_f32 v24, v24, v0 :: v_dual_add_f32 v26, v26, v1
	s_cbranch_scc0 .LBB82_13
.LBB82_9:                               ;   Parent Loop BB82_6 Depth=1
                                        ; =>  This Inner Loop Header: Depth=2
	v_dual_mov_b32 v1, 0 :: v_dual_add_nc_u32 v0, s18, v4
	s_delay_alu instid0(VALU_DEP_1) | instskip(SKIP_2) | instid1(SALU_CYCLE_1)
	v_cmp_gt_i32_e32 vcc_lo, s23, v0
	v_mov_b32_e32 v0, 0
	s_and_b32 s28, s0, vcc_lo
	s_and_saveexec_b32 s19, s28
	s_cbranch_execz .LBB82_11
; %bb.10:                               ;   in Loop: Header=BB82_9 Depth=2
	global_load_b64 v[0:1], v[20:21], off
.LBB82_11:                              ;   in Loop: Header=BB82_9 Depth=2
	s_wait_xcnt 0x0
	s_or_b32 exec_lo, exec_lo, s19
	v_dual_mov_b32 v3, 0 :: v_dual_add_nc_u32 v2, s18, v6
	s_wait_loadcnt 0x0
	ds_store_b64 v25, v[0:1]
	v_cmp_gt_i32_e32 vcc_lo, s23, v2
	v_mov_b32_e32 v2, 0
	s_and_b32 s28, vcc_lo, s1
	s_delay_alu instid0(SALU_CYCLE_1)
	s_and_saveexec_b32 s19, s28
	s_cbranch_execz .LBB82_8
; %bb.12:                               ;   in Loop: Header=BB82_9 Depth=2
	global_load_b64 v[2:3], v[22:23], off
	s_branch .LBB82_8
.LBB82_13:                              ;   in Loop: Header=BB82_6 Depth=1
	s_mul_u64 s[18:19], s[26:27], s[24:25]
	s_delay_alu instid0(SALU_CYCLE_1) | instskip(NEXT) | instid1(SALU_CYCLE_1)
	s_lshl_b64 s[18:19], s[18:19], 3
	s_add_nc_u64 s[18:19], s[16:17], s[18:19]
	s_delay_alu instid0(SALU_CYCLE_1)
	v_lshl_add_u64 v[0:1], v[10:11], 3, s[18:19]
	s_and_saveexec_b32 s28, s34
	s_cbranch_execz .LBB82_18
; %bb.14:                               ;   in Loop: Header=BB82_6 Depth=1
	v_mov_b64_e32 v[2:3], s[4:5]
	v_mov_b64_e32 v[20:21], s[10:11]
	s_and_b32 vcc_lo, exec_lo, s22
	s_mov_b32 s29, -1
	s_delay_alu instid0(VALU_DEP_2) | instskip(NEXT) | instid1(VALU_DEP_1)
	v_pk_mul_f32 v[2:3], v[38:39], v[2:3] op_sel_hi:[0,1]
	v_pk_fma_f32 v[22:23], v[36:37], v[20:21], v[2:3] op_sel_hi:[0,1,1]
	v_pk_fma_f32 v[2:3], v[36:37], v[20:21], v[2:3] neg_lo:[0,0,1] neg_hi:[0,0,1]
	v_lshl_add_u64 v[20:21], v[8:9], 3, v[0:1]
	s_delay_alu instid0(VALU_DEP_3)
	v_mov_b32_e32 v3, v23
	s_cbranch_vccz .LBB82_16
; %bb.15:                               ;   in Loop: Header=BB82_6 Depth=1
	global_load_b64 v[22:23], v[20:21], off
	v_mov_b64_e32 v[36:37], s[20:21]
	v_mov_b64_e32 v[38:39], s[2:3]
	s_mov_b32 s29, 0
	s_wait_loadcnt 0x0
	s_delay_alu instid0(VALU_DEP_2) | instskip(NEXT) | instid1(VALU_DEP_1)
	v_pk_mul_f32 v[36:37], v[22:23], v[36:37]
	v_pk_fma_f32 v[40:41], v[22:23], v[38:39], v[36:37] op_sel:[0,0,1] op_sel_hi:[1,1,0]
	v_pk_fma_f32 v[22:23], v[22:23], v[38:39], v[36:37] op_sel:[0,0,1] op_sel_hi:[1,1,0] neg_lo:[0,0,1] neg_hi:[0,0,1]
	s_delay_alu instid0(VALU_DEP_2) | instskip(NEXT) | instid1(VALU_DEP_1)
	v_mov_b32_e32 v23, v41
	v_pk_add_f32 v[22:23], v[2:3], v[22:23]
	global_store_b64 v[20:21], v[22:23], off
.LBB82_16:                              ;   in Loop: Header=BB82_6 Depth=1
	s_and_not1_b32 vcc_lo, exec_lo, s29
	s_cbranch_vccnz .LBB82_18
; %bb.17:                               ;   in Loop: Header=BB82_6 Depth=1
	global_store_b64 v[20:21], v[2:3], off
.LBB82_18:                              ;   in Loop: Header=BB82_6 Depth=1
	s_wait_xcnt 0x0
	s_or_b32 exec_lo, exec_lo, s28
	s_and_saveexec_b32 s28, s35
	s_cbranch_execz .LBB82_23
; %bb.19:                               ;   in Loop: Header=BB82_6 Depth=1
	v_mov_b64_e32 v[2:3], s[4:5]
	v_mov_b64_e32 v[20:21], s[10:11]
	v_lshl_add_u64 v[0:1], v[12:13], 3, v[0:1]
	s_and_not1_b32 vcc_lo, exec_lo, s22
	s_mov_b32 s29, -1
	s_delay_alu instid0(VALU_DEP_3) | instskip(NEXT) | instid1(VALU_DEP_1)
	v_pk_mul_f32 v[2:3], v[34:35], v[2:3] op_sel_hi:[0,1]
	v_pk_fma_f32 v[22:23], v[32:33], v[20:21], v[2:3] op_sel_hi:[0,1,1]
	v_pk_fma_f32 v[2:3], v[32:33], v[20:21], v[2:3] neg_lo:[0,0,1] neg_hi:[0,0,1]
	s_delay_alu instid0(VALU_DEP_2)
	v_mov_b32_e32 v3, v23
	s_cbranch_vccnz .LBB82_21
; %bb.20:                               ;   in Loop: Header=BB82_6 Depth=1
	global_load_b64 v[20:21], v[0:1], off
	v_mov_b64_e32 v[22:23], s[20:21]
	v_mov_b64_e32 v[32:33], s[2:3]
	s_mov_b32 s29, 0
	s_wait_loadcnt 0x0
	s_delay_alu instid0(VALU_DEP_2) | instskip(NEXT) | instid1(VALU_DEP_1)
	v_pk_mul_f32 v[22:23], v[20:21], v[22:23]
	v_pk_fma_f32 v[34:35], v[20:21], v[32:33], v[22:23] op_sel:[0,0,1] op_sel_hi:[1,1,0]
	v_pk_fma_f32 v[20:21], v[20:21], v[32:33], v[22:23] op_sel:[0,0,1] op_sel_hi:[1,1,0] neg_lo:[0,0,1] neg_hi:[0,0,1]
	s_delay_alu instid0(VALU_DEP_2) | instskip(NEXT) | instid1(VALU_DEP_1)
	v_mov_b32_e32 v21, v35
	v_pk_add_f32 v[20:21], v[2:3], v[20:21]
	global_store_b64 v[0:1], v[20:21], off
.LBB82_21:                              ;   in Loop: Header=BB82_6 Depth=1
	s_and_not1_b32 vcc_lo, exec_lo, s29
	s_cbranch_vccnz .LBB82_23
; %bb.22:                               ;   in Loop: Header=BB82_6 Depth=1
	global_store_b64 v[0:1], v[2:3], off
.LBB82_23:                              ;   in Loop: Header=BB82_6 Depth=1
	s_wait_xcnt 0x0
	s_or_b32 exec_lo, exec_lo, s28
	v_lshl_add_u64 v[0:1], v[14:15], 3, s[18:19]
	s_and_saveexec_b32 s18, s36
	s_cbranch_execz .LBB82_28
; %bb.24:                               ;   in Loop: Header=BB82_6 Depth=1
	v_mov_b64_e32 v[2:3], s[4:5]
	v_mov_b64_e32 v[20:21], s[10:11]
	s_and_not1_b32 vcc_lo, exec_lo, s22
	s_mov_b32 s19, -1
	s_delay_alu instid0(VALU_DEP_2) | instskip(NEXT) | instid1(VALU_DEP_1)
	v_pk_mul_f32 v[2:3], v[30:31], v[2:3] op_sel_hi:[0,1]
	v_pk_fma_f32 v[22:23], v[28:29], v[20:21], v[2:3] op_sel_hi:[0,1,1]
	v_pk_fma_f32 v[2:3], v[28:29], v[20:21], v[2:3] neg_lo:[0,0,1] neg_hi:[0,0,1]
	v_lshl_add_u64 v[20:21], v[8:9], 3, v[0:1]
	s_delay_alu instid0(VALU_DEP_3)
	v_mov_b32_e32 v3, v23
	s_cbranch_vccnz .LBB82_26
; %bb.25:                               ;   in Loop: Header=BB82_6 Depth=1
	global_load_b64 v[22:23], v[20:21], off
	v_mov_b64_e32 v[28:29], s[20:21]
	v_mov_b64_e32 v[30:31], s[2:3]
	s_mov_b32 s19, 0
	s_wait_loadcnt 0x0
	s_delay_alu instid0(VALU_DEP_2) | instskip(NEXT) | instid1(VALU_DEP_1)
	v_pk_mul_f32 v[28:29], v[22:23], v[28:29]
	v_pk_fma_f32 v[32:33], v[22:23], v[30:31], v[28:29] op_sel:[0,0,1] op_sel_hi:[1,1,0]
	v_pk_fma_f32 v[22:23], v[22:23], v[30:31], v[28:29] op_sel:[0,0,1] op_sel_hi:[1,1,0] neg_lo:[0,0,1] neg_hi:[0,0,1]
	s_delay_alu instid0(VALU_DEP_2) | instskip(NEXT) | instid1(VALU_DEP_1)
	v_mov_b32_e32 v23, v33
	v_pk_add_f32 v[22:23], v[2:3], v[22:23]
	global_store_b64 v[20:21], v[22:23], off
.LBB82_26:                              ;   in Loop: Header=BB82_6 Depth=1
	s_and_not1_b32 vcc_lo, exec_lo, s19
	s_cbranch_vccnz .LBB82_28
; %bb.27:                               ;   in Loop: Header=BB82_6 Depth=1
	global_store_b64 v[20:21], v[2:3], off
.LBB82_28:                              ;   in Loop: Header=BB82_6 Depth=1
	s_wait_xcnt 0x0
	s_or_b32 exec_lo, exec_lo, s18
	s_and_saveexec_b32 s18, s37
	s_cbranch_execz .LBB82_5
; %bb.29:                               ;   in Loop: Header=BB82_6 Depth=1
	v_mov_b64_e32 v[2:3], s[4:5]
	v_mov_b64_e32 v[20:21], s[10:11]
	v_lshl_add_u64 v[0:1], v[12:13], 3, v[0:1]
	s_and_not1_b32 vcc_lo, exec_lo, s22
	s_mov_b32 s19, -1
	s_delay_alu instid0(VALU_DEP_3) | instskip(NEXT) | instid1(VALU_DEP_1)
	v_pk_mul_f32 v[2:3], v[26:27], v[2:3] op_sel_hi:[0,1]
	v_pk_fma_f32 v[22:23], v[24:25], v[20:21], v[2:3] op_sel_hi:[0,1,1]
	v_pk_fma_f32 v[2:3], v[24:25], v[20:21], v[2:3] neg_lo:[0,0,1] neg_hi:[0,0,1]
	s_delay_alu instid0(VALU_DEP_2)
	v_mov_b32_e32 v3, v23
	s_cbranch_vccnz .LBB82_31
; %bb.30:                               ;   in Loop: Header=BB82_6 Depth=1
	global_load_b64 v[20:21], v[0:1], off
	v_mov_b64_e32 v[22:23], s[20:21]
	v_mov_b64_e32 v[28:29], s[2:3]
	s_mov_b32 s19, 0
	s_wait_loadcnt 0x0
	s_delay_alu instid0(VALU_DEP_2) | instskip(NEXT) | instid1(VALU_DEP_1)
	v_pk_mul_f32 v[22:23], v[20:21], v[22:23]
	v_pk_fma_f32 v[30:31], v[20:21], v[28:29], v[22:23] op_sel:[0,0,1] op_sel_hi:[1,1,0]
	v_pk_fma_f32 v[20:21], v[20:21], v[28:29], v[22:23] op_sel:[0,0,1] op_sel_hi:[1,1,0] neg_lo:[0,0,1] neg_hi:[0,0,1]
	s_delay_alu instid0(VALU_DEP_2) | instskip(NEXT) | instid1(VALU_DEP_1)
	v_mov_b32_e32 v21, v31
	v_pk_add_f32 v[20:21], v[2:3], v[20:21]
	global_store_b64 v[0:1], v[20:21], off
.LBB82_31:                              ;   in Loop: Header=BB82_6 Depth=1
	s_and_not1_b32 vcc_lo, exec_lo, s19
	s_cbranch_vccnz .LBB82_5
; %bb.32:                               ;   in Loop: Header=BB82_6 Depth=1
	global_store_b64 v[0:1], v[2:3], off
	s_branch .LBB82_5
.LBB82_33:
	s_endpgm
	.section	.rodata,"a",@progbits
	.p2align	6, 0x0
	.amdhsa_kernel _ZL29rocblas_internal_gemmt_kernelIiLi16ELi32ELi8ELc78ELc84ELc76ELb0ELb0E19rocblas_complex_numIfEPKS1_S3_PS1_EviT_T9_T10_S5_lS7_S5_lS6_T11_S5_li
		.amdhsa_group_segment_fixed_size 4096
		.amdhsa_private_segment_fixed_size 0
		.amdhsa_kernarg_size 100
		.amdhsa_user_sgpr_count 2
		.amdhsa_user_sgpr_dispatch_ptr 0
		.amdhsa_user_sgpr_queue_ptr 0
		.amdhsa_user_sgpr_kernarg_segment_ptr 1
		.amdhsa_user_sgpr_dispatch_id 0
		.amdhsa_user_sgpr_kernarg_preload_length 0
		.amdhsa_user_sgpr_kernarg_preload_offset 0
		.amdhsa_user_sgpr_private_segment_size 0
		.amdhsa_wavefront_size32 1
		.amdhsa_uses_dynamic_stack 0
		.amdhsa_enable_private_segment 0
		.amdhsa_system_sgpr_workgroup_id_x 1
		.amdhsa_system_sgpr_workgroup_id_y 1
		.amdhsa_system_sgpr_workgroup_id_z 1
		.amdhsa_system_sgpr_workgroup_info 0
		.amdhsa_system_vgpr_workitem_id 1
		.amdhsa_next_free_vgpr 56
		.amdhsa_next_free_sgpr 39
		.amdhsa_named_barrier_count 0
		.amdhsa_reserve_vcc 1
		.amdhsa_float_round_mode_32 0
		.amdhsa_float_round_mode_16_64 0
		.amdhsa_float_denorm_mode_32 3
		.amdhsa_float_denorm_mode_16_64 3
		.amdhsa_fp16_overflow 0
		.amdhsa_memory_ordered 1
		.amdhsa_forward_progress 1
		.amdhsa_inst_pref_size 25
		.amdhsa_round_robin_scheduling 0
		.amdhsa_exception_fp_ieee_invalid_op 0
		.amdhsa_exception_fp_denorm_src 0
		.amdhsa_exception_fp_ieee_div_zero 0
		.amdhsa_exception_fp_ieee_overflow 0
		.amdhsa_exception_fp_ieee_underflow 0
		.amdhsa_exception_fp_ieee_inexact 0
		.amdhsa_exception_int_div_zero 0
	.end_amdhsa_kernel
	.section	.text._ZL29rocblas_internal_gemmt_kernelIiLi16ELi32ELi8ELc78ELc84ELc76ELb0ELb0E19rocblas_complex_numIfEPKS1_S3_PS1_EviT_T9_T10_S5_lS7_S5_lS6_T11_S5_li,"axG",@progbits,_ZL29rocblas_internal_gemmt_kernelIiLi16ELi32ELi8ELc78ELc84ELc76ELb0ELb0E19rocblas_complex_numIfEPKS1_S3_PS1_EviT_T9_T10_S5_lS7_S5_lS6_T11_S5_li,comdat
.Lfunc_end82:
	.size	_ZL29rocblas_internal_gemmt_kernelIiLi16ELi32ELi8ELc78ELc84ELc76ELb0ELb0E19rocblas_complex_numIfEPKS1_S3_PS1_EviT_T9_T10_S5_lS7_S5_lS6_T11_S5_li, .Lfunc_end82-_ZL29rocblas_internal_gemmt_kernelIiLi16ELi32ELi8ELc78ELc84ELc76ELb0ELb0E19rocblas_complex_numIfEPKS1_S3_PS1_EviT_T9_T10_S5_lS7_S5_lS6_T11_S5_li
                                        ; -- End function
	.set _ZL29rocblas_internal_gemmt_kernelIiLi16ELi32ELi8ELc78ELc84ELc76ELb0ELb0E19rocblas_complex_numIfEPKS1_S3_PS1_EviT_T9_T10_S5_lS7_S5_lS6_T11_S5_li.num_vgpr, 56
	.set _ZL29rocblas_internal_gemmt_kernelIiLi16ELi32ELi8ELc78ELc84ELc76ELb0ELb0E19rocblas_complex_numIfEPKS1_S3_PS1_EviT_T9_T10_S5_lS7_S5_lS6_T11_S5_li.num_agpr, 0
	.set _ZL29rocblas_internal_gemmt_kernelIiLi16ELi32ELi8ELc78ELc84ELc76ELb0ELb0E19rocblas_complex_numIfEPKS1_S3_PS1_EviT_T9_T10_S5_lS7_S5_lS6_T11_S5_li.numbered_sgpr, 39
	.set _ZL29rocblas_internal_gemmt_kernelIiLi16ELi32ELi8ELc78ELc84ELc76ELb0ELb0E19rocblas_complex_numIfEPKS1_S3_PS1_EviT_T9_T10_S5_lS7_S5_lS6_T11_S5_li.num_named_barrier, 0
	.set _ZL29rocblas_internal_gemmt_kernelIiLi16ELi32ELi8ELc78ELc84ELc76ELb0ELb0E19rocblas_complex_numIfEPKS1_S3_PS1_EviT_T9_T10_S5_lS7_S5_lS6_T11_S5_li.private_seg_size, 0
	.set _ZL29rocblas_internal_gemmt_kernelIiLi16ELi32ELi8ELc78ELc84ELc76ELb0ELb0E19rocblas_complex_numIfEPKS1_S3_PS1_EviT_T9_T10_S5_lS7_S5_lS6_T11_S5_li.uses_vcc, 1
	.set _ZL29rocblas_internal_gemmt_kernelIiLi16ELi32ELi8ELc78ELc84ELc76ELb0ELb0E19rocblas_complex_numIfEPKS1_S3_PS1_EviT_T9_T10_S5_lS7_S5_lS6_T11_S5_li.uses_flat_scratch, 0
	.set _ZL29rocblas_internal_gemmt_kernelIiLi16ELi32ELi8ELc78ELc84ELc76ELb0ELb0E19rocblas_complex_numIfEPKS1_S3_PS1_EviT_T9_T10_S5_lS7_S5_lS6_T11_S5_li.has_dyn_sized_stack, 0
	.set _ZL29rocblas_internal_gemmt_kernelIiLi16ELi32ELi8ELc78ELc84ELc76ELb0ELb0E19rocblas_complex_numIfEPKS1_S3_PS1_EviT_T9_T10_S5_lS7_S5_lS6_T11_S5_li.has_recursion, 0
	.set _ZL29rocblas_internal_gemmt_kernelIiLi16ELi32ELi8ELc78ELc84ELc76ELb0ELb0E19rocblas_complex_numIfEPKS1_S3_PS1_EviT_T9_T10_S5_lS7_S5_lS6_T11_S5_li.has_indirect_call, 0
	.section	.AMDGPU.csdata,"",@progbits
; Kernel info:
; codeLenInByte = 3184
; TotalNumSgprs: 41
; NumVgprs: 56
; ScratchSize: 0
; MemoryBound: 0
; FloatMode: 240
; IeeeMode: 1
; LDSByteSize: 4096 bytes/workgroup (compile time only)
; SGPRBlocks: 0
; VGPRBlocks: 3
; NumSGPRsForWavesPerEU: 41
; NumVGPRsForWavesPerEU: 56
; NamedBarCnt: 0
; Occupancy: 16
; WaveLimiterHint : 0
; COMPUTE_PGM_RSRC2:SCRATCH_EN: 0
; COMPUTE_PGM_RSRC2:USER_SGPR: 2
; COMPUTE_PGM_RSRC2:TRAP_HANDLER: 0
; COMPUTE_PGM_RSRC2:TGID_X_EN: 1
; COMPUTE_PGM_RSRC2:TGID_Y_EN: 1
; COMPUTE_PGM_RSRC2:TGID_Z_EN: 1
; COMPUTE_PGM_RSRC2:TIDIG_COMP_CNT: 1
	.section	.text._ZL29rocblas_internal_gemmt_kernelIiLi16ELi32ELi8ELc78ELc67ELc76ELb0ELb1E19rocblas_complex_numIfEPKS1_S3_PS1_EviT_T9_T10_S5_lS7_S5_lS6_T11_S5_li,"axG",@progbits,_ZL29rocblas_internal_gemmt_kernelIiLi16ELi32ELi8ELc78ELc67ELc76ELb0ELb1E19rocblas_complex_numIfEPKS1_S3_PS1_EviT_T9_T10_S5_lS7_S5_lS6_T11_S5_li,comdat
	.globl	_ZL29rocblas_internal_gemmt_kernelIiLi16ELi32ELi8ELc78ELc67ELc76ELb0ELb1E19rocblas_complex_numIfEPKS1_S3_PS1_EviT_T9_T10_S5_lS7_S5_lS6_T11_S5_li ; -- Begin function _ZL29rocblas_internal_gemmt_kernelIiLi16ELi32ELi8ELc78ELc67ELc76ELb0ELb1E19rocblas_complex_numIfEPKS1_S3_PS1_EviT_T9_T10_S5_lS7_S5_lS6_T11_S5_li
	.p2align	8
	.type	_ZL29rocblas_internal_gemmt_kernelIiLi16ELi32ELi8ELc78ELc67ELc76ELb0ELb1E19rocblas_complex_numIfEPKS1_S3_PS1_EviT_T9_T10_S5_lS7_S5_lS6_T11_S5_li,@function
_ZL29rocblas_internal_gemmt_kernelIiLi16ELi32ELi8ELc78ELc67ELc76ELb0ELb1E19rocblas_complex_numIfEPKS1_S3_PS1_EviT_T9_T10_S5_lS7_S5_lS6_T11_S5_li: ; @_ZL29rocblas_internal_gemmt_kernelIiLi16ELi32ELi8ELc78ELc67ELc76ELb0ELb1E19rocblas_complex_numIfEPKS1_S3_PS1_EviT_T9_T10_S5_lS7_S5_lS6_T11_S5_li
; %bb.0:
	s_load_b128 s[8:11], s[0:1], 0x38
	s_wait_kmcnt 0x0
	s_load_b64 s[20:21], s[10:11], 0x0
	s_clause 0x1
	s_load_b128 s[4:7], s[0:1], 0x8
	s_load_b64 s[22:23], s[0:1], 0x0
	s_wait_kmcnt 0x0
	s_cmp_neq_f32 s20, 1.0
	s_load_b64 s[10:11], s[4:5], 0x0
	s_cselect_b32 s3, -1, 0
	s_wait_xcnt 0x0
	s_and_b32 s4, s21, 0x7fffffff
	s_delay_alu instid0(SALU_CYCLE_1) | instskip(SKIP_3) | instid1(SALU_CYCLE_1)
	s_cmp_eq_u32 s4, 0
	s_cselect_b32 s2, -1, 0
	s_cmp_lg_u32 s4, 0
	s_cselect_b32 s4, -1, 0
	s_or_b32 s3, s3, s4
	s_delay_alu instid0(SALU_CYCLE_1)
	s_and_b32 vcc_lo, exec_lo, s3
	s_cbranch_vccnz .LBB83_2
; %bb.1:
	s_cmp_lg_u32 s23, 0
	s_cselect_b32 s3, -1, 0
	s_wait_kmcnt 0x0
	s_cmp_neq_f32 s10, 0
	s_cselect_b32 s4, -1, 0
	s_cmp_neq_f32 s11, 0
	s_cselect_b32 s5, -1, 0
	s_delay_alu instid0(SALU_CYCLE_1) | instskip(NEXT) | instid1(SALU_CYCLE_1)
	s_or_b32 s4, s4, s5
	s_and_b32 s3, s3, s4
.LBB83_2:
	s_delay_alu instid0(SALU_CYCLE_1)
	s_and_not1_b32 vcc_lo, exec_lo, s3
	s_cbranch_vccnz .LBB83_35
; %bb.3:
	s_load_b32 s33, s[0:1], 0x60
	s_bfe_u32 s3, ttmp6, 0x40014
	s_lshr_b32 s4, ttmp7, 16
	s_add_co_i32 s3, s3, 1
	s_bfe_u32 s12, ttmp6, 0x40008
	s_mul_i32 s5, s4, s3
	s_getreg_b32 s3, hwreg(HW_REG_IB_STS2, 6, 4)
	s_add_co_i32 s12, s12, s5
	s_cmp_eq_u32 s3, 0
	s_mov_b32 s25, 0
	s_cselect_b32 s24, s4, s12
	s_wait_kmcnt 0x0
	s_cmp_ge_u32 s24, s33
	s_cbranch_scc1 .LBB83_35
; %bb.4:
	s_clause 0x4
	s_load_b32 s30, s[0:1], 0x18
	s_load_b32 s28, s[0:1], 0x30
	s_load_b96 s[16:18], s[0:1], 0x48
	s_load_b128 s[12:15], s[0:1], 0x20
	s_load_b64 s[26:27], s[0:1], 0x58
	s_wait_xcnt 0x0
	s_bfe_u32 s1, ttmp6, 0x4000c
	s_bfe_u32 s5, ttmp6, 0x40010
	v_and_b32_e32 v1, 0x3ff, v0
	v_bfe_u32 v8, v0, 10, 10
	s_and_b32 s4, ttmp7, 0xffff
	s_add_co_i32 s1, s1, 1
	s_add_co_i32 s5, s5, 1
	s_and_b32 s0, ttmp6, 15
	s_bfe_u32 s19, ttmp6, 0x40004
	s_mul_i32 s1, ttmp9, s1
	s_mul_i32 s5, s4, s5
	s_add_co_i32 s0, s0, s1
	s_add_co_i32 s19, s19, s5
	v_lshl_add_u32 v2, v8, 4, v1
	v_dual_mov_b32 v5, 0 :: v_dual_bitop2_b32 v6, 7, v0 bitop3:0x40
	s_wait_kmcnt 0x0
	s_ashr_i32 s31, s30, 31
	s_ashr_i32 s29, s28, 31
	;; [unrolled: 1-line block ×3, first 2 shown]
	s_cmp_eq_u32 s3, 0
	v_dual_lshrrev_b32 v4, 5, v2 :: v_dual_lshrrev_b32 v3, 3, v2
	s_cselect_b32 s1, s4, s19
	s_cselect_b32 s0, ttmp9, s0
	s_lshl_b32 s1, s1, 5
	s_delay_alu instid0(VALU_DEP_1) | instid1(SALU_CYCLE_1)
	v_dual_add_nc_u32 v2, s1, v3 :: v_dual_bitop2_b32 v7, 31, v2 bitop3:0x40
	s_lshl_b32 s3, s0, 5
	v_lshlrev_b32_e32 v9, 3, v6
	v_mul_u64_e32 v[20:21], s[30:31], v[4:5]
	s_delay_alu instid0(VALU_DEP_3) | instskip(SKIP_1) | instid1(VALU_DEP_4)
	v_dual_lshlrev_b32 v10, 3, v7 :: v_dual_bitop2_b32 v0, s3, v7 bitop3:0x54
	v_mov_b32_e32 v7, v5
	v_lshl_or_b32 v3, v3, 6, v9
	v_lshlrev_b32_e32 v27, 3, v1
	v_lshl_add_u32 v29, v8, 6, 0x800
	s_cmp_neq_f32 s10, 0
	v_mul_u64_e32 v[16:17], s[28:29], v[6:7]
	v_add_nc_u32_e32 v7, 0x800, v3
	v_dual_ashrrev_i32 v3, 31, v2 :: v_dual_add_nc_u32 v18, s1, v8
	v_add_nc_u32_e32 v8, s3, v1
	s_mov_b32 s4, s18
	v_lshl_or_b32 v25, v4, 8, v10
	s_cselect_b32 s0, -1, 0
	v_dual_add_nc_u32 v22, 16, v18 :: v_dual_ashrrev_i32 v19, 31, v18
	v_add_nc_u32_e32 v10, 16, v8
	s_cmp_neq_f32 s11, 0
	v_cmp_gt_i32_e32 vcc_lo, s22, v2
	s_delay_alu instid0(VALU_DEP_3)
	v_ashrrev_i32_e32 v23, 31, v22
	v_mul_u64_e32 v[12:13], s[4:5], v[18:19]
	s_cselect_b32 s18, -1, 0
	v_lshlrev_b64_e32 v[2:3], 3, v[2:3]
	s_or_b32 s18, s0, s18
	v_mul_u64_e32 v[14:15], s[4:5], v[22:23]
	v_ashrrev_i32_e32 v1, 31, v0
	s_cmp_gt_i32 s23, 0
	v_cmp_gt_i32_e64 s0, s22, v0
	s_cselect_b32 s19, -1, 0
	s_cmp_neq_f32 s20, 0
	v_lshlrev_b64_e32 v[0:1], 3, v[0:1]
	v_cmp_le_i32_e64 s1, v18, v8
	v_cmp_le_i32_e64 s4, v22, v8
	s_cselect_b32 s3, -1, 0
	s_xor_b32 s34, s2, -1
	v_cmp_gt_i32_e64 s2, s22, v8
	s_or_b32 s34, s3, s34
	v_cmp_gt_i32_e64 s3, s22, v10
	v_lshl_add_u64 v[2:3], v[16:17], 3, v[2:3]
	v_lshl_add_u64 v[0:1], v[20:21], 3, v[0:1]
	s_and_b32 s35, s1, s2
	v_cmp_le_i32_e64 s1, v18, v10
	v_dual_ashrrev_i32 v9, 31, v8 :: v_dual_ashrrev_i32 v11, 31, v10
	v_add_nc_u64_e32 v[2:3], s[14:15], v[2:3]
	v_add_nc_u64_e32 v[16:17], s[6:7], v[0:1]
	s_and_b32 s22, s1, s3
	v_cmp_le_i32_e64 s1, v22, v10
	s_and_b32 s36, s4, s2
	s_mov_b32 s2, s20
	s_mov_b32 s4, s11
	v_add_nc_u64_e32 v[18:19], 4, v[2:3]
	s_and_b32 s1, s1, s3
	s_mov_b32 s3, s20
	s_mov_b32 s20, s21
	;; [unrolled: 1-line block ×3, first 2 shown]
	s_lshl_b64 s[6:7], s[12:13], 3
	s_lshl_b64 s[12:13], s[30:31], 6
	s_and_b32 s30, s18, s19
	s_lshl_b64 s[8:9], s[8:9], 3
	s_lshl_b64 s[14:15], s[28:29], 6
	s_xor_b32 s28, vcc_lo, -1
	s_branch .LBB83_6
.LBB83_5:                               ;   in Loop: Header=BB83_6 Depth=1
	s_wait_xcnt 0x0
	s_or_b32 exec_lo, exec_lo, s18
	s_add_co_i32 s24, s24, 0x10000
	s_delay_alu instid0(SALU_CYCLE_1)
	s_cmp_lt_u32 s24, s33
	s_cbranch_scc0 .LBB83_35
.LBB83_6:                               ; =>This Loop Header: Depth=1
                                        ;     Child Loop BB83_9 Depth 2
	v_dual_mov_b32 v36, 0 :: v_dual_mov_b32 v38, 0
	v_dual_mov_b32 v32, 0 :: v_dual_mov_b32 v34, 0
	;; [unrolled: 1-line block ×4, first 2 shown]
	s_and_not1_b32 vcc_lo, exec_lo, s30
	s_cbranch_vccnz .LBB83_15
; %bb.7:                                ;   in Loop: Header=BB83_6 Depth=1
	v_mad_nc_u64_u32 v[20:21], s6, s24, v[16:17]
	v_mad_nc_u64_u32 v[22:23], s8, s24, v[18:19]
	v_dual_mov_b32 v26, 0 :: v_dual_mov_b32 v24, 0
	v_dual_mov_b32 v30, 0 :: v_dual_mov_b32 v28, 0
	;; [unrolled: 1-line block ×4, first 2 shown]
	s_mov_b32 s18, 0
	v_mad_u32 v21, s7, s24, v21
	v_mad_u32 v23, s9, s24, v23
	s_branch .LBB83_9
.LBB83_8:                               ;   in Loop: Header=BB83_9 Depth=2
	s_wait_xcnt 0x0
	s_or_b32 exec_lo, exec_lo, s19
	ds_store_b32 v7, v0 offset:4
	s_wait_dscnt 0x0
	s_barrier_signal -1
	s_barrier_wait -1
	ds_load_b128 v[40:43], v29
	ds_load_b128 v[44:47], v29 offset:16
	ds_load_b128 v[48:51], v29 offset:32
	;; [unrolled: 1-line block ×3, first 2 shown]
	ds_load_2addr_b64 v[52:55], v27 offset1:16
	v_add_nc_u64_e32 v[20:21], s[12:13], v[20:21]
	v_add_nc_u64_e32 v[22:23], s[14:15], v[22:23]
	s_add_co_i32 s18, s18, 8
	s_delay_alu instid0(SALU_CYCLE_1) | instskip(SKIP_2) | instid1(VALU_DEP_1)
	s_cmp_lt_i32 s18, s23
	s_wait_dscnt 0x0
	v_dual_mul_f32 v31, v41, v53 :: v_dual_mul_f32 v33, v40, v53
	v_dual_fma_f32 v31, v40, v52, -v31 :: v_dual_fmac_f32 v33, v41, v52
	s_delay_alu instid0(VALU_DEP_1) | instskip(SKIP_1) | instid1(VALU_DEP_1)
	v_dual_add_f32 v36, v36, v31 :: v_dual_add_f32 v37, v38, v33
	v_dual_mul_f32 v31, v41, v55 :: v_dual_mul_f32 v33, v40, v55
	v_dual_fma_f32 v31, v40, v54, -v31 :: v_dual_fmac_f32 v33, v41, v54
	s_delay_alu instid0(VALU_DEP_1) | instskip(SKIP_3) | instid1(VALU_DEP_1)
	v_dual_add_f32 v38, v32, v31 :: v_dual_add_f32 v39, v34, v33
	ds_load_b128 v[32:35], v29 offset:1024
	s_wait_dscnt 0x0
	v_dual_mul_f32 v31, v33, v53 :: v_dual_mul_f32 v40, v32, v53
	v_dual_fma_f32 v31, v32, v52, -v31 :: v_dual_fmac_f32 v40, v33, v52
	s_delay_alu instid0(VALU_DEP_1) | instskip(SKIP_1) | instid1(VALU_DEP_1)
	v_dual_add_f32 v28, v28, v31 :: v_dual_add_f32 v40, v30, v40
	v_dual_mul_f32 v30, v33, v55 :: v_dual_mul_f32 v31, v32, v55
	v_dual_fma_f32 v30, v32, v54, -v30 :: v_dual_fmac_f32 v31, v33, v54
	s_delay_alu instid0(VALU_DEP_1) | instskip(SKIP_3) | instid1(VALU_DEP_1)
	v_dual_add_f32 v24, v24, v30 :: v_dual_add_f32 v26, v26, v31
	ds_load_2addr_b64 v[30:33], v27 offset0:32 offset1:48
	s_wait_dscnt 0x0
	v_dual_mul_f32 v41, v43, v31 :: v_dual_mul_f32 v52, v42, v31
	v_dual_fma_f32 v41, v42, v30, -v41 :: v_dual_fmac_f32 v52, v43, v30
	s_delay_alu instid0(VALU_DEP_1) | instskip(SKIP_1) | instid1(VALU_DEP_1)
	v_dual_add_f32 v36, v36, v41 :: v_dual_add_f32 v37, v37, v52
	v_mul_f32_e32 v41, v43, v33
	v_dual_fma_f32 v41, v42, v32, -v41 :: v_dual_mul_f32 v42, v42, v33
	s_delay_alu instid0(VALU_DEP_1) | instskip(SKIP_1) | instid1(VALU_DEP_2)
	v_dual_fmac_f32 v42, v43, v32 :: v_dual_add_f32 v38, v38, v41
	v_dual_mul_f32 v41, v35, v31 :: v_dual_mul_f32 v31, v34, v31
	v_add_f32_e32 v39, v39, v42
	s_delay_alu instid0(VALU_DEP_2) | instskip(SKIP_1) | instid1(VALU_DEP_2)
	v_dual_fma_f32 v41, v34, v30, -v41 :: v_dual_fmac_f32 v31, v35, v30
	v_mul_f32_e32 v30, v35, v33
	v_add_f32_e32 v28, v28, v41
	s_delay_alu instid0(VALU_DEP_2) | instskip(NEXT) | instid1(VALU_DEP_1)
	v_dual_add_f32 v40, v40, v31 :: v_dual_fma_f32 v30, v34, v32, -v30
	v_dual_mul_f32 v31, v34, v33 :: v_dual_add_f32 v24, v24, v30
	s_delay_alu instid0(VALU_DEP_1) | instskip(NEXT) | instid1(VALU_DEP_1)
	v_fmac_f32_e32 v31, v35, v32
	v_add_f32_e32 v26, v26, v31
	ds_load_2addr_b64 v[30:33], v27 offset0:64 offset1:80
	s_wait_dscnt 0x0
	v_dual_mul_f32 v34, v45, v31 :: v_dual_mul_f32 v35, v44, v31
	s_delay_alu instid0(VALU_DEP_1) | instskip(NEXT) | instid1(VALU_DEP_1)
	v_fma_f32 v34, v44, v30, -v34
	v_dual_add_f32 v41, v36, v34 :: v_dual_mul_f32 v34, v45, v33
	s_delay_alu instid0(VALU_DEP_1) | instskip(NEXT) | instid1(VALU_DEP_1)
	v_dual_fmac_f32 v35, v45, v30 :: v_dual_fma_f32 v34, v44, v32, -v34
	v_dual_add_f32 v42, v37, v35 :: v_dual_mul_f32 v35, v44, v33
	s_delay_alu instid0(VALU_DEP_1) | instskip(NEXT) | instid1(VALU_DEP_1)
	v_dual_add_f32 v38, v38, v34 :: v_dual_fmac_f32 v35, v45, v32
	v_add_f32_e32 v39, v39, v35
	ds_load_b128 v[34:37], v29 offset:1040
	s_wait_dscnt 0x0
	v_dual_mul_f32 v43, v35, v31 :: v_dual_mul_f32 v31, v34, v31
	s_delay_alu instid0(VALU_DEP_1) | instskip(NEXT) | instid1(VALU_DEP_2)
	v_fmac_f32_e32 v31, v35, v30
	v_dual_fma_f32 v43, v34, v30, -v43 :: v_dual_mul_f32 v30, v35, v33
	s_delay_alu instid0(VALU_DEP_2) | instskip(NEXT) | instid1(VALU_DEP_2)
	v_add_f32_e32 v40, v40, v31
	v_dual_add_f32 v28, v28, v43 :: v_dual_fma_f32 v30, v34, v32, -v30
	s_delay_alu instid0(VALU_DEP_1) | instskip(NEXT) | instid1(VALU_DEP_1)
	v_dual_mul_f32 v31, v34, v33 :: v_dual_add_f32 v24, v24, v30
	v_fmac_f32_e32 v31, v35, v32
	s_delay_alu instid0(VALU_DEP_1) | instskip(SKIP_3) | instid1(VALU_DEP_1)
	v_add_f32_e32 v26, v26, v31
	ds_load_2addr_b64 v[30:33], v27 offset0:96 offset1:112
	s_wait_dscnt 0x0
	v_mul_f32_e32 v34, v47, v31
	v_dual_fma_f32 v34, v46, v30, -v34 :: v_dual_mul_f32 v35, v46, v31
	s_delay_alu instid0(VALU_DEP_1) | instskip(NEXT) | instid1(VALU_DEP_2)
	v_add_f32_e32 v34, v41, v34
	v_dual_fmac_f32 v35, v47, v30 :: v_dual_mul_f32 v41, v47, v33
	s_delay_alu instid0(VALU_DEP_1) | instskip(NEXT) | instid1(VALU_DEP_2)
	v_add_f32_e32 v35, v42, v35
	v_dual_fma_f32 v41, v46, v32, -v41 :: v_dual_mul_f32 v42, v46, v33
	s_delay_alu instid0(VALU_DEP_1) | instskip(SKIP_1) | instid1(VALU_DEP_2)
	v_dual_fmac_f32 v42, v47, v32 :: v_dual_add_f32 v38, v38, v41
	v_dual_mul_f32 v41, v37, v31 :: v_dual_mul_f32 v31, v36, v31
	v_add_f32_e32 v39, v39, v42
	s_delay_alu instid0(VALU_DEP_2) | instskip(NEXT) | instid1(VALU_DEP_1)
	v_dual_fma_f32 v41, v36, v30, -v41 :: v_dual_fmac_f32 v31, v37, v30
	v_dual_mul_f32 v30, v37, v33 :: v_dual_add_f32 v40, v40, v31
	s_delay_alu instid0(VALU_DEP_1) | instskip(NEXT) | instid1(VALU_DEP_1)
	v_dual_fma_f32 v30, v36, v32, -v30 :: v_dual_mul_f32 v31, v36, v33
	v_dual_add_f32 v28, v28, v41 :: v_dual_fmac_f32 v31, v37, v32
	s_delay_alu instid0(VALU_DEP_1) | instskip(SKIP_3) | instid1(VALU_DEP_1)
	v_dual_add_f32 v24, v24, v30 :: v_dual_add_f32 v26, v26, v31
	ds_load_2addr_b64 v[30:33], v27 offset0:128 offset1:144
	s_wait_dscnt 0x0
	v_dual_mul_f32 v36, v49, v31 :: v_dual_mul_f32 v37, v48, v31
	v_dual_fma_f32 v36, v48, v30, -v36 :: v_dual_fmac_f32 v37, v49, v30
	s_delay_alu instid0(VALU_DEP_1) | instskip(SKIP_1) | instid1(VALU_DEP_1)
	v_dual_add_f32 v41, v34, v36 :: v_dual_add_f32 v42, v35, v37
	v_dual_mul_f32 v34, v49, v33 :: v_dual_mul_f32 v35, v48, v33
	v_dual_fma_f32 v34, v48, v32, -v34 :: v_dual_fmac_f32 v35, v49, v32
	s_delay_alu instid0(VALU_DEP_1) | instskip(SKIP_3) | instid1(VALU_DEP_1)
	v_dual_add_f32 v38, v38, v34 :: v_dual_add_f32 v39, v39, v35
	ds_load_b128 v[34:37], v29 offset:1056
	s_wait_dscnt 0x0
	v_dual_mul_f32 v43, v35, v31 :: v_dual_mul_f32 v31, v34, v31
	v_fmac_f32_e32 v31, v35, v30
	s_delay_alu instid0(VALU_DEP_2) | instskip(NEXT) | instid1(VALU_DEP_2)
	v_dual_fma_f32 v43, v34, v30, -v43 :: v_dual_mul_f32 v30, v35, v33
	v_dual_add_f32 v40, v40, v31 :: v_dual_mul_f32 v31, v34, v33
	s_delay_alu instid0(VALU_DEP_2) | instskip(NEXT) | instid1(VALU_DEP_1)
	v_dual_fma_f32 v30, v34, v32, -v30 :: v_dual_add_f32 v28, v28, v43
	v_dual_fmac_f32 v31, v35, v32 :: v_dual_add_f32 v24, v24, v30
	s_delay_alu instid0(VALU_DEP_1) | instskip(SKIP_3) | instid1(VALU_DEP_1)
	v_add_f32_e32 v26, v26, v31
	ds_load_2addr_b64 v[30:33], v27 offset0:160 offset1:176
	s_wait_dscnt 0x0
	v_dual_mul_f32 v34, v51, v31 :: v_dual_mul_f32 v35, v50, v31
	v_dual_fma_f32 v34, v50, v30, -v34 :: v_dual_fmac_f32 v35, v51, v30
	s_delay_alu instid0(VALU_DEP_1) | instskip(SKIP_1) | instid1(VALU_DEP_1)
	v_dual_add_f32 v34, v41, v34 :: v_dual_add_f32 v35, v42, v35
	v_dual_mul_f32 v41, v51, v33 :: v_dual_mul_f32 v42, v50, v33
	v_dual_fma_f32 v41, v50, v32, -v41 :: v_dual_fmac_f32 v42, v51, v32
	s_delay_alu instid0(VALU_DEP_1) | instskip(SKIP_1) | instid1(VALU_DEP_1)
	v_dual_add_f32 v38, v38, v41 :: v_dual_add_f32 v39, v39, v42
	v_dual_mul_f32 v41, v37, v31 :: v_dual_mul_f32 v31, v36, v31
	v_dual_fma_f32 v41, v36, v30, -v41 :: v_dual_fmac_f32 v31, v37, v30
	s_delay_alu instid0(VALU_DEP_1) | instskip(NEXT) | instid1(VALU_DEP_1)
	v_dual_mul_f32 v30, v37, v33 :: v_dual_add_f32 v42, v40, v31
	v_dual_fma_f32 v30, v36, v32, -v30 :: v_dual_mul_f32 v31, v36, v33
	s_delay_alu instid0(VALU_DEP_1) | instskip(NEXT) | instid1(VALU_DEP_1)
	v_dual_add_f32 v28, v28, v41 :: v_dual_fmac_f32 v31, v37, v32
	v_dual_add_f32 v24, v24, v30 :: v_dual_add_f32 v26, v26, v31
	ds_load_2addr_b64 v[30:33], v27 offset0:192 offset1:208
	s_wait_dscnt 0x0
	v_dual_mul_f32 v36, v1, v31 :: v_dual_mul_f32 v37, v0, v31
	s_delay_alu instid0(VALU_DEP_1) | instskip(NEXT) | instid1(VALU_DEP_1)
	v_dual_fma_f32 v36, v0, v30, -v36 :: v_dual_fmac_f32 v37, v1, v30
	v_dual_add_f32 v34, v34, v36 :: v_dual_add_f32 v35, v35, v37
	v_mul_f32_e32 v36, v1, v33
	s_delay_alu instid0(VALU_DEP_1) | instskip(NEXT) | instid1(VALU_DEP_1)
	v_dual_fma_f32 v36, v0, v32, -v36 :: v_dual_mul_f32 v0, v0, v33
	v_fmac_f32_e32 v0, v1, v32
	s_delay_alu instid0(VALU_DEP_2) | instskip(NEXT) | instid1(VALU_DEP_2)
	v_add_f32_e32 v1, v38, v36
	v_add_f32_e32 v0, v39, v0
	ds_load_b128 v[38:41], v29 offset:1072
	s_wait_dscnt 0x0
	v_dual_mul_f32 v36, v39, v31 :: v_dual_mul_f32 v31, v38, v31
	s_delay_alu instid0(VALU_DEP_1) | instskip(NEXT) | instid1(VALU_DEP_1)
	v_dual_fma_f32 v36, v38, v30, -v36 :: v_dual_fmac_f32 v31, v39, v30
	v_dual_add_f32 v28, v28, v36 :: v_dual_add_f32 v30, v42, v31
	ds_load_2addr_b64 v[42:45], v27 offset0:224 offset1:240
	v_dual_mul_f32 v31, v39, v33 :: v_dual_mul_f32 v33, v38, v33
	s_wait_dscnt 0x0
	s_barrier_signal -1
	s_barrier_wait -1
	s_delay_alu instid0(VALU_DEP_1) | instskip(NEXT) | instid1(VALU_DEP_1)
	v_dual_fma_f32 v31, v38, v32, -v31 :: v_dual_fmac_f32 v33, v39, v32
	v_dual_add_f32 v24, v24, v31 :: v_dual_add_f32 v26, v26, v33
	v_dual_mul_f32 v31, v3, v43 :: v_dual_mul_f32 v32, v2, v43
	s_delay_alu instid0(VALU_DEP_1) | instskip(NEXT) | instid1(VALU_DEP_1)
	v_dual_fma_f32 v31, v2, v42, -v31 :: v_dual_fmac_f32 v32, v3, v42
	v_dual_add_f32 v36, v34, v31 :: v_dual_add_f32 v38, v35, v32
	v_mul_f32_e32 v31, v3, v45
	s_delay_alu instid0(VALU_DEP_1) | instskip(NEXT) | instid1(VALU_DEP_1)
	v_dual_fma_f32 v31, v2, v44, -v31 :: v_dual_mul_f32 v2, v2, v45
	v_dual_fmac_f32 v2, v3, v44 :: v_dual_add_f32 v32, v1, v31
	v_mul_f32_e32 v1, v40, v43
	s_delay_alu instid0(VALU_DEP_2) | instskip(NEXT) | instid1(VALU_DEP_1)
	v_dual_add_f32 v34, v0, v2 :: v_dual_mul_f32 v0, v41, v43
	v_dual_fmac_f32 v1, v41, v42 :: v_dual_fma_f32 v0, v40, v42, -v0
	s_delay_alu instid0(VALU_DEP_1) | instskip(SKIP_1) | instid1(VALU_DEP_3)
	v_add_f32_e32 v30, v30, v1
	v_mul_f32_e32 v1, v40, v45
	v_dual_add_f32 v28, v28, v0 :: v_dual_mul_f32 v0, v41, v45
	s_delay_alu instid0(VALU_DEP_1) | instskip(NEXT) | instid1(VALU_DEP_1)
	v_dual_fmac_f32 v1, v41, v44 :: v_dual_fma_f32 v0, v40, v44, -v0
	v_dual_add_f32 v26, v26, v1 :: v_dual_add_f32 v24, v24, v0
	s_cbranch_scc0 .LBB83_15
.LBB83_9:                               ;   Parent Loop BB83_6 Depth=1
                                        ; =>  This Inner Loop Header: Depth=2
	v_dual_mov_b32 v1, 0 :: v_dual_add_nc_u32 v0, s18, v4
	s_delay_alu instid0(VALU_DEP_1) | instskip(SKIP_2) | instid1(SALU_CYCLE_1)
	v_cmp_gt_i32_e32 vcc_lo, s23, v0
	v_mov_b32_e32 v0, 0
	s_and_b32 s29, s0, vcc_lo
	s_and_saveexec_b32 s19, s29
	s_cbranch_execz .LBB83_11
; %bb.10:                               ;   in Loop: Header=BB83_9 Depth=2
	global_load_b64 v[0:1], v[20:21], off
.LBB83_11:                              ;   in Loop: Header=BB83_9 Depth=2
	s_wait_xcnt 0x0
	s_or_b32 exec_lo, exec_lo, s19
	v_add_nc_u32_e32 v2, s18, v6
	s_wait_loadcnt 0x0
	ds_store_b64 v25, v[0:1]
	v_cmp_le_i32_e32 vcc_lo, s23, v2
	s_or_b32 s19, vcc_lo, s28
	s_delay_alu instid0(SALU_CYCLE_1) | instskip(NEXT) | instid1(SALU_CYCLE_1)
	s_and_saveexec_b32 s29, s19
	s_xor_b32 s19, exec_lo, s29
; %bb.12:                               ;   in Loop: Header=BB83_9 Depth=2
	ds_store_b32 v7, v5
; %bb.13:                               ;   in Loop: Header=BB83_9 Depth=2
	s_or_saveexec_b32 s19, s19
	v_mov_b32_e32 v0, 0
	s_xor_b32 exec_lo, exec_lo, s19
	s_cbranch_execz .LBB83_8
; %bb.14:                               ;   in Loop: Header=BB83_9 Depth=2
	global_load_b64 v[2:3], v[22:23], off offset:-4
	s_wait_loadcnt 0x0
	v_xor_b32_e32 v0, 0x80000000, v3
	ds_store_b32 v7, v2
	s_branch .LBB83_8
.LBB83_15:                              ;   in Loop: Header=BB83_6 Depth=1
	s_mul_u64 s[18:19], s[26:27], s[24:25]
	s_delay_alu instid0(SALU_CYCLE_1) | instskip(NEXT) | instid1(SALU_CYCLE_1)
	s_lshl_b64 s[18:19], s[18:19], 3
	s_add_nc_u64 s[18:19], s[16:17], s[18:19]
	s_delay_alu instid0(SALU_CYCLE_1)
	v_lshl_add_u64 v[0:1], v[12:13], 3, s[18:19]
	s_and_saveexec_b32 s29, s35
	s_cbranch_execz .LBB83_20
; %bb.16:                               ;   in Loop: Header=BB83_6 Depth=1
	v_mov_b64_e32 v[2:3], s[4:5]
	v_mov_b64_e32 v[20:21], s[10:11]
	s_and_b32 vcc_lo, exec_lo, s34
	s_mov_b32 s31, -1
	s_delay_alu instid0(VALU_DEP_2) | instskip(NEXT) | instid1(VALU_DEP_1)
	v_pk_mul_f32 v[2:3], v[38:39], v[2:3] op_sel_hi:[0,1]
	v_pk_fma_f32 v[22:23], v[36:37], v[20:21], v[2:3] op_sel_hi:[0,1,1]
	v_pk_fma_f32 v[2:3], v[36:37], v[20:21], v[2:3] neg_lo:[0,0,1] neg_hi:[0,0,1]
	v_lshl_add_u64 v[20:21], v[8:9], 3, v[0:1]
	s_delay_alu instid0(VALU_DEP_3)
	v_mov_b32_e32 v3, v23
	s_cbranch_vccz .LBB83_18
; %bb.17:                               ;   in Loop: Header=BB83_6 Depth=1
	global_load_b64 v[22:23], v[20:21], off
	v_mov_b64_e32 v[36:37], s[20:21]
	v_mov_b64_e32 v[38:39], s[2:3]
	s_mov_b32 s31, 0
	s_wait_loadcnt 0x0
	s_delay_alu instid0(VALU_DEP_2) | instskip(NEXT) | instid1(VALU_DEP_1)
	v_pk_mul_f32 v[36:37], v[22:23], v[36:37]
	v_pk_fma_f32 v[40:41], v[22:23], v[38:39], v[36:37] op_sel:[0,0,1] op_sel_hi:[1,1,0]
	v_pk_fma_f32 v[22:23], v[22:23], v[38:39], v[36:37] op_sel:[0,0,1] op_sel_hi:[1,1,0] neg_lo:[0,0,1] neg_hi:[0,0,1]
	s_delay_alu instid0(VALU_DEP_2) | instskip(NEXT) | instid1(VALU_DEP_1)
	v_mov_b32_e32 v23, v41
	v_pk_add_f32 v[22:23], v[2:3], v[22:23]
	global_store_b64 v[20:21], v[22:23], off
.LBB83_18:                              ;   in Loop: Header=BB83_6 Depth=1
	s_and_not1_b32 vcc_lo, exec_lo, s31
	s_cbranch_vccnz .LBB83_20
; %bb.19:                               ;   in Loop: Header=BB83_6 Depth=1
	global_store_b64 v[20:21], v[2:3], off
.LBB83_20:                              ;   in Loop: Header=BB83_6 Depth=1
	s_wait_xcnt 0x0
	s_or_b32 exec_lo, exec_lo, s29
	s_and_saveexec_b32 s29, s22
	s_cbranch_execz .LBB83_25
; %bb.21:                               ;   in Loop: Header=BB83_6 Depth=1
	v_mov_b64_e32 v[2:3], s[4:5]
	v_mov_b64_e32 v[20:21], s[10:11]
	v_lshl_add_u64 v[0:1], v[10:11], 3, v[0:1]
	s_and_not1_b32 vcc_lo, exec_lo, s34
	s_mov_b32 s31, -1
	s_delay_alu instid0(VALU_DEP_3) | instskip(NEXT) | instid1(VALU_DEP_1)
	v_pk_mul_f32 v[2:3], v[34:35], v[2:3] op_sel_hi:[0,1]
	v_pk_fma_f32 v[22:23], v[32:33], v[20:21], v[2:3] op_sel_hi:[0,1,1]
	v_pk_fma_f32 v[2:3], v[32:33], v[20:21], v[2:3] neg_lo:[0,0,1] neg_hi:[0,0,1]
	s_delay_alu instid0(VALU_DEP_2)
	v_mov_b32_e32 v3, v23
	s_cbranch_vccnz .LBB83_23
; %bb.22:                               ;   in Loop: Header=BB83_6 Depth=1
	global_load_b64 v[20:21], v[0:1], off
	v_mov_b64_e32 v[22:23], s[20:21]
	v_mov_b64_e32 v[32:33], s[2:3]
	s_mov_b32 s31, 0
	s_wait_loadcnt 0x0
	s_delay_alu instid0(VALU_DEP_2) | instskip(NEXT) | instid1(VALU_DEP_1)
	v_pk_mul_f32 v[22:23], v[20:21], v[22:23]
	v_pk_fma_f32 v[34:35], v[20:21], v[32:33], v[22:23] op_sel:[0,0,1] op_sel_hi:[1,1,0]
	v_pk_fma_f32 v[20:21], v[20:21], v[32:33], v[22:23] op_sel:[0,0,1] op_sel_hi:[1,1,0] neg_lo:[0,0,1] neg_hi:[0,0,1]
	s_delay_alu instid0(VALU_DEP_2) | instskip(NEXT) | instid1(VALU_DEP_1)
	v_mov_b32_e32 v21, v35
	v_pk_add_f32 v[20:21], v[2:3], v[20:21]
	global_store_b64 v[0:1], v[20:21], off
.LBB83_23:                              ;   in Loop: Header=BB83_6 Depth=1
	s_and_not1_b32 vcc_lo, exec_lo, s31
	s_cbranch_vccnz .LBB83_25
; %bb.24:                               ;   in Loop: Header=BB83_6 Depth=1
	global_store_b64 v[0:1], v[2:3], off
.LBB83_25:                              ;   in Loop: Header=BB83_6 Depth=1
	s_wait_xcnt 0x0
	s_or_b32 exec_lo, exec_lo, s29
	v_lshl_add_u64 v[0:1], v[14:15], 3, s[18:19]
	s_and_saveexec_b32 s18, s36
	s_cbranch_execz .LBB83_30
; %bb.26:                               ;   in Loop: Header=BB83_6 Depth=1
	v_mov_b64_e32 v[2:3], s[4:5]
	v_mov_b64_e32 v[20:21], s[10:11]
	s_and_not1_b32 vcc_lo, exec_lo, s34
	s_mov_b32 s19, -1
	s_delay_alu instid0(VALU_DEP_2) | instskip(NEXT) | instid1(VALU_DEP_1)
	v_pk_mul_f32 v[2:3], v[30:31], v[2:3] op_sel_hi:[0,1]
	v_pk_fma_f32 v[22:23], v[28:29], v[20:21], v[2:3] op_sel_hi:[0,1,1]
	v_pk_fma_f32 v[2:3], v[28:29], v[20:21], v[2:3] neg_lo:[0,0,1] neg_hi:[0,0,1]
	v_lshl_add_u64 v[20:21], v[8:9], 3, v[0:1]
	s_delay_alu instid0(VALU_DEP_3)
	v_mov_b32_e32 v3, v23
	s_cbranch_vccnz .LBB83_28
; %bb.27:                               ;   in Loop: Header=BB83_6 Depth=1
	global_load_b64 v[22:23], v[20:21], off
	v_mov_b64_e32 v[30:31], s[20:21]
	v_mov_b64_e32 v[32:33], s[2:3]
	s_mov_b32 s19, 0
	s_wait_loadcnt 0x0
	s_delay_alu instid0(VALU_DEP_2) | instskip(NEXT) | instid1(VALU_DEP_1)
	v_pk_mul_f32 v[30:31], v[22:23], v[30:31]
	v_pk_fma_f32 v[34:35], v[22:23], v[32:33], v[30:31] op_sel:[0,0,1] op_sel_hi:[1,1,0]
	v_pk_fma_f32 v[22:23], v[22:23], v[32:33], v[30:31] op_sel:[0,0,1] op_sel_hi:[1,1,0] neg_lo:[0,0,1] neg_hi:[0,0,1]
	s_delay_alu instid0(VALU_DEP_2) | instskip(NEXT) | instid1(VALU_DEP_1)
	v_mov_b32_e32 v23, v35
	v_pk_add_f32 v[22:23], v[2:3], v[22:23]
	global_store_b64 v[20:21], v[22:23], off
.LBB83_28:                              ;   in Loop: Header=BB83_6 Depth=1
	s_and_not1_b32 vcc_lo, exec_lo, s19
	s_cbranch_vccnz .LBB83_30
; %bb.29:                               ;   in Loop: Header=BB83_6 Depth=1
	global_store_b64 v[20:21], v[2:3], off
.LBB83_30:                              ;   in Loop: Header=BB83_6 Depth=1
	s_wait_xcnt 0x0
	s_or_b32 exec_lo, exec_lo, s18
	s_and_saveexec_b32 s18, s1
	s_cbranch_execz .LBB83_5
; %bb.31:                               ;   in Loop: Header=BB83_6 Depth=1
	v_mov_b64_e32 v[2:3], s[4:5]
	v_mov_b64_e32 v[20:21], s[10:11]
	v_lshl_add_u64 v[0:1], v[10:11], 3, v[0:1]
	s_and_not1_b32 vcc_lo, exec_lo, s34
	s_mov_b32 s19, -1
	s_delay_alu instid0(VALU_DEP_3) | instskip(NEXT) | instid1(VALU_DEP_1)
	v_pk_mul_f32 v[2:3], v[26:27], v[2:3] op_sel_hi:[0,1]
	v_pk_fma_f32 v[22:23], v[24:25], v[20:21], v[2:3] op_sel_hi:[0,1,1]
	v_pk_fma_f32 v[2:3], v[24:25], v[20:21], v[2:3] neg_lo:[0,0,1] neg_hi:[0,0,1]
	s_delay_alu instid0(VALU_DEP_2)
	v_mov_b32_e32 v3, v23
	s_cbranch_vccnz .LBB83_33
; %bb.32:                               ;   in Loop: Header=BB83_6 Depth=1
	global_load_b64 v[20:21], v[0:1], off
	v_mov_b64_e32 v[22:23], s[20:21]
	v_mov_b64_e32 v[30:31], s[2:3]
	s_mov_b32 s19, 0
	s_wait_loadcnt 0x0
	s_delay_alu instid0(VALU_DEP_2) | instskip(NEXT) | instid1(VALU_DEP_1)
	v_pk_mul_f32 v[22:23], v[20:21], v[22:23]
	v_pk_fma_f32 v[32:33], v[20:21], v[30:31], v[22:23] op_sel:[0,0,1] op_sel_hi:[1,1,0]
	v_pk_fma_f32 v[20:21], v[20:21], v[30:31], v[22:23] op_sel:[0,0,1] op_sel_hi:[1,1,0] neg_lo:[0,0,1] neg_hi:[0,0,1]
	s_delay_alu instid0(VALU_DEP_2) | instskip(NEXT) | instid1(VALU_DEP_1)
	v_mov_b32_e32 v21, v33
	v_pk_add_f32 v[20:21], v[2:3], v[20:21]
	global_store_b64 v[0:1], v[20:21], off
.LBB83_33:                              ;   in Loop: Header=BB83_6 Depth=1
	s_and_not1_b32 vcc_lo, exec_lo, s19
	s_cbranch_vccnz .LBB83_5
; %bb.34:                               ;   in Loop: Header=BB83_6 Depth=1
	global_store_b64 v[0:1], v[2:3], off
	s_branch .LBB83_5
.LBB83_35:
	s_endpgm
	.section	.rodata,"a",@progbits
	.p2align	6, 0x0
	.amdhsa_kernel _ZL29rocblas_internal_gemmt_kernelIiLi16ELi32ELi8ELc78ELc67ELc76ELb0ELb1E19rocblas_complex_numIfEPKS1_S3_PS1_EviT_T9_T10_S5_lS7_S5_lS6_T11_S5_li
		.amdhsa_group_segment_fixed_size 4096
		.amdhsa_private_segment_fixed_size 0
		.amdhsa_kernarg_size 100
		.amdhsa_user_sgpr_count 2
		.amdhsa_user_sgpr_dispatch_ptr 0
		.amdhsa_user_sgpr_queue_ptr 0
		.amdhsa_user_sgpr_kernarg_segment_ptr 1
		.amdhsa_user_sgpr_dispatch_id 0
		.amdhsa_user_sgpr_kernarg_preload_length 0
		.amdhsa_user_sgpr_kernarg_preload_offset 0
		.amdhsa_user_sgpr_private_segment_size 0
		.amdhsa_wavefront_size32 1
		.amdhsa_uses_dynamic_stack 0
		.amdhsa_enable_private_segment 0
		.amdhsa_system_sgpr_workgroup_id_x 1
		.amdhsa_system_sgpr_workgroup_id_y 1
		.amdhsa_system_sgpr_workgroup_id_z 1
		.amdhsa_system_sgpr_workgroup_info 0
		.amdhsa_system_vgpr_workitem_id 1
		.amdhsa_next_free_vgpr 56
		.amdhsa_next_free_sgpr 37
		.amdhsa_named_barrier_count 0
		.amdhsa_reserve_vcc 1
		.amdhsa_float_round_mode_32 0
		.amdhsa_float_round_mode_16_64 0
		.amdhsa_float_denorm_mode_32 3
		.amdhsa_float_denorm_mode_16_64 3
		.amdhsa_fp16_overflow 0
		.amdhsa_memory_ordered 1
		.amdhsa_forward_progress 1
		.amdhsa_inst_pref_size 26
		.amdhsa_round_robin_scheduling 0
		.amdhsa_exception_fp_ieee_invalid_op 0
		.amdhsa_exception_fp_denorm_src 0
		.amdhsa_exception_fp_ieee_div_zero 0
		.amdhsa_exception_fp_ieee_overflow 0
		.amdhsa_exception_fp_ieee_underflow 0
		.amdhsa_exception_fp_ieee_inexact 0
		.amdhsa_exception_int_div_zero 0
	.end_amdhsa_kernel
	.section	.text._ZL29rocblas_internal_gemmt_kernelIiLi16ELi32ELi8ELc78ELc67ELc76ELb0ELb1E19rocblas_complex_numIfEPKS1_S3_PS1_EviT_T9_T10_S5_lS7_S5_lS6_T11_S5_li,"axG",@progbits,_ZL29rocblas_internal_gemmt_kernelIiLi16ELi32ELi8ELc78ELc67ELc76ELb0ELb1E19rocblas_complex_numIfEPKS1_S3_PS1_EviT_T9_T10_S5_lS7_S5_lS6_T11_S5_li,comdat
.Lfunc_end83:
	.size	_ZL29rocblas_internal_gemmt_kernelIiLi16ELi32ELi8ELc78ELc67ELc76ELb0ELb1E19rocblas_complex_numIfEPKS1_S3_PS1_EviT_T9_T10_S5_lS7_S5_lS6_T11_S5_li, .Lfunc_end83-_ZL29rocblas_internal_gemmt_kernelIiLi16ELi32ELi8ELc78ELc67ELc76ELb0ELb1E19rocblas_complex_numIfEPKS1_S3_PS1_EviT_T9_T10_S5_lS7_S5_lS6_T11_S5_li
                                        ; -- End function
	.set _ZL29rocblas_internal_gemmt_kernelIiLi16ELi32ELi8ELc78ELc67ELc76ELb0ELb1E19rocblas_complex_numIfEPKS1_S3_PS1_EviT_T9_T10_S5_lS7_S5_lS6_T11_S5_li.num_vgpr, 56
	.set _ZL29rocblas_internal_gemmt_kernelIiLi16ELi32ELi8ELc78ELc67ELc76ELb0ELb1E19rocblas_complex_numIfEPKS1_S3_PS1_EviT_T9_T10_S5_lS7_S5_lS6_T11_S5_li.num_agpr, 0
	.set _ZL29rocblas_internal_gemmt_kernelIiLi16ELi32ELi8ELc78ELc67ELc76ELb0ELb1E19rocblas_complex_numIfEPKS1_S3_PS1_EviT_T9_T10_S5_lS7_S5_lS6_T11_S5_li.numbered_sgpr, 37
	.set _ZL29rocblas_internal_gemmt_kernelIiLi16ELi32ELi8ELc78ELc67ELc76ELb0ELb1E19rocblas_complex_numIfEPKS1_S3_PS1_EviT_T9_T10_S5_lS7_S5_lS6_T11_S5_li.num_named_barrier, 0
	.set _ZL29rocblas_internal_gemmt_kernelIiLi16ELi32ELi8ELc78ELc67ELc76ELb0ELb1E19rocblas_complex_numIfEPKS1_S3_PS1_EviT_T9_T10_S5_lS7_S5_lS6_T11_S5_li.private_seg_size, 0
	.set _ZL29rocblas_internal_gemmt_kernelIiLi16ELi32ELi8ELc78ELc67ELc76ELb0ELb1E19rocblas_complex_numIfEPKS1_S3_PS1_EviT_T9_T10_S5_lS7_S5_lS6_T11_S5_li.uses_vcc, 1
	.set _ZL29rocblas_internal_gemmt_kernelIiLi16ELi32ELi8ELc78ELc67ELc76ELb0ELb1E19rocblas_complex_numIfEPKS1_S3_PS1_EviT_T9_T10_S5_lS7_S5_lS6_T11_S5_li.uses_flat_scratch, 0
	.set _ZL29rocblas_internal_gemmt_kernelIiLi16ELi32ELi8ELc78ELc67ELc76ELb0ELb1E19rocblas_complex_numIfEPKS1_S3_PS1_EviT_T9_T10_S5_lS7_S5_lS6_T11_S5_li.has_dyn_sized_stack, 0
	.set _ZL29rocblas_internal_gemmt_kernelIiLi16ELi32ELi8ELc78ELc67ELc76ELb0ELb1E19rocblas_complex_numIfEPKS1_S3_PS1_EviT_T9_T10_S5_lS7_S5_lS6_T11_S5_li.has_recursion, 0
	.set _ZL29rocblas_internal_gemmt_kernelIiLi16ELi32ELi8ELc78ELc67ELc76ELb0ELb1E19rocblas_complex_numIfEPKS1_S3_PS1_EviT_T9_T10_S5_lS7_S5_lS6_T11_S5_li.has_indirect_call, 0
	.section	.AMDGPU.csdata,"",@progbits
; Kernel info:
; codeLenInByte = 3264
; TotalNumSgprs: 39
; NumVgprs: 56
; ScratchSize: 0
; MemoryBound: 0
; FloatMode: 240
; IeeeMode: 1
; LDSByteSize: 4096 bytes/workgroup (compile time only)
; SGPRBlocks: 0
; VGPRBlocks: 3
; NumSGPRsForWavesPerEU: 39
; NumVGPRsForWavesPerEU: 56
; NamedBarCnt: 0
; Occupancy: 16
; WaveLimiterHint : 0
; COMPUTE_PGM_RSRC2:SCRATCH_EN: 0
; COMPUTE_PGM_RSRC2:USER_SGPR: 2
; COMPUTE_PGM_RSRC2:TRAP_HANDLER: 0
; COMPUTE_PGM_RSRC2:TGID_X_EN: 1
; COMPUTE_PGM_RSRC2:TGID_Y_EN: 1
; COMPUTE_PGM_RSRC2:TGID_Z_EN: 1
; COMPUTE_PGM_RSRC2:TIDIG_COMP_CNT: 1
	.section	.text._ZL29rocblas_internal_gemmt_kernelIiLi16ELi32ELi8ELc84ELc78ELc76ELb0ELb0E19rocblas_complex_numIfEPKS1_S3_PS1_EviT_T9_T10_S5_lS7_S5_lS6_T11_S5_li,"axG",@progbits,_ZL29rocblas_internal_gemmt_kernelIiLi16ELi32ELi8ELc84ELc78ELc76ELb0ELb0E19rocblas_complex_numIfEPKS1_S3_PS1_EviT_T9_T10_S5_lS7_S5_lS6_T11_S5_li,comdat
	.globl	_ZL29rocblas_internal_gemmt_kernelIiLi16ELi32ELi8ELc84ELc78ELc76ELb0ELb0E19rocblas_complex_numIfEPKS1_S3_PS1_EviT_T9_T10_S5_lS7_S5_lS6_T11_S5_li ; -- Begin function _ZL29rocblas_internal_gemmt_kernelIiLi16ELi32ELi8ELc84ELc78ELc76ELb0ELb0E19rocblas_complex_numIfEPKS1_S3_PS1_EviT_T9_T10_S5_lS7_S5_lS6_T11_S5_li
	.p2align	8
	.type	_ZL29rocblas_internal_gemmt_kernelIiLi16ELi32ELi8ELc84ELc78ELc76ELb0ELb0E19rocblas_complex_numIfEPKS1_S3_PS1_EviT_T9_T10_S5_lS7_S5_lS6_T11_S5_li,@function
_ZL29rocblas_internal_gemmt_kernelIiLi16ELi32ELi8ELc84ELc78ELc76ELb0ELb0E19rocblas_complex_numIfEPKS1_S3_PS1_EviT_T9_T10_S5_lS7_S5_lS6_T11_S5_li: ; @_ZL29rocblas_internal_gemmt_kernelIiLi16ELi32ELi8ELc84ELc78ELc76ELb0ELb0E19rocblas_complex_numIfEPKS1_S3_PS1_EviT_T9_T10_S5_lS7_S5_lS6_T11_S5_li
; %bb.0:
	s_load_b128 s[8:11], s[0:1], 0x38
	s_wait_kmcnt 0x0
	s_load_b64 s[20:21], s[10:11], 0x0
	s_clause 0x1
	s_load_b128 s[4:7], s[0:1], 0x8
	s_load_b64 s[22:23], s[0:1], 0x0
	s_wait_kmcnt 0x0
	s_cmp_neq_f32 s20, 1.0
	s_load_b64 s[10:11], s[4:5], 0x0
	s_cselect_b32 s2, -1, 0
	s_and_b32 s3, s21, 0x7fffffff
	s_delay_alu instid0(SALU_CYCLE_1) | instskip(SKIP_3) | instid1(SALU_CYCLE_1)
	s_cmp_eq_u32 s3, 0
	s_cselect_b32 s29, -1, 0
	s_cmp_lg_u32 s3, 0
	s_cselect_b32 s3, -1, 0
	s_or_b32 s2, s2, s3
	s_delay_alu instid0(SALU_CYCLE_1)
	s_and_b32 vcc_lo, exec_lo, s2
	s_cbranch_vccnz .LBB84_2
; %bb.1:
	s_cmp_lg_u32 s23, 0
	s_cselect_b32 s2, -1, 0
	s_wait_kmcnt 0x0
	s_cmp_neq_f32 s10, 0
	s_cselect_b32 s3, -1, 0
	s_cmp_neq_f32 s11, 0
	s_cselect_b32 s4, -1, 0
	s_delay_alu instid0(SALU_CYCLE_1) | instskip(NEXT) | instid1(SALU_CYCLE_1)
	s_or_b32 s3, s3, s4
	s_and_b32 s2, s2, s3
.LBB84_2:
	s_delay_alu instid0(SALU_CYCLE_1)
	s_and_not1_b32 vcc_lo, exec_lo, s2
	s_cbranch_vccnz .LBB84_33
; %bb.3:
	s_load_b32 s28, s[0:1], 0x60
	s_bfe_u32 s2, ttmp6, 0x40014
	s_lshr_b32 s3, ttmp7, 16
	s_add_co_i32 s2, s2, 1
	s_wait_xcnt 0x0
	s_bfe_u32 s4, ttmp6, 0x40008
	s_mul_i32 s2, s3, s2
	s_getreg_b32 s30, hwreg(HW_REG_IB_STS2, 6, 4)
	s_add_co_i32 s4, s4, s2
	s_cmp_eq_u32 s30, 0
	s_mov_b32 s25, 0
	s_cselect_b32 s24, s3, s4
	s_wait_kmcnt 0x0
	s_cmp_ge_u32 s24, s28
	s_cbranch_scc1 .LBB84_33
; %bb.4:
	s_clause 0x3
	s_load_b32 s4, s[0:1], 0x18
	s_load_b32 s2, s[0:1], 0x30
	s_load_b96 s[16:18], s[0:1], 0x48
	s_load_b128 s[12:15], s[0:1], 0x20
	v_and_b32_e32 v4, 0x3ff, v0
	v_bfe_u32 v5, v0, 10, 10
	s_load_b64 s[26:27], s[0:1], 0x58
	s_wait_xcnt 0x0
	s_bfe_u32 s1, ttmp6, 0x4000c
	s_bfe_u32 s3, ttmp6, 0x40010
	s_and_b32 s31, ttmp7, 0xffff
	s_add_co_i32 s1, s1, 1
	s_add_co_i32 s3, s3, 1
	v_lshl_add_u32 v1, v5, 4, v4
	s_and_b32 s0, ttmp6, 15
	s_bfe_u32 s5, ttmp6, 0x40004
	s_mul_i32 s1, ttmp9, s1
	s_mul_i32 s3, s31, s3
	s_add_co_i32 s0, s0, s1
	s_add_co_i32 s1, s5, s3
	v_dual_lshrrev_b32 v21, 5, v1 :: v_dual_bitop2_b32 v2, 31, v1 bitop3:0x40
	s_wait_kmcnt 0x0
	s_ashr_i32 s5, s4, 31
	s_ashr_i32 s3, s2, 31
	;; [unrolled: 1-line block ×3, first 2 shown]
	s_cmp_eq_u32 s30, 0
	v_dual_lshrrev_b32 v6, 3, v1 :: v_dual_bitop2_b32 v23, 7, v0 bitop3:0x40
	s_cselect_b32 s0, ttmp9, s0
	s_cselect_b32 s1, s31, s1
	s_lshl_b32 s30, s0, 5
	s_lshl_b32 s1, s1, 5
	s_cmp_neq_f32 s10, 0
	v_dual_lshlrev_b32 v1, 3, v2 :: v_dual_bitop2_b32 v0, s30, v2 bitop3:0x54
	v_dual_add_nc_u32 v2, s1, v6 :: v_dual_lshlrev_b32 v12, 3, v23
	s_cselect_b32 s0, -1, 0
	s_cmp_neq_f32 s11, 0
	s_delay_alu instid0(VALU_DEP_2) | instskip(NEXT) | instid1(VALU_DEP_2)
	v_lshl_or_b32 v25, v21, 8, v1
	v_dual_ashrrev_i32 v1, 31, v0 :: v_dual_ashrrev_i32 v3, 31, v2
	v_dual_add_nc_u32 v14, s1, v5 :: v_dual_lshlrev_b32 v29, 3, v4
	s_cselect_b32 s31, -1, 0
	v_cmp_gt_i32_e64 s1, s22, v2
	s_or_b32 s31, s0, s31
	v_cmp_gt_i32_e64 s0, s22, v0
	v_mul_u64_e32 v[0:1], s[4:5], v[0:1]
	v_mul_u64_e32 v[2:3], s[2:3], v[2:3]
	v_dual_add_nc_u32 v16, 16, v14 :: v_dual_add_nc_u32 v4, s30, v4
	v_ashrrev_i32_e32 v15, 31, v14
	v_lshl_or_b32 v6, v6, 6, v12
	v_lshl_add_u32 v31, v5, 6, 0x800
	s_delay_alu instid0(VALU_DEP_4)
	v_ashrrev_i32_e32 v17, 31, v16
	v_ashrrev_i32_e32 v5, 31, v4
	v_mul_u64_e32 v[8:9], s[18:19], v[14:15]
	v_add_nc_u32_e32 v27, 0x800, v6
	v_add_nc_u32_e32 v6, 16, v4
	v_mul_u64_e32 v[10:11], s[18:19], v[16:17]
	v_mov_b32_e32 v15, 0
	v_cmp_le_i32_e32 vcc_lo, v14, v4
	s_cmp_gt_i32 s23, 0
	v_cmp_le_i32_e64 s3, v14, v6
	v_dual_ashrrev_i32 v7, 31, v6 :: v_dual_lshlrev_b32 v14, 3, v21
	v_mov_b32_e32 v13, v15
	v_cmp_gt_i32_e64 s2, s22, v4
	v_cmp_gt_i32_e64 s4, s22, v6
	s_cselect_b32 s33, -1, 0
	s_cmp_neq_f32 s20, 0
	s_cselect_b32 s5, -1, 0
	s_and_b32 s19, vcc_lo, s2
	s_and_b32 s22, s3, s4
	v_cmp_le_i32_e32 vcc_lo, v16, v4
	v_cmp_le_i32_e64 s3, v16, v6
	v_lshl_add_u64 v[0:1], v[0:1], 3, v[14:15]
	v_lshl_add_u64 v[2:3], v[2:3], 3, v[12:13]
	s_xor_b32 s29, s29, -1
	s_lshl_b64 s[8:9], s[8:9], 3
	s_or_b32 s18, s5, s29
	v_add_nc_u64_e32 v[12:13], s[6:7], v[0:1]
	v_add_nc_u64_e32 v[14:15], s[14:15], v[2:3]
	s_and_b32 s29, vcc_lo, s2
	s_and_b32 s30, s3, s4
	s_mov_b32 s2, s20
	s_mov_b32 s3, s20
	;; [unrolled: 1-line block ×4, first 2 shown]
	s_and_b32 s14, s31, s33
	s_mov_b32 s5, s10
	s_lshl_b64 s[6:7], s[12:13], 3
	s_branch .LBB84_6
.LBB84_5:                               ;   in Loop: Header=BB84_6 Depth=1
	s_wait_xcnt 0x0
	s_or_b32 exec_lo, exec_lo, s12
	s_add_co_i32 s24, s24, 0x10000
	s_delay_alu instid0(SALU_CYCLE_1)
	s_cmp_lt_u32 s24, s28
	s_cbranch_scc0 .LBB84_33
.LBB84_6:                               ; =>This Loop Header: Depth=1
                                        ;     Child Loop BB84_9 Depth 2
	v_dual_mov_b32 v32, 0 :: v_dual_mov_b32 v34, 0
	v_dual_mov_b32 v28, 0 :: v_dual_mov_b32 v30, 0
	;; [unrolled: 1-line block ×4, first 2 shown]
	s_and_not1_b32 vcc_lo, exec_lo, s14
	s_cbranch_vccnz .LBB84_13
; %bb.7:                                ;   in Loop: Header=BB84_6 Depth=1
	v_mad_nc_u64_u32 v[16:17], s6, s24, v[12:13]
	v_mad_nc_u64_u32 v[18:19], s8, s24, v[14:15]
	v_dual_mov_b32 v22, 0 :: v_dual_mov_b32 v20, 0
	v_dual_mov_b32 v26, 0 :: v_dual_mov_b32 v24, 0
	;; [unrolled: 1-line block ×4, first 2 shown]
	s_mov_b32 s12, 0
	v_mad_u32 v17, s7, s24, v17
	v_mad_u32 v19, s9, s24, v19
	s_branch .LBB84_9
.LBB84_8:                               ;   in Loop: Header=BB84_9 Depth=2
	s_wait_xcnt 0x0
	s_or_b32 exec_lo, exec_lo, s13
	s_wait_loadcnt 0x0
	ds_store_b64 v27, v[2:3]
	s_wait_dscnt 0x0
	s_barrier_signal -1
	s_barrier_wait -1
	ds_load_b128 v[36:39], v31
	ds_load_b128 v[40:43], v31 offset:16
	ds_load_b128 v[44:47], v31 offset:32
	;; [unrolled: 1-line block ×3, first 2 shown]
	ds_load_2addr_b64 v[48:51], v29 offset1:16
	v_add_nc_u64_e32 v[16:17], 64, v[16:17]
	v_add_nc_u64_e32 v[18:19], 64, v[18:19]
	s_add_co_i32 s12, s12, 8
	s_delay_alu instid0(SALU_CYCLE_1) | instskip(SKIP_2) | instid1(VALU_DEP_1)
	s_cmp_lt_i32 s12, s23
	s_wait_dscnt 0x0
	v_dual_mul_f32 v33, v37, v49 :: v_dual_mul_f32 v35, v36, v49
	v_dual_fma_f32 v33, v36, v48, -v33 :: v_dual_fmac_f32 v35, v37, v48
	s_delay_alu instid0(VALU_DEP_1) | instskip(SKIP_1) | instid1(VALU_DEP_1)
	v_dual_add_f32 v52, v32, v33 :: v_dual_add_f32 v53, v34, v35
	v_dual_mul_f32 v32, v37, v51 :: v_dual_mul_f32 v33, v36, v51
	v_dual_fma_f32 v32, v36, v50, -v32 :: v_dual_fmac_f32 v33, v37, v50
	s_delay_alu instid0(VALU_DEP_1) | instskip(SKIP_3) | instid1(VALU_DEP_1)
	v_dual_add_f32 v28, v28, v32 :: v_dual_add_f32 v30, v30, v33
	ds_load_b128 v[32:35], v31 offset:1024
	s_wait_dscnt 0x0
	v_dual_mul_f32 v36, v33, v49 :: v_dual_mul_f32 v37, v32, v49
	v_dual_fma_f32 v36, v32, v48, -v36 :: v_dual_fmac_f32 v37, v33, v48
	s_delay_alu instid0(VALU_DEP_1) | instskip(SKIP_1) | instid1(VALU_DEP_1)
	v_dual_add_f32 v24, v24, v36 :: v_dual_add_f32 v26, v26, v37
	v_mul_f32_e32 v36, v33, v51
	v_dual_fma_f32 v36, v32, v50, -v36 :: v_dual_mul_f32 v32, v32, v51
	s_delay_alu instid0(VALU_DEP_1) | instskip(SKIP_4) | instid1(VALU_DEP_1)
	v_fmac_f32_e32 v32, v33, v50
	ds_load_2addr_b64 v[48:51], v29 offset0:32 offset1:48
	v_add_f32_e32 v22, v22, v32
	s_wait_dscnt 0x0
	v_dual_add_f32 v20, v20, v36 :: v_dual_mul_f32 v32, v39, v49
	v_dual_mul_f32 v33, v38, v49 :: v_dual_fma_f32 v32, v38, v48, -v32
	s_delay_alu instid0(VALU_DEP_1) | instskip(NEXT) | instid1(VALU_DEP_1)
	v_fmac_f32_e32 v33, v39, v48
	v_dual_add_f32 v36, v52, v32 :: v_dual_add_f32 v37, v53, v33
	v_dual_mul_f32 v32, v39, v51 :: v_dual_mul_f32 v33, v38, v51
	s_delay_alu instid0(VALU_DEP_1) | instskip(NEXT) | instid1(VALU_DEP_1)
	v_dual_fma_f32 v32, v38, v50, -v32 :: v_dual_fmac_f32 v33, v39, v50
	v_dual_add_f32 v28, v28, v32 :: v_dual_add_f32 v30, v30, v33
	v_dual_mul_f32 v32, v35, v49 :: v_dual_mul_f32 v33, v34, v49
	s_delay_alu instid0(VALU_DEP_1) | instskip(NEXT) | instid1(VALU_DEP_1)
	v_dual_fma_f32 v32, v34, v48, -v32 :: v_dual_fmac_f32 v33, v35, v48
	;; [unrolled: 4-line block ×3, first 2 shown]
	v_dual_add_f32 v20, v20, v32 :: v_dual_add_f32 v22, v22, v33
	ds_load_2addr_b64 v[32:35], v29 offset0:64 offset1:80
	s_wait_dscnt 0x0
	v_dual_mul_f32 v38, v41, v33 :: v_dual_mul_f32 v39, v40, v33
	s_delay_alu instid0(VALU_DEP_1) | instskip(NEXT) | instid1(VALU_DEP_1)
	v_dual_fma_f32 v38, v40, v32, -v38 :: v_dual_fmac_f32 v39, v41, v32
	v_dual_add_f32 v48, v36, v38 :: v_dual_add_f32 v49, v37, v39
	v_dual_mul_f32 v36, v41, v35 :: v_dual_mul_f32 v37, v40, v35
	s_delay_alu instid0(VALU_DEP_1) | instskip(NEXT) | instid1(VALU_DEP_1)
	v_dual_fma_f32 v36, v40, v34, -v36 :: v_dual_fmac_f32 v37, v41, v34
	v_dual_add_f32 v28, v28, v36 :: v_dual_add_f32 v30, v30, v37
	ds_load_b128 v[36:39], v31 offset:1040
	s_wait_dscnt 0x0
	v_dual_mul_f32 v40, v37, v33 :: v_dual_mul_f32 v33, v36, v33
	s_delay_alu instid0(VALU_DEP_1) | instskip(NEXT) | instid1(VALU_DEP_1)
	v_dual_fma_f32 v40, v36, v32, -v40 :: v_dual_fmac_f32 v33, v37, v32
	v_dual_mul_f32 v32, v37, v35 :: v_dual_add_f32 v24, v24, v40
	s_delay_alu instid0(VALU_DEP_2) | instskip(NEXT) | instid1(VALU_DEP_1)
	v_dual_add_f32 v26, v26, v33 :: v_dual_mul_f32 v33, v36, v35
	v_dual_fma_f32 v32, v36, v34, -v32 :: v_dual_fmac_f32 v33, v37, v34
	s_delay_alu instid0(VALU_DEP_1) | instskip(SKIP_4) | instid1(VALU_DEP_2)
	v_dual_add_f32 v20, v20, v32 :: v_dual_add_f32 v22, v22, v33
	ds_load_2addr_b64 v[32:35], v29 offset0:96 offset1:112
	s_wait_dscnt 0x0
	v_dual_mul_f32 v40, v43, v35 :: v_dual_mul_f32 v41, v42, v35
	v_dual_mul_f32 v36, v43, v33 :: v_dual_mul_f32 v37, v42, v33
	v_dual_fma_f32 v40, v42, v34, -v40 :: v_dual_fmac_f32 v41, v43, v34
	s_delay_alu instid0(VALU_DEP_2) | instskip(NEXT) | instid1(VALU_DEP_2)
	v_dual_fma_f32 v36, v42, v32, -v36 :: v_dual_fmac_f32 v37, v43, v32
	v_dual_add_f32 v28, v28, v40 :: v_dual_add_f32 v30, v30, v41
	v_dual_mul_f32 v40, v39, v33 :: v_dual_mul_f32 v33, v38, v33
	s_delay_alu instid0(VALU_DEP_3) | instskip(NEXT) | instid1(VALU_DEP_2)
	v_dual_add_f32 v36, v48, v36 :: v_dual_add_f32 v37, v49, v37
	v_dual_fma_f32 v40, v38, v32, -v40 :: v_dual_fmac_f32 v33, v39, v32
	s_delay_alu instid0(VALU_DEP_1) | instskip(NEXT) | instid1(VALU_DEP_2)
	v_dual_mul_f32 v32, v39, v35 :: v_dual_add_f32 v24, v24, v40
	v_add_f32_e32 v26, v26, v33
	s_delay_alu instid0(VALU_DEP_2) | instskip(NEXT) | instid1(VALU_DEP_1)
	v_dual_mul_f32 v33, v38, v35 :: v_dual_fma_f32 v32, v38, v34, -v32
	v_dual_fmac_f32 v33, v39, v34 :: v_dual_add_f32 v20, v20, v32
	s_delay_alu instid0(VALU_DEP_1) | instskip(SKIP_3) | instid1(VALU_DEP_1)
	v_add_f32_e32 v22, v22, v33
	ds_load_2addr_b64 v[32:35], v29 offset0:128 offset1:144
	s_wait_dscnt 0x0
	v_dual_mul_f32 v38, v45, v33 :: v_dual_mul_f32 v39, v44, v33
	v_dual_fma_f32 v38, v44, v32, -v38 :: v_dual_fmac_f32 v39, v45, v32
	s_delay_alu instid0(VALU_DEP_1) | instskip(SKIP_1) | instid1(VALU_DEP_1)
	v_dual_add_f32 v40, v36, v38 :: v_dual_add_f32 v41, v37, v39
	v_dual_mul_f32 v36, v45, v35 :: v_dual_mul_f32 v37, v44, v35
	v_dual_fma_f32 v36, v44, v34, -v36 :: v_dual_fmac_f32 v37, v45, v34
	s_delay_alu instid0(VALU_DEP_1) | instskip(SKIP_3) | instid1(VALU_DEP_1)
	v_dual_add_f32 v28, v28, v36 :: v_dual_add_f32 v30, v30, v37
	ds_load_b128 v[36:39], v31 offset:1056
	s_wait_dscnt 0x0
	v_dual_mul_f32 v42, v37, v33 :: v_dual_mul_f32 v33, v36, v33
	v_dual_fma_f32 v42, v36, v32, -v42 :: v_dual_fmac_f32 v33, v37, v32
	s_delay_alu instid0(VALU_DEP_1) | instskip(NEXT) | instid1(VALU_DEP_2)
	v_dual_mul_f32 v32, v37, v35 :: v_dual_add_f32 v24, v24, v42
	v_dual_add_f32 v26, v26, v33 :: v_dual_mul_f32 v33, v36, v35
	s_delay_alu instid0(VALU_DEP_1) | instskip(NEXT) | instid1(VALU_DEP_1)
	v_dual_fma_f32 v32, v36, v34, -v32 :: v_dual_fmac_f32 v33, v37, v34
	v_dual_add_f32 v20, v20, v32 :: v_dual_add_f32 v22, v22, v33
	ds_load_2addr_b64 v[32:35], v29 offset0:160 offset1:176
	s_wait_dscnt 0x0
	v_dual_mul_f32 v36, v47, v33 :: v_dual_mul_f32 v37, v46, v33
	s_delay_alu instid0(VALU_DEP_1) | instskip(NEXT) | instid1(VALU_DEP_1)
	v_dual_fma_f32 v36, v46, v32, -v36 :: v_dual_fmac_f32 v37, v47, v32
	v_dual_add_f32 v36, v40, v36 :: v_dual_add_f32 v37, v41, v37
	v_dual_mul_f32 v40, v47, v35 :: v_dual_mul_f32 v41, v46, v35
	s_delay_alu instid0(VALU_DEP_1) | instskip(NEXT) | instid1(VALU_DEP_1)
	v_dual_fma_f32 v40, v46, v34, -v40 :: v_dual_fmac_f32 v41, v47, v34
	v_dual_add_f32 v28, v28, v40 :: v_dual_add_f32 v30, v30, v41
	v_dual_mul_f32 v40, v39, v33 :: v_dual_mul_f32 v33, v38, v33
	s_delay_alu instid0(VALU_DEP_1) | instskip(NEXT) | instid1(VALU_DEP_1)
	v_dual_fma_f32 v40, v38, v32, -v40 :: v_dual_fmac_f32 v33, v39, v32
	v_dual_mul_f32 v32, v39, v35 :: v_dual_add_f32 v24, v24, v40
	s_delay_alu instid0(VALU_DEP_2) | instskip(NEXT) | instid1(VALU_DEP_2)
	v_add_f32_e32 v26, v26, v33
	v_dual_mul_f32 v33, v38, v35 :: v_dual_fma_f32 v32, v38, v34, -v32
	ds_load_2addr_b64 v[40:43], v29 offset0:224 offset1:240
	v_dual_fmac_f32 v33, v39, v34 :: v_dual_add_f32 v20, v20, v32
	s_delay_alu instid0(VALU_DEP_1) | instskip(SKIP_3) | instid1(VALU_DEP_1)
	v_add_f32_e32 v22, v22, v33
	ds_load_2addr_b64 v[32:35], v29 offset0:192 offset1:208
	s_wait_dscnt 0x0
	v_dual_mul_f32 v38, v1, v33 :: v_dual_mul_f32 v39, v0, v33
	v_dual_fma_f32 v38, v0, v32, -v38 :: v_dual_fmac_f32 v39, v1, v32
	s_delay_alu instid0(VALU_DEP_1) | instskip(SKIP_1) | instid1(VALU_DEP_1)
	v_dual_add_f32 v44, v36, v38 :: v_dual_add_f32 v45, v37, v39
	v_mul_f32_e32 v36, v1, v35
	v_dual_fma_f32 v36, v0, v34, -v36 :: v_dual_mul_f32 v0, v0, v35
	s_delay_alu instid0(VALU_DEP_1) | instskip(NEXT) | instid1(VALU_DEP_1)
	v_fmac_f32_e32 v0, v1, v34
	v_add_f32_e32 v0, v30, v0
	s_delay_alu instid0(VALU_DEP_3)
	v_add_f32_e32 v1, v28, v36
	ds_load_b128 v[36:39], v31 offset:1072
	s_wait_dscnt 0x0
	s_barrier_signal -1
	s_barrier_wait -1
	v_dual_mul_f32 v28, v37, v33 :: v_dual_mul_f32 v30, v36, v33
	s_delay_alu instid0(VALU_DEP_1) | instskip(NEXT) | instid1(VALU_DEP_1)
	v_dual_fma_f32 v28, v36, v32, -v28 :: v_dual_fmac_f32 v30, v37, v32
	v_dual_add_f32 v24, v24, v28 :: v_dual_add_f32 v26, v26, v30
	v_dual_mul_f32 v28, v37, v35 :: v_dual_mul_f32 v30, v36, v35
	s_delay_alu instid0(VALU_DEP_1) | instskip(NEXT) | instid1(VALU_DEP_1)
	v_dual_fma_f32 v28, v36, v34, -v28 :: v_dual_fmac_f32 v30, v37, v34
	v_dual_add_f32 v20, v20, v28 :: v_dual_add_f32 v22, v22, v30
	;; [unrolled: 4-line block ×3, first 2 shown]
	v_mul_f32_e32 v28, v3, v43
	s_delay_alu instid0(VALU_DEP_1) | instskip(NEXT) | instid1(VALU_DEP_1)
	v_dual_fma_f32 v28, v2, v42, -v28 :: v_dual_mul_f32 v2, v2, v43
	v_dual_fmac_f32 v2, v3, v42 :: v_dual_add_f32 v28, v1, v28
	s_delay_alu instid0(VALU_DEP_1) | instskip(NEXT) | instid1(VALU_DEP_1)
	v_dual_mul_f32 v1, v38, v41 :: v_dual_add_f32 v30, v0, v2
	v_dual_mul_f32 v0, v39, v41 :: v_dual_fmac_f32 v1, v39, v40
	s_delay_alu instid0(VALU_DEP_1) | instskip(NEXT) | instid1(VALU_DEP_2)
	v_fma_f32 v0, v38, v40, -v0
	v_add_f32_e32 v26, v26, v1
	s_delay_alu instid0(VALU_DEP_2) | instskip(NEXT) | instid1(VALU_DEP_1)
	v_dual_mul_f32 v1, v38, v43 :: v_dual_add_f32 v24, v24, v0
	v_dual_mul_f32 v0, v39, v43 :: v_dual_fmac_f32 v1, v39, v42
	s_delay_alu instid0(VALU_DEP_1) | instskip(NEXT) | instid1(VALU_DEP_1)
	v_fma_f32 v0, v38, v42, -v0
	v_dual_add_f32 v22, v22, v1 :: v_dual_add_f32 v20, v20, v0
	s_cbranch_scc0 .LBB84_13
.LBB84_9:                               ;   Parent Loop BB84_6 Depth=1
                                        ; =>  This Inner Loop Header: Depth=2
	v_dual_mov_b32 v1, 0 :: v_dual_add_nc_u32 v0, s12, v21
	s_delay_alu instid0(VALU_DEP_1) | instskip(SKIP_2) | instid1(SALU_CYCLE_1)
	v_cmp_gt_i32_e32 vcc_lo, s23, v0
	v_mov_b32_e32 v0, 0
	s_and_b32 s15, s0, vcc_lo
	s_and_saveexec_b32 s13, s15
	s_cbranch_execz .LBB84_11
; %bb.10:                               ;   in Loop: Header=BB84_9 Depth=2
	global_load_b64 v[0:1], v[16:17], off
.LBB84_11:                              ;   in Loop: Header=BB84_9 Depth=2
	s_wait_xcnt 0x0
	s_or_b32 exec_lo, exec_lo, s13
	v_dual_mov_b32 v3, 0 :: v_dual_add_nc_u32 v2, s12, v23
	s_wait_loadcnt 0x0
	ds_store_b64 v25, v[0:1]
	v_cmp_gt_i32_e32 vcc_lo, s23, v2
	v_mov_b32_e32 v2, 0
	s_and_b32 s15, vcc_lo, s1
	s_delay_alu instid0(SALU_CYCLE_1)
	s_and_saveexec_b32 s13, s15
	s_cbranch_execz .LBB84_8
; %bb.12:                               ;   in Loop: Header=BB84_9 Depth=2
	global_load_b64 v[2:3], v[18:19], off
	s_branch .LBB84_8
.LBB84_13:                              ;   in Loop: Header=BB84_6 Depth=1
	s_mul_u64 s[12:13], s[26:27], s[24:25]
	s_delay_alu instid0(SALU_CYCLE_1) | instskip(NEXT) | instid1(SALU_CYCLE_1)
	s_lshl_b64 s[12:13], s[12:13], 3
	s_add_nc_u64 s[12:13], s[16:17], s[12:13]
	s_delay_alu instid0(SALU_CYCLE_1)
	v_lshl_add_u64 v[0:1], v[8:9], 3, s[12:13]
	s_and_saveexec_b32 s15, s19
	s_cbranch_execz .LBB84_18
; %bb.14:                               ;   in Loop: Header=BB84_6 Depth=1
	v_mov_b64_e32 v[2:3], s[4:5]
	v_mov_b64_e32 v[16:17], s[10:11]
	s_and_b32 vcc_lo, exec_lo, s18
	s_mov_b32 s31, -1
	s_delay_alu instid0(VALU_DEP_2) | instskip(NEXT) | instid1(VALU_DEP_1)
	v_pk_mul_f32 v[2:3], v[34:35], v[2:3] op_sel_hi:[0,1]
	v_pk_fma_f32 v[18:19], v[32:33], v[16:17], v[2:3] op_sel_hi:[0,1,1]
	v_pk_fma_f32 v[2:3], v[32:33], v[16:17], v[2:3] neg_lo:[0,0,1] neg_hi:[0,0,1]
	v_lshl_add_u64 v[16:17], v[4:5], 3, v[0:1]
	s_delay_alu instid0(VALU_DEP_3)
	v_mov_b32_e32 v3, v19
	s_cbranch_vccz .LBB84_16
; %bb.15:                               ;   in Loop: Header=BB84_6 Depth=1
	global_load_b64 v[18:19], v[16:17], off
	v_mov_b64_e32 v[32:33], s[20:21]
	v_mov_b64_e32 v[34:35], s[2:3]
	s_mov_b32 s31, 0
	s_wait_loadcnt 0x0
	s_delay_alu instid0(VALU_DEP_2) | instskip(NEXT) | instid1(VALU_DEP_1)
	v_pk_mul_f32 v[32:33], v[18:19], v[32:33]
	v_pk_fma_f32 v[36:37], v[18:19], v[34:35], v[32:33] op_sel:[0,0,1] op_sel_hi:[1,1,0]
	v_pk_fma_f32 v[18:19], v[18:19], v[34:35], v[32:33] op_sel:[0,0,1] op_sel_hi:[1,1,0] neg_lo:[0,0,1] neg_hi:[0,0,1]
	s_delay_alu instid0(VALU_DEP_2) | instskip(NEXT) | instid1(VALU_DEP_1)
	v_mov_b32_e32 v19, v37
	v_pk_add_f32 v[18:19], v[2:3], v[18:19]
	global_store_b64 v[16:17], v[18:19], off
.LBB84_16:                              ;   in Loop: Header=BB84_6 Depth=1
	s_and_not1_b32 vcc_lo, exec_lo, s31
	s_cbranch_vccnz .LBB84_18
; %bb.17:                               ;   in Loop: Header=BB84_6 Depth=1
	global_store_b64 v[16:17], v[2:3], off
.LBB84_18:                              ;   in Loop: Header=BB84_6 Depth=1
	s_wait_xcnt 0x0
	s_or_b32 exec_lo, exec_lo, s15
	s_and_saveexec_b32 s15, s22
	s_cbranch_execz .LBB84_23
; %bb.19:                               ;   in Loop: Header=BB84_6 Depth=1
	v_mov_b64_e32 v[2:3], s[4:5]
	v_mov_b64_e32 v[16:17], s[10:11]
	v_lshl_add_u64 v[0:1], v[6:7], 3, v[0:1]
	s_and_not1_b32 vcc_lo, exec_lo, s18
	s_mov_b32 s31, -1
	s_delay_alu instid0(VALU_DEP_3) | instskip(NEXT) | instid1(VALU_DEP_1)
	v_pk_mul_f32 v[2:3], v[30:31], v[2:3] op_sel_hi:[0,1]
	v_pk_fma_f32 v[18:19], v[28:29], v[16:17], v[2:3] op_sel_hi:[0,1,1]
	v_pk_fma_f32 v[2:3], v[28:29], v[16:17], v[2:3] neg_lo:[0,0,1] neg_hi:[0,0,1]
	s_delay_alu instid0(VALU_DEP_2)
	v_mov_b32_e32 v3, v19
	s_cbranch_vccnz .LBB84_21
; %bb.20:                               ;   in Loop: Header=BB84_6 Depth=1
	global_load_b64 v[16:17], v[0:1], off
	v_mov_b64_e32 v[18:19], s[20:21]
	v_mov_b64_e32 v[32:33], s[2:3]
	s_mov_b32 s31, 0
	s_wait_loadcnt 0x0
	s_delay_alu instid0(VALU_DEP_2) | instskip(NEXT) | instid1(VALU_DEP_1)
	v_pk_mul_f32 v[18:19], v[16:17], v[18:19]
	v_pk_fma_f32 v[34:35], v[16:17], v[32:33], v[18:19] op_sel:[0,0,1] op_sel_hi:[1,1,0]
	v_pk_fma_f32 v[16:17], v[16:17], v[32:33], v[18:19] op_sel:[0,0,1] op_sel_hi:[1,1,0] neg_lo:[0,0,1] neg_hi:[0,0,1]
	s_delay_alu instid0(VALU_DEP_2) | instskip(NEXT) | instid1(VALU_DEP_1)
	v_mov_b32_e32 v17, v35
	v_pk_add_f32 v[16:17], v[2:3], v[16:17]
	global_store_b64 v[0:1], v[16:17], off
.LBB84_21:                              ;   in Loop: Header=BB84_6 Depth=1
	s_and_not1_b32 vcc_lo, exec_lo, s31
	s_cbranch_vccnz .LBB84_23
; %bb.22:                               ;   in Loop: Header=BB84_6 Depth=1
	global_store_b64 v[0:1], v[2:3], off
.LBB84_23:                              ;   in Loop: Header=BB84_6 Depth=1
	s_wait_xcnt 0x0
	s_or_b32 exec_lo, exec_lo, s15
	v_lshl_add_u64 v[0:1], v[10:11], 3, s[12:13]
	s_and_saveexec_b32 s12, s29
	s_cbranch_execz .LBB84_28
; %bb.24:                               ;   in Loop: Header=BB84_6 Depth=1
	v_mov_b64_e32 v[2:3], s[4:5]
	v_mov_b64_e32 v[16:17], s[10:11]
	s_and_not1_b32 vcc_lo, exec_lo, s18
	s_mov_b32 s13, -1
	s_delay_alu instid0(VALU_DEP_2) | instskip(NEXT) | instid1(VALU_DEP_1)
	v_pk_mul_f32 v[2:3], v[26:27], v[2:3] op_sel_hi:[0,1]
	v_pk_fma_f32 v[18:19], v[24:25], v[16:17], v[2:3] op_sel_hi:[0,1,1]
	v_pk_fma_f32 v[2:3], v[24:25], v[16:17], v[2:3] neg_lo:[0,0,1] neg_hi:[0,0,1]
	v_lshl_add_u64 v[16:17], v[4:5], 3, v[0:1]
	s_delay_alu instid0(VALU_DEP_3)
	v_mov_b32_e32 v3, v19
	s_cbranch_vccnz .LBB84_26
; %bb.25:                               ;   in Loop: Header=BB84_6 Depth=1
	global_load_b64 v[18:19], v[16:17], off
	v_mov_b64_e32 v[32:33], s[20:21]
	v_mov_b64_e32 v[34:35], s[2:3]
	s_mov_b32 s13, 0
	s_wait_loadcnt 0x0
	s_delay_alu instid0(VALU_DEP_2) | instskip(NEXT) | instid1(VALU_DEP_1)
	v_pk_mul_f32 v[32:33], v[18:19], v[32:33]
	v_pk_fma_f32 v[36:37], v[18:19], v[34:35], v[32:33] op_sel:[0,0,1] op_sel_hi:[1,1,0]
	v_pk_fma_f32 v[18:19], v[18:19], v[34:35], v[32:33] op_sel:[0,0,1] op_sel_hi:[1,1,0] neg_lo:[0,0,1] neg_hi:[0,0,1]
	s_delay_alu instid0(VALU_DEP_2) | instskip(NEXT) | instid1(VALU_DEP_1)
	v_mov_b32_e32 v19, v37
	v_pk_add_f32 v[18:19], v[2:3], v[18:19]
	global_store_b64 v[16:17], v[18:19], off
.LBB84_26:                              ;   in Loop: Header=BB84_6 Depth=1
	s_and_not1_b32 vcc_lo, exec_lo, s13
	s_cbranch_vccnz .LBB84_28
; %bb.27:                               ;   in Loop: Header=BB84_6 Depth=1
	global_store_b64 v[16:17], v[2:3], off
.LBB84_28:                              ;   in Loop: Header=BB84_6 Depth=1
	s_wait_xcnt 0x0
	s_or_b32 exec_lo, exec_lo, s12
	s_and_saveexec_b32 s12, s30
	s_cbranch_execz .LBB84_5
; %bb.29:                               ;   in Loop: Header=BB84_6 Depth=1
	v_mov_b64_e32 v[2:3], s[4:5]
	v_mov_b64_e32 v[16:17], s[10:11]
	v_lshl_add_u64 v[0:1], v[6:7], 3, v[0:1]
	s_and_not1_b32 vcc_lo, exec_lo, s18
	s_mov_b32 s13, -1
	s_delay_alu instid0(VALU_DEP_3) | instskip(NEXT) | instid1(VALU_DEP_1)
	v_pk_mul_f32 v[2:3], v[22:23], v[2:3] op_sel_hi:[0,1]
	v_pk_fma_f32 v[18:19], v[20:21], v[16:17], v[2:3] op_sel_hi:[0,1,1]
	v_pk_fma_f32 v[2:3], v[20:21], v[16:17], v[2:3] neg_lo:[0,0,1] neg_hi:[0,0,1]
	s_delay_alu instid0(VALU_DEP_2)
	v_mov_b32_e32 v3, v19
	s_cbranch_vccnz .LBB84_31
; %bb.30:                               ;   in Loop: Header=BB84_6 Depth=1
	global_load_b64 v[16:17], v[0:1], off
	v_mov_b64_e32 v[18:19], s[20:21]
	v_mov_b64_e32 v[32:33], s[2:3]
	s_mov_b32 s13, 0
	s_wait_loadcnt 0x0
	s_delay_alu instid0(VALU_DEP_2) | instskip(NEXT) | instid1(VALU_DEP_1)
	v_pk_mul_f32 v[18:19], v[16:17], v[18:19]
	v_pk_fma_f32 v[34:35], v[16:17], v[32:33], v[18:19] op_sel:[0,0,1] op_sel_hi:[1,1,0]
	v_pk_fma_f32 v[16:17], v[16:17], v[32:33], v[18:19] op_sel:[0,0,1] op_sel_hi:[1,1,0] neg_lo:[0,0,1] neg_hi:[0,0,1]
	s_delay_alu instid0(VALU_DEP_2) | instskip(NEXT) | instid1(VALU_DEP_1)
	v_mov_b32_e32 v17, v35
	v_pk_add_f32 v[16:17], v[2:3], v[16:17]
	global_store_b64 v[0:1], v[16:17], off
.LBB84_31:                              ;   in Loop: Header=BB84_6 Depth=1
	s_and_not1_b32 vcc_lo, exec_lo, s13
	s_cbranch_vccnz .LBB84_5
; %bb.32:                               ;   in Loop: Header=BB84_6 Depth=1
	global_store_b64 v[0:1], v[2:3], off
	s_branch .LBB84_5
.LBB84_33:
	s_endpgm
	.section	.rodata,"a",@progbits
	.p2align	6, 0x0
	.amdhsa_kernel _ZL29rocblas_internal_gemmt_kernelIiLi16ELi32ELi8ELc84ELc78ELc76ELb0ELb0E19rocblas_complex_numIfEPKS1_S3_PS1_EviT_T9_T10_S5_lS7_S5_lS6_T11_S5_li
		.amdhsa_group_segment_fixed_size 4096
		.amdhsa_private_segment_fixed_size 0
		.amdhsa_kernarg_size 100
		.amdhsa_user_sgpr_count 2
		.amdhsa_user_sgpr_dispatch_ptr 0
		.amdhsa_user_sgpr_queue_ptr 0
		.amdhsa_user_sgpr_kernarg_segment_ptr 1
		.amdhsa_user_sgpr_dispatch_id 0
		.amdhsa_user_sgpr_kernarg_preload_length 0
		.amdhsa_user_sgpr_kernarg_preload_offset 0
		.amdhsa_user_sgpr_private_segment_size 0
		.amdhsa_wavefront_size32 1
		.amdhsa_uses_dynamic_stack 0
		.amdhsa_enable_private_segment 0
		.amdhsa_system_sgpr_workgroup_id_x 1
		.amdhsa_system_sgpr_workgroup_id_y 1
		.amdhsa_system_sgpr_workgroup_id_z 1
		.amdhsa_system_sgpr_workgroup_info 0
		.amdhsa_system_vgpr_workitem_id 1
		.amdhsa_next_free_vgpr 54
		.amdhsa_next_free_sgpr 34
		.amdhsa_named_barrier_count 0
		.amdhsa_reserve_vcc 1
		.amdhsa_float_round_mode_32 0
		.amdhsa_float_round_mode_16_64 0
		.amdhsa_float_denorm_mode_32 3
		.amdhsa_float_denorm_mode_16_64 3
		.amdhsa_fp16_overflow 0
		.amdhsa_memory_ordered 1
		.amdhsa_forward_progress 1
		.amdhsa_inst_pref_size 25
		.amdhsa_round_robin_scheduling 0
		.amdhsa_exception_fp_ieee_invalid_op 0
		.amdhsa_exception_fp_denorm_src 0
		.amdhsa_exception_fp_ieee_div_zero 0
		.amdhsa_exception_fp_ieee_overflow 0
		.amdhsa_exception_fp_ieee_underflow 0
		.amdhsa_exception_fp_ieee_inexact 0
		.amdhsa_exception_int_div_zero 0
	.end_amdhsa_kernel
	.section	.text._ZL29rocblas_internal_gemmt_kernelIiLi16ELi32ELi8ELc84ELc78ELc76ELb0ELb0E19rocblas_complex_numIfEPKS1_S3_PS1_EviT_T9_T10_S5_lS7_S5_lS6_T11_S5_li,"axG",@progbits,_ZL29rocblas_internal_gemmt_kernelIiLi16ELi32ELi8ELc84ELc78ELc76ELb0ELb0E19rocblas_complex_numIfEPKS1_S3_PS1_EviT_T9_T10_S5_lS7_S5_lS6_T11_S5_li,comdat
.Lfunc_end84:
	.size	_ZL29rocblas_internal_gemmt_kernelIiLi16ELi32ELi8ELc84ELc78ELc76ELb0ELb0E19rocblas_complex_numIfEPKS1_S3_PS1_EviT_T9_T10_S5_lS7_S5_lS6_T11_S5_li, .Lfunc_end84-_ZL29rocblas_internal_gemmt_kernelIiLi16ELi32ELi8ELc84ELc78ELc76ELb0ELb0E19rocblas_complex_numIfEPKS1_S3_PS1_EviT_T9_T10_S5_lS7_S5_lS6_T11_S5_li
                                        ; -- End function
	.set _ZL29rocblas_internal_gemmt_kernelIiLi16ELi32ELi8ELc84ELc78ELc76ELb0ELb0E19rocblas_complex_numIfEPKS1_S3_PS1_EviT_T9_T10_S5_lS7_S5_lS6_T11_S5_li.num_vgpr, 54
	.set _ZL29rocblas_internal_gemmt_kernelIiLi16ELi32ELi8ELc84ELc78ELc76ELb0ELb0E19rocblas_complex_numIfEPKS1_S3_PS1_EviT_T9_T10_S5_lS7_S5_lS6_T11_S5_li.num_agpr, 0
	.set _ZL29rocblas_internal_gemmt_kernelIiLi16ELi32ELi8ELc84ELc78ELc76ELb0ELb0E19rocblas_complex_numIfEPKS1_S3_PS1_EviT_T9_T10_S5_lS7_S5_lS6_T11_S5_li.numbered_sgpr, 34
	.set _ZL29rocblas_internal_gemmt_kernelIiLi16ELi32ELi8ELc84ELc78ELc76ELb0ELb0E19rocblas_complex_numIfEPKS1_S3_PS1_EviT_T9_T10_S5_lS7_S5_lS6_T11_S5_li.num_named_barrier, 0
	.set _ZL29rocblas_internal_gemmt_kernelIiLi16ELi32ELi8ELc84ELc78ELc76ELb0ELb0E19rocblas_complex_numIfEPKS1_S3_PS1_EviT_T9_T10_S5_lS7_S5_lS6_T11_S5_li.private_seg_size, 0
	.set _ZL29rocblas_internal_gemmt_kernelIiLi16ELi32ELi8ELc84ELc78ELc76ELb0ELb0E19rocblas_complex_numIfEPKS1_S3_PS1_EviT_T9_T10_S5_lS7_S5_lS6_T11_S5_li.uses_vcc, 1
	.set _ZL29rocblas_internal_gemmt_kernelIiLi16ELi32ELi8ELc84ELc78ELc76ELb0ELb0E19rocblas_complex_numIfEPKS1_S3_PS1_EviT_T9_T10_S5_lS7_S5_lS6_T11_S5_li.uses_flat_scratch, 0
	.set _ZL29rocblas_internal_gemmt_kernelIiLi16ELi32ELi8ELc84ELc78ELc76ELb0ELb0E19rocblas_complex_numIfEPKS1_S3_PS1_EviT_T9_T10_S5_lS7_S5_lS6_T11_S5_li.has_dyn_sized_stack, 0
	.set _ZL29rocblas_internal_gemmt_kernelIiLi16ELi32ELi8ELc84ELc78ELc76ELb0ELb0E19rocblas_complex_numIfEPKS1_S3_PS1_EviT_T9_T10_S5_lS7_S5_lS6_T11_S5_li.has_recursion, 0
	.set _ZL29rocblas_internal_gemmt_kernelIiLi16ELi32ELi8ELc84ELc78ELc76ELb0ELb0E19rocblas_complex_numIfEPKS1_S3_PS1_EviT_T9_T10_S5_lS7_S5_lS6_T11_S5_li.has_indirect_call, 0
	.section	.AMDGPU.csdata,"",@progbits
; Kernel info:
; codeLenInByte = 3192
; TotalNumSgprs: 36
; NumVgprs: 54
; ScratchSize: 0
; MemoryBound: 0
; FloatMode: 240
; IeeeMode: 1
; LDSByteSize: 4096 bytes/workgroup (compile time only)
; SGPRBlocks: 0
; VGPRBlocks: 3
; NumSGPRsForWavesPerEU: 36
; NumVGPRsForWavesPerEU: 54
; NamedBarCnt: 0
; Occupancy: 16
; WaveLimiterHint : 0
; COMPUTE_PGM_RSRC2:SCRATCH_EN: 0
; COMPUTE_PGM_RSRC2:USER_SGPR: 2
; COMPUTE_PGM_RSRC2:TRAP_HANDLER: 0
; COMPUTE_PGM_RSRC2:TGID_X_EN: 1
; COMPUTE_PGM_RSRC2:TGID_Y_EN: 1
; COMPUTE_PGM_RSRC2:TGID_Z_EN: 1
; COMPUTE_PGM_RSRC2:TIDIG_COMP_CNT: 1
	.section	.text._ZL29rocblas_internal_gemmt_kernelIiLi16ELi32ELi8ELc84ELc84ELc76ELb0ELb0E19rocblas_complex_numIfEPKS1_S3_PS1_EviT_T9_T10_S5_lS7_S5_lS6_T11_S5_li,"axG",@progbits,_ZL29rocblas_internal_gemmt_kernelIiLi16ELi32ELi8ELc84ELc84ELc76ELb0ELb0E19rocblas_complex_numIfEPKS1_S3_PS1_EviT_T9_T10_S5_lS7_S5_lS6_T11_S5_li,comdat
	.globl	_ZL29rocblas_internal_gemmt_kernelIiLi16ELi32ELi8ELc84ELc84ELc76ELb0ELb0E19rocblas_complex_numIfEPKS1_S3_PS1_EviT_T9_T10_S5_lS7_S5_lS6_T11_S5_li ; -- Begin function _ZL29rocblas_internal_gemmt_kernelIiLi16ELi32ELi8ELc84ELc84ELc76ELb0ELb0E19rocblas_complex_numIfEPKS1_S3_PS1_EviT_T9_T10_S5_lS7_S5_lS6_T11_S5_li
	.p2align	8
	.type	_ZL29rocblas_internal_gemmt_kernelIiLi16ELi32ELi8ELc84ELc84ELc76ELb0ELb0E19rocblas_complex_numIfEPKS1_S3_PS1_EviT_T9_T10_S5_lS7_S5_lS6_T11_S5_li,@function
_ZL29rocblas_internal_gemmt_kernelIiLi16ELi32ELi8ELc84ELc84ELc76ELb0ELb0E19rocblas_complex_numIfEPKS1_S3_PS1_EviT_T9_T10_S5_lS7_S5_lS6_T11_S5_li: ; @_ZL29rocblas_internal_gemmt_kernelIiLi16ELi32ELi8ELc84ELc84ELc76ELb0ELb0E19rocblas_complex_numIfEPKS1_S3_PS1_EviT_T9_T10_S5_lS7_S5_lS6_T11_S5_li
; %bb.0:
	s_load_b128 s[8:11], s[0:1], 0x38
	s_wait_kmcnt 0x0
	s_load_b64 s[20:21], s[10:11], 0x0
	s_clause 0x1
	s_load_b128 s[4:7], s[0:1], 0x8
	s_load_b64 s[22:23], s[0:1], 0x0
	s_wait_kmcnt 0x0
	s_cmp_neq_f32 s20, 1.0
	s_load_b64 s[10:11], s[4:5], 0x0
	s_cselect_b32 s2, -1, 0
	s_and_b32 s3, s21, 0x7fffffff
	s_delay_alu instid0(SALU_CYCLE_1) | instskip(SKIP_3) | instid1(SALU_CYCLE_1)
	s_cmp_eq_u32 s3, 0
	s_cselect_b32 s30, -1, 0
	s_cmp_lg_u32 s3, 0
	s_cselect_b32 s3, -1, 0
	s_or_b32 s2, s2, s3
	s_delay_alu instid0(SALU_CYCLE_1)
	s_and_b32 vcc_lo, exec_lo, s2
	s_cbranch_vccnz .LBB85_2
; %bb.1:
	s_cmp_lg_u32 s23, 0
	s_cselect_b32 s2, -1, 0
	s_wait_kmcnt 0x0
	s_cmp_neq_f32 s10, 0
	s_cselect_b32 s3, -1, 0
	s_cmp_neq_f32 s11, 0
	s_cselect_b32 s4, -1, 0
	s_delay_alu instid0(SALU_CYCLE_1) | instskip(NEXT) | instid1(SALU_CYCLE_1)
	s_or_b32 s3, s3, s4
	s_and_b32 s2, s2, s3
.LBB85_2:
	s_delay_alu instid0(SALU_CYCLE_1)
	s_and_not1_b32 vcc_lo, exec_lo, s2
	s_cbranch_vccnz .LBB85_33
; %bb.3:
	s_load_b32 s19, s[0:1], 0x60
	s_bfe_u32 s2, ttmp6, 0x40014
	s_lshr_b32 s3, ttmp7, 16
	s_add_co_i32 s2, s2, 1
	s_wait_xcnt 0x0
	s_bfe_u32 s5, ttmp6, 0x40008
	s_mul_i32 s2, s3, s2
	s_getreg_b32 s4, hwreg(HW_REG_IB_STS2, 6, 4)
	s_add_co_i32 s5, s5, s2
	s_cmp_eq_u32 s4, 0
	s_mov_b32 s25, 0
	s_cselect_b32 s24, s3, s5
	s_wait_kmcnt 0x0
	s_cmp_ge_u32 s24, s19
	s_cbranch_scc1 .LBB85_33
; %bb.4:
	s_clause 0x3
	s_load_b32 s2, s[0:1], 0x18
	s_load_b32 s28, s[0:1], 0x30
	s_load_b96 s[16:18], s[0:1], 0x48
	s_load_b128 s[12:15], s[0:1], 0x20
	v_and_b32_e32 v6, 0x3ff, v0
	v_bfe_u32 v7, v0, 10, 10
	s_load_b64 s[26:27], s[0:1], 0x58
	s_wait_xcnt 0x0
	s_bfe_u32 s1, ttmp6, 0x4000c
	s_bfe_u32 s3, ttmp6, 0x40010
	s_and_b32 s31, ttmp7, 0xffff
	s_add_co_i32 s1, s1, 1
	s_add_co_i32 s3, s3, 1
	v_lshl_add_u32 v1, v7, 4, v6
	s_and_b32 s0, ttmp6, 15
	s_bfe_u32 s5, ttmp6, 0x40004
	s_mul_i32 s1, ttmp9, s1
	s_mul_i32 s3, s31, s3
	s_add_co_i32 s0, s0, s1
	s_add_co_i32 s1, s5, s3
	v_dual_lshrrev_b32 v23, 5, v1 :: v_dual_lshrrev_b32 v3, 3, v1
	s_wait_kmcnt 0x0
	s_ashr_i32 s3, s2, 31
	s_ashr_i32 s29, s28, 31
	;; [unrolled: 1-line block ×3, first 2 shown]
	s_cmp_eq_u32 s4, 0
	s_mov_b32 s4, s18
	s_cselect_b32 s1, s31, s1
	s_cselect_b32 s0, ttmp9, s0
	s_lshl_b32 s33, s1, 5
	s_delay_alu instid0(SALU_CYCLE_1) | instskip(SKIP_3) | instid1(VALU_DEP_2)
	v_dual_add_nc_u32 v2, s33, v3 :: v_dual_bitop2_b32 v1, 31, v1 bitop3:0x40
	v_and_b32_e32 v4, 7, v0
	s_lshl_b32 s31, s0, 5
	s_cmp_neq_f32 s10, 0
	v_dual_lshlrev_b32 v1, 3, v1 :: v_dual_bitop2_b32 v0, s31, v1 bitop3:0x54
	s_delay_alu instid0(VALU_DEP_2) | instskip(SKIP_2) | instid1(VALU_DEP_2)
	v_dual_lshlrev_b32 v5, 3, v4 :: v_dual_mov_b32 v15, 0
	s_cselect_b32 s0, -1, 0
	s_cmp_neq_f32 s11, 0
	v_lshl_or_b32 v25, v23, 8, v1
	s_delay_alu instid0(VALU_DEP_2) | instskip(SKIP_3) | instid1(VALU_DEP_3)
	v_lshl_or_b32 v3, v3, 6, v5
	v_dual_ashrrev_i32 v1, 31, v0 :: v_dual_mov_b32 v5, v15
	v_add_nc_u32_e32 v16, s33, v7
	s_cselect_b32 s1, -1, 0
	v_add_nc_u32_e32 v27, 0x800, v3
	s_or_b32 s34, s0, s1
	v_cmp_gt_i32_e64 s0, s22, v0
	v_mul_u64_e32 v[0:1], s[2:3], v[0:1]
	v_mul_u64_e32 v[18:19], s[28:29], v[4:5]
	v_dual_ashrrev_i32 v3, 31, v2 :: v_dual_add_nc_u32 v20, 16, v16
	v_dual_lshlrev_b32 v5, 3, v6 :: v_dual_add_nc_u32 v6, s31, v6
	v_ashrrev_i32_e32 v17, 31, v16
	v_lshl_add_u32 v29, v7, 6, 0x800
	s_delay_alu instid0(VALU_DEP_4)
	v_ashrrev_i32_e32 v21, 31, v20
	v_cmp_gt_i32_e64 s1, s22, v2
	v_add_nc_u32_e32 v8, 16, v6
	v_mul_u64_e32 v[10:11], s[4:5], v[16:17]
	v_ashrrev_i32_e32 v7, 31, v6
	v_mul_u64_e32 v[12:13], s[4:5], v[20:21]
	v_lshlrev_b64_e32 v[2:3], 3, v[2:3]
	v_dual_ashrrev_i32 v9, 31, v8 :: v_dual_lshlrev_b32 v14, 3, v23
	s_cmp_gt_i32 s23, 0
	v_cmp_le_i32_e32 vcc_lo, v16, v6
	s_cselect_b32 s35, -1, 0
	s_cmp_neq_f32 s20, 0
	v_cmp_gt_i32_e64 s2, s22, v6
	v_cmp_le_i32_e64 s3, v16, v8
	v_cmp_gt_i32_e64 s4, s22, v8
	s_cselect_b32 s18, -1, 0
	s_xor_b32 s30, s30, -1
	s_and_b32 s22, vcc_lo, s2
	s_or_b32 s18, s18, s30
	s_and_b32 s30, s3, s4
	v_cmp_le_i32_e32 vcc_lo, v20, v6
	v_cmp_le_i32_e64 s3, v20, v8
	s_mov_b32 s5, s10
	v_lshl_add_u64 v[0:1], v[0:1], 3, v[14:15]
	v_lshl_add_u64 v[2:3], v[18:19], 3, v[2:3]
	s_and_b32 s31, vcc_lo, s2
	s_and_b32 s33, s3, s4
	s_mov_b32 s2, s20
	v_add_nc_u64_e32 v[14:15], s[6:7], v[0:1]
	v_add_nc_u64_e32 v[16:17], s[14:15], v[2:3]
	s_mov_b32 s3, s20
	s_mov_b32 s20, s21
	;; [unrolled: 1-line block ×3, first 2 shown]
	s_and_b32 s34, s34, s35
	s_lshl_b64 s[6:7], s[12:13], 3
	s_lshl_b64 s[8:9], s[8:9], 3
	;; [unrolled: 1-line block ×3, first 2 shown]
	s_branch .LBB85_6
.LBB85_5:                               ;   in Loop: Header=BB85_6 Depth=1
	s_wait_xcnt 0x0
	s_or_b32 exec_lo, exec_lo, s14
	s_add_co_i32 s24, s24, 0x10000
	s_delay_alu instid0(SALU_CYCLE_1)
	s_cmp_lt_u32 s24, s19
	s_cbranch_scc0 .LBB85_33
.LBB85_6:                               ; =>This Loop Header: Depth=1
                                        ;     Child Loop BB85_9 Depth 2
	v_dual_mov_b32 v34, 0 :: v_dual_mov_b32 v36, 0
	v_dual_mov_b32 v30, 0 :: v_dual_mov_b32 v32, 0
	;; [unrolled: 1-line block ×4, first 2 shown]
	s_and_not1_b32 vcc_lo, exec_lo, s34
	s_cbranch_vccnz .LBB85_13
; %bb.7:                                ;   in Loop: Header=BB85_6 Depth=1
	v_mad_nc_u64_u32 v[18:19], s6, s24, v[14:15]
	v_mad_nc_u64_u32 v[20:21], s8, s24, v[16:17]
	v_dual_mov_b32 v24, 0 :: v_dual_mov_b32 v22, 0
	v_dual_mov_b32 v28, 0 :: v_dual_mov_b32 v26, 0
	;; [unrolled: 1-line block ×4, first 2 shown]
	s_mov_b32 s14, 0
	v_mad_u32 v19, s7, s24, v19
	v_mad_u32 v21, s9, s24, v21
	s_branch .LBB85_9
.LBB85_8:                               ;   in Loop: Header=BB85_9 Depth=2
	s_wait_xcnt 0x0
	s_or_b32 exec_lo, exec_lo, s15
	s_wait_loadcnt 0x0
	ds_store_b64 v27, v[2:3]
	s_wait_dscnt 0x0
	s_barrier_signal -1
	s_barrier_wait -1
	ds_load_b128 v[38:41], v29
	ds_load_b128 v[42:45], v29 offset:16
	ds_load_b128 v[46:49], v29 offset:32
	;; [unrolled: 1-line block ×3, first 2 shown]
	ds_load_2addr_b64 v[50:53], v5 offset1:16
	v_add_nc_u64_e32 v[18:19], 64, v[18:19]
	v_add_nc_u64_e32 v[20:21], s[12:13], v[20:21]
	s_add_co_i32 s14, s14, 8
	s_delay_alu instid0(SALU_CYCLE_1) | instskip(SKIP_2) | instid1(VALU_DEP_1)
	s_cmp_lt_i32 s14, s23
	s_wait_dscnt 0x0
	v_dual_mul_f32 v31, v39, v51 :: v_dual_mul_f32 v33, v38, v51
	v_dual_fma_f32 v31, v38, v50, -v31 :: v_dual_fmac_f32 v33, v39, v50
	s_delay_alu instid0(VALU_DEP_1) | instskip(SKIP_1) | instid1(VALU_DEP_1)
	v_dual_add_f32 v54, v34, v31 :: v_dual_add_f32 v55, v36, v33
	v_dual_mul_f32 v31, v39, v53 :: v_dual_mul_f32 v33, v38, v53
	v_dual_fma_f32 v31, v38, v52, -v31 :: v_dual_fmac_f32 v33, v39, v52
	s_delay_alu instid0(VALU_DEP_1) | instskip(SKIP_3) | instid1(VALU_DEP_1)
	v_dual_add_f32 v38, v30, v31 :: v_dual_add_f32 v39, v32, v33
	ds_load_b128 v[30:33], v29 offset:1024
	s_wait_dscnt 0x0
	v_dual_mul_f32 v34, v31, v51 :: v_dual_mul_f32 v35, v30, v51
	v_dual_fma_f32 v34, v30, v50, -v34 :: v_dual_fmac_f32 v35, v31, v50
	s_delay_alu instid0(VALU_DEP_1) | instskip(SKIP_1) | instid1(VALU_DEP_1)
	v_dual_add_f32 v26, v26, v34 :: v_dual_add_f32 v28, v28, v35
	v_mul_f32_e32 v34, v31, v53
	v_dual_fma_f32 v34, v30, v52, -v34 :: v_dual_mul_f32 v30, v30, v53
	s_delay_alu instid0(VALU_DEP_1) | instskip(NEXT) | instid1(VALU_DEP_1)
	v_fmac_f32_e32 v30, v31, v52
	v_add_f32_e32 v24, v24, v30
	s_delay_alu instid0(VALU_DEP_3) | instskip(SKIP_3) | instid1(VALU_DEP_1)
	v_add_f32_e32 v22, v22, v34
	ds_load_2addr_b64 v[34:37], v5 offset0:32 offset1:48
	s_wait_dscnt 0x0
	v_dual_mul_f32 v30, v41, v35 :: v_dual_mul_f32 v31, v40, v35
	v_dual_fma_f32 v30, v40, v34, -v30 :: v_dual_fmac_f32 v31, v41, v34
	s_delay_alu instid0(VALU_DEP_1) | instskip(SKIP_1) | instid1(VALU_DEP_1)
	v_dual_add_f32 v50, v54, v30 :: v_dual_add_f32 v51, v55, v31
	v_dual_mul_f32 v30, v41, v37 :: v_dual_mul_f32 v31, v40, v37
	v_dual_fma_f32 v30, v40, v36, -v30 :: v_dual_fmac_f32 v31, v41, v36
	s_delay_alu instid0(VALU_DEP_1) | instskip(SKIP_1) | instid1(VALU_DEP_1)
	v_dual_add_f32 v38, v38, v30 :: v_dual_add_f32 v39, v39, v31
	;; [unrolled: 4-line block ×3, first 2 shown]
	v_dual_mul_f32 v30, v33, v37 :: v_dual_mul_f32 v31, v32, v37
	v_dual_fma_f32 v30, v32, v36, -v30 :: v_dual_fmac_f32 v31, v33, v36
	s_delay_alu instid0(VALU_DEP_1) | instskip(SKIP_3) | instid1(VALU_DEP_1)
	v_dual_add_f32 v22, v22, v30 :: v_dual_add_f32 v24, v24, v31
	ds_load_2addr_b64 v[30:33], v5 offset0:64 offset1:80
	s_wait_dscnt 0x0
	v_dual_mul_f32 v34, v43, v31 :: v_dual_mul_f32 v35, v42, v31
	v_dual_fma_f32 v34, v42, v30, -v34 :: v_dual_fmac_f32 v35, v43, v30
	s_delay_alu instid0(VALU_DEP_1) | instskip(SKIP_1) | instid1(VALU_DEP_1)
	v_dual_add_f32 v40, v50, v34 :: v_dual_add_f32 v41, v51, v35
	v_dual_mul_f32 v34, v43, v33 :: v_dual_mul_f32 v35, v42, v33
	v_dual_fma_f32 v34, v42, v32, -v34 :: v_dual_fmac_f32 v35, v43, v32
	s_delay_alu instid0(VALU_DEP_1) | instskip(SKIP_3) | instid1(VALU_DEP_1)
	v_dual_add_f32 v38, v38, v34 :: v_dual_add_f32 v39, v39, v35
	ds_load_b128 v[34:37], v29 offset:1040
	s_wait_dscnt 0x0
	v_dual_mul_f32 v42, v35, v31 :: v_dual_mul_f32 v31, v34, v31
	v_dual_fma_f32 v42, v34, v30, -v42 :: v_dual_fmac_f32 v31, v35, v30
	s_delay_alu instid0(VALU_DEP_1) | instskip(NEXT) | instid1(VALU_DEP_2)
	v_dual_mul_f32 v30, v35, v33 :: v_dual_add_f32 v26, v26, v42
	v_dual_add_f32 v28, v28, v31 :: v_dual_mul_f32 v31, v34, v33
	s_delay_alu instid0(VALU_DEP_1) | instskip(NEXT) | instid1(VALU_DEP_1)
	v_dual_fma_f32 v30, v34, v32, -v30 :: v_dual_fmac_f32 v31, v35, v32
	v_dual_add_f32 v22, v22, v30 :: v_dual_add_f32 v24, v24, v31
	ds_load_2addr_b64 v[30:33], v5 offset0:96 offset1:112
	s_wait_dscnt 0x0
	v_dual_mul_f32 v34, v45, v31 :: v_dual_mul_f32 v35, v44, v31
	s_delay_alu instid0(VALU_DEP_1) | instskip(NEXT) | instid1(VALU_DEP_1)
	v_dual_fma_f32 v34, v44, v30, -v34 :: v_dual_fmac_f32 v35, v45, v30
	v_dual_add_f32 v34, v40, v34 :: v_dual_add_f32 v35, v41, v35
	v_dual_mul_f32 v40, v45, v33 :: v_dual_mul_f32 v41, v44, v33
	s_delay_alu instid0(VALU_DEP_1) | instskip(NEXT) | instid1(VALU_DEP_1)
	v_dual_fma_f32 v40, v44, v32, -v40 :: v_dual_fmac_f32 v41, v45, v32
	v_dual_add_f32 v38, v38, v40 :: v_dual_add_f32 v39, v39, v41
	v_dual_mul_f32 v40, v37, v31 :: v_dual_mul_f32 v31, v36, v31
	s_delay_alu instid0(VALU_DEP_1) | instskip(NEXT) | instid1(VALU_DEP_1)
	v_dual_fma_f32 v40, v36, v30, -v40 :: v_dual_fmac_f32 v31, v37, v30
	v_dual_mul_f32 v30, v37, v33 :: v_dual_add_f32 v26, v26, v40
	s_delay_alu instid0(VALU_DEP_2) | instskip(NEXT) | instid1(VALU_DEP_2)
	v_add_f32_e32 v28, v28, v31
	v_dual_mul_f32 v31, v36, v33 :: v_dual_fma_f32 v30, v36, v32, -v30
	s_delay_alu instid0(VALU_DEP_1) | instskip(NEXT) | instid1(VALU_DEP_1)
	v_dual_fmac_f32 v31, v37, v32 :: v_dual_add_f32 v22, v22, v30
	v_add_f32_e32 v24, v24, v31
	ds_load_2addr_b64 v[30:33], v5 offset0:128 offset1:144
	s_wait_dscnt 0x0
	v_dual_mul_f32 v36, v47, v31 :: v_dual_mul_f32 v37, v46, v31
	s_delay_alu instid0(VALU_DEP_1) | instskip(NEXT) | instid1(VALU_DEP_1)
	v_dual_fma_f32 v36, v46, v30, -v36 :: v_dual_fmac_f32 v37, v47, v30
	v_dual_add_f32 v40, v34, v36 :: v_dual_add_f32 v41, v35, v37
	v_dual_mul_f32 v34, v47, v33 :: v_dual_mul_f32 v35, v46, v33
	s_delay_alu instid0(VALU_DEP_1) | instskip(NEXT) | instid1(VALU_DEP_1)
	v_dual_fma_f32 v34, v46, v32, -v34 :: v_dual_fmac_f32 v35, v47, v32
	v_dual_add_f32 v38, v38, v34 :: v_dual_add_f32 v39, v39, v35
	ds_load_b128 v[34:37], v29 offset:1056
	s_wait_dscnt 0x0
	v_dual_mul_f32 v42, v35, v31 :: v_dual_mul_f32 v31, v34, v31
	s_delay_alu instid0(VALU_DEP_1) | instskip(NEXT) | instid1(VALU_DEP_1)
	v_dual_fma_f32 v42, v34, v30, -v42 :: v_dual_fmac_f32 v31, v35, v30
	v_dual_mul_f32 v30, v35, v33 :: v_dual_add_f32 v26, v26, v42
	s_delay_alu instid0(VALU_DEP_2) | instskip(NEXT) | instid1(VALU_DEP_1)
	v_dual_add_f32 v28, v28, v31 :: v_dual_mul_f32 v31, v34, v33
	v_dual_fma_f32 v30, v34, v32, -v30 :: v_dual_fmac_f32 v31, v35, v32
	s_delay_alu instid0(VALU_DEP_1) | instskip(SKIP_3) | instid1(VALU_DEP_1)
	v_dual_add_f32 v22, v22, v30 :: v_dual_add_f32 v24, v24, v31
	ds_load_2addr_b64 v[30:33], v5 offset0:160 offset1:176
	s_wait_dscnt 0x0
	v_dual_mul_f32 v34, v49, v31 :: v_dual_mul_f32 v35, v48, v31
	v_dual_fma_f32 v34, v48, v30, -v34 :: v_dual_fmac_f32 v35, v49, v30
	s_delay_alu instid0(VALU_DEP_1) | instskip(SKIP_1) | instid1(VALU_DEP_1)
	v_dual_add_f32 v34, v40, v34 :: v_dual_add_f32 v35, v41, v35
	v_dual_mul_f32 v40, v49, v33 :: v_dual_mul_f32 v41, v48, v33
	v_dual_fma_f32 v40, v48, v32, -v40 :: v_dual_fmac_f32 v41, v49, v32
	s_delay_alu instid0(VALU_DEP_1) | instskip(SKIP_1) | instid1(VALU_DEP_1)
	v_dual_add_f32 v38, v38, v40 :: v_dual_add_f32 v39, v39, v41
	v_dual_mul_f32 v40, v37, v31 :: v_dual_mul_f32 v31, v36, v31
	v_dual_fma_f32 v40, v36, v30, -v40 :: v_dual_fmac_f32 v31, v37, v30
	s_delay_alu instid0(VALU_DEP_1) | instskip(NEXT) | instid1(VALU_DEP_2)
	v_dual_mul_f32 v30, v37, v33 :: v_dual_add_f32 v26, v26, v40
	v_add_f32_e32 v28, v28, v31
	s_delay_alu instid0(VALU_DEP_2) | instskip(NEXT) | instid1(VALU_DEP_1)
	v_dual_mul_f32 v31, v36, v33 :: v_dual_fma_f32 v30, v36, v32, -v30
	v_dual_fmac_f32 v31, v37, v32 :: v_dual_add_f32 v22, v22, v30
	s_delay_alu instid0(VALU_DEP_1) | instskip(SKIP_3) | instid1(VALU_DEP_1)
	v_add_f32_e32 v24, v24, v31
	ds_load_2addr_b64 v[30:33], v5 offset0:192 offset1:208
	s_wait_dscnt 0x0
	v_dual_mul_f32 v36, v1, v31 :: v_dual_mul_f32 v37, v0, v31
	v_dual_fma_f32 v36, v0, v30, -v36 :: v_dual_fmac_f32 v37, v1, v30
	s_delay_alu instid0(VALU_DEP_1) | instskip(SKIP_1) | instid1(VALU_DEP_1)
	v_dual_add_f32 v34, v34, v36 :: v_dual_add_f32 v35, v35, v37
	v_mul_f32_e32 v36, v1, v33
	v_dual_fma_f32 v36, v0, v32, -v36 :: v_dual_mul_f32 v0, v0, v33
	s_delay_alu instid0(VALU_DEP_1) | instskip(NEXT) | instid1(VALU_DEP_2)
	v_fmac_f32_e32 v0, v1, v32
	v_add_f32_e32 v1, v38, v36
	s_delay_alu instid0(VALU_DEP_2) | instskip(SKIP_3) | instid1(VALU_DEP_1)
	v_add_f32_e32 v0, v39, v0
	ds_load_b128 v[36:39], v29 offset:1072
	s_wait_dscnt 0x0
	v_dual_mul_f32 v40, v37, v31 :: v_dual_mul_f32 v31, v36, v31
	v_dual_fma_f32 v40, v36, v30, -v40 :: v_dual_fmac_f32 v31, v37, v30
	s_delay_alu instid0(VALU_DEP_1) | instskip(NEXT) | instid1(VALU_DEP_2)
	v_dual_mul_f32 v30, v37, v33 :: v_dual_add_f32 v26, v26, v40
	v_add_f32_e32 v28, v28, v31
	ds_load_2addr_b64 v[40:43], v5 offset0:224 offset1:240
	v_dual_mul_f32 v31, v36, v33 :: v_dual_fma_f32 v30, v36, v32, -v30
	s_wait_dscnt 0x0
	s_barrier_signal -1
	s_barrier_wait -1
	s_delay_alu instid0(VALU_DEP_1) | instskip(NEXT) | instid1(VALU_DEP_1)
	v_dual_fmac_f32 v31, v37, v32 :: v_dual_add_f32 v22, v22, v30
	v_dual_add_f32 v24, v24, v31 :: v_dual_mul_f32 v30, v3, v41
	s_delay_alu instid0(VALU_DEP_1) | instskip(NEXT) | instid1(VALU_DEP_1)
	v_dual_mul_f32 v31, v2, v41 :: v_dual_fma_f32 v30, v2, v40, -v30
	v_dual_fmac_f32 v31, v3, v40 :: v_dual_add_f32 v34, v34, v30
	s_delay_alu instid0(VALU_DEP_1) | instskip(SKIP_1) | instid1(VALU_DEP_1)
	v_add_f32_e32 v36, v35, v31
	v_mul_f32_e32 v30, v3, v43
	v_dual_fma_f32 v30, v2, v42, -v30 :: v_dual_mul_f32 v2, v2, v43
	s_delay_alu instid0(VALU_DEP_1) | instskip(NEXT) | instid1(VALU_DEP_1)
	v_fmac_f32_e32 v2, v3, v42
	v_dual_add_f32 v32, v0, v2 :: v_dual_mul_f32 v0, v39, v41
	s_delay_alu instid0(VALU_DEP_3) | instskip(NEXT) | instid1(VALU_DEP_1)
	v_dual_add_f32 v30, v1, v30 :: v_dual_mul_f32 v1, v38, v41
	v_dual_fma_f32 v0, v38, v40, -v0 :: v_dual_fmac_f32 v1, v39, v40
	s_delay_alu instid0(VALU_DEP_1) | instskip(NEXT) | instid1(VALU_DEP_2)
	v_dual_add_f32 v26, v26, v0 :: v_dual_mul_f32 v0, v39, v43
	v_dual_add_f32 v28, v28, v1 :: v_dual_mul_f32 v1, v38, v43
	s_delay_alu instid0(VALU_DEP_1) | instskip(NEXT) | instid1(VALU_DEP_1)
	v_dual_fma_f32 v0, v38, v42, -v0 :: v_dual_fmac_f32 v1, v39, v42
	v_dual_add_f32 v22, v22, v0 :: v_dual_add_f32 v24, v24, v1
	s_cbranch_scc0 .LBB85_13
.LBB85_9:                               ;   Parent Loop BB85_6 Depth=1
                                        ; =>  This Inner Loop Header: Depth=2
	v_dual_mov_b32 v1, 0 :: v_dual_add_nc_u32 v0, s14, v23
	s_delay_alu instid0(VALU_DEP_1) | instskip(SKIP_2) | instid1(SALU_CYCLE_1)
	v_cmp_gt_i32_e32 vcc_lo, s23, v0
	v_mov_b32_e32 v0, 0
	s_and_b32 s28, s0, vcc_lo
	s_and_saveexec_b32 s15, s28
	s_cbranch_execz .LBB85_11
; %bb.10:                               ;   in Loop: Header=BB85_9 Depth=2
	global_load_b64 v[0:1], v[18:19], off
.LBB85_11:                              ;   in Loop: Header=BB85_9 Depth=2
	s_wait_xcnt 0x0
	s_or_b32 exec_lo, exec_lo, s15
	v_dual_mov_b32 v3, 0 :: v_dual_add_nc_u32 v2, s14, v4
	s_wait_loadcnt 0x0
	ds_store_b64 v25, v[0:1]
	v_cmp_gt_i32_e32 vcc_lo, s23, v2
	v_mov_b32_e32 v2, 0
	s_and_b32 s28, vcc_lo, s1
	s_delay_alu instid0(SALU_CYCLE_1)
	s_and_saveexec_b32 s15, s28
	s_cbranch_execz .LBB85_8
; %bb.12:                               ;   in Loop: Header=BB85_9 Depth=2
	global_load_b64 v[2:3], v[20:21], off
	s_branch .LBB85_8
.LBB85_13:                              ;   in Loop: Header=BB85_6 Depth=1
	s_mul_u64 s[14:15], s[26:27], s[24:25]
	s_delay_alu instid0(SALU_CYCLE_1) | instskip(NEXT) | instid1(SALU_CYCLE_1)
	s_lshl_b64 s[14:15], s[14:15], 3
	s_add_nc_u64 s[14:15], s[16:17], s[14:15]
	s_delay_alu instid0(SALU_CYCLE_1)
	v_lshl_add_u64 v[0:1], v[10:11], 3, s[14:15]
	s_and_saveexec_b32 s28, s22
	s_cbranch_execz .LBB85_18
; %bb.14:                               ;   in Loop: Header=BB85_6 Depth=1
	v_mov_b64_e32 v[2:3], s[4:5]
	v_mov_b64_e32 v[18:19], s[10:11]
	s_and_b32 vcc_lo, exec_lo, s18
	s_mov_b32 s29, -1
	s_delay_alu instid0(VALU_DEP_2) | instskip(NEXT) | instid1(VALU_DEP_1)
	v_pk_mul_f32 v[2:3], v[36:37], v[2:3] op_sel_hi:[0,1]
	v_pk_fma_f32 v[20:21], v[34:35], v[18:19], v[2:3] op_sel_hi:[0,1,1]
	v_pk_fma_f32 v[2:3], v[34:35], v[18:19], v[2:3] neg_lo:[0,0,1] neg_hi:[0,0,1]
	v_lshl_add_u64 v[18:19], v[6:7], 3, v[0:1]
	s_delay_alu instid0(VALU_DEP_3)
	v_mov_b32_e32 v3, v21
	s_cbranch_vccz .LBB85_16
; %bb.15:                               ;   in Loop: Header=BB85_6 Depth=1
	global_load_b64 v[20:21], v[18:19], off
	v_mov_b64_e32 v[34:35], s[20:21]
	v_mov_b64_e32 v[36:37], s[2:3]
	s_mov_b32 s29, 0
	s_wait_loadcnt 0x0
	s_delay_alu instid0(VALU_DEP_2) | instskip(NEXT) | instid1(VALU_DEP_1)
	v_pk_mul_f32 v[34:35], v[20:21], v[34:35]
	v_pk_fma_f32 v[38:39], v[20:21], v[36:37], v[34:35] op_sel:[0,0,1] op_sel_hi:[1,1,0]
	v_pk_fma_f32 v[20:21], v[20:21], v[36:37], v[34:35] op_sel:[0,0,1] op_sel_hi:[1,1,0] neg_lo:[0,0,1] neg_hi:[0,0,1]
	s_delay_alu instid0(VALU_DEP_2) | instskip(NEXT) | instid1(VALU_DEP_1)
	v_mov_b32_e32 v21, v39
	v_pk_add_f32 v[20:21], v[2:3], v[20:21]
	global_store_b64 v[18:19], v[20:21], off
.LBB85_16:                              ;   in Loop: Header=BB85_6 Depth=1
	s_and_not1_b32 vcc_lo, exec_lo, s29
	s_cbranch_vccnz .LBB85_18
; %bb.17:                               ;   in Loop: Header=BB85_6 Depth=1
	global_store_b64 v[18:19], v[2:3], off
.LBB85_18:                              ;   in Loop: Header=BB85_6 Depth=1
	s_wait_xcnt 0x0
	s_or_b32 exec_lo, exec_lo, s28
	s_and_saveexec_b32 s28, s30
	s_cbranch_execz .LBB85_23
; %bb.19:                               ;   in Loop: Header=BB85_6 Depth=1
	v_mov_b64_e32 v[2:3], s[4:5]
	v_mov_b64_e32 v[18:19], s[10:11]
	v_lshl_add_u64 v[0:1], v[8:9], 3, v[0:1]
	s_and_not1_b32 vcc_lo, exec_lo, s18
	s_mov_b32 s29, -1
	s_delay_alu instid0(VALU_DEP_3) | instskip(NEXT) | instid1(VALU_DEP_1)
	v_pk_mul_f32 v[2:3], v[32:33], v[2:3] op_sel_hi:[0,1]
	v_pk_fma_f32 v[20:21], v[30:31], v[18:19], v[2:3] op_sel_hi:[0,1,1]
	v_pk_fma_f32 v[2:3], v[30:31], v[18:19], v[2:3] neg_lo:[0,0,1] neg_hi:[0,0,1]
	s_delay_alu instid0(VALU_DEP_2)
	v_mov_b32_e32 v3, v21
	s_cbranch_vccnz .LBB85_21
; %bb.20:                               ;   in Loop: Header=BB85_6 Depth=1
	global_load_b64 v[18:19], v[0:1], off
	v_mov_b64_e32 v[20:21], s[20:21]
	v_mov_b64_e32 v[30:31], s[2:3]
	s_mov_b32 s29, 0
	s_wait_loadcnt 0x0
	s_delay_alu instid0(VALU_DEP_2) | instskip(NEXT) | instid1(VALU_DEP_1)
	v_pk_mul_f32 v[20:21], v[18:19], v[20:21]
	v_pk_fma_f32 v[32:33], v[18:19], v[30:31], v[20:21] op_sel:[0,0,1] op_sel_hi:[1,1,0]
	v_pk_fma_f32 v[18:19], v[18:19], v[30:31], v[20:21] op_sel:[0,0,1] op_sel_hi:[1,1,0] neg_lo:[0,0,1] neg_hi:[0,0,1]
	s_delay_alu instid0(VALU_DEP_2) | instskip(NEXT) | instid1(VALU_DEP_1)
	v_mov_b32_e32 v19, v33
	v_pk_add_f32 v[18:19], v[2:3], v[18:19]
	global_store_b64 v[0:1], v[18:19], off
.LBB85_21:                              ;   in Loop: Header=BB85_6 Depth=1
	s_and_not1_b32 vcc_lo, exec_lo, s29
	s_cbranch_vccnz .LBB85_23
; %bb.22:                               ;   in Loop: Header=BB85_6 Depth=1
	global_store_b64 v[0:1], v[2:3], off
.LBB85_23:                              ;   in Loop: Header=BB85_6 Depth=1
	s_wait_xcnt 0x0
	s_or_b32 exec_lo, exec_lo, s28
	v_lshl_add_u64 v[0:1], v[12:13], 3, s[14:15]
	s_and_saveexec_b32 s14, s31
	s_cbranch_execz .LBB85_28
; %bb.24:                               ;   in Loop: Header=BB85_6 Depth=1
	v_mov_b64_e32 v[2:3], s[4:5]
	v_mov_b64_e32 v[18:19], s[10:11]
	s_and_not1_b32 vcc_lo, exec_lo, s18
	s_mov_b32 s15, -1
	s_delay_alu instid0(VALU_DEP_2) | instskip(NEXT) | instid1(VALU_DEP_1)
	v_pk_mul_f32 v[2:3], v[28:29], v[2:3] op_sel_hi:[0,1]
	v_pk_fma_f32 v[20:21], v[26:27], v[18:19], v[2:3] op_sel_hi:[0,1,1]
	v_pk_fma_f32 v[2:3], v[26:27], v[18:19], v[2:3] neg_lo:[0,0,1] neg_hi:[0,0,1]
	v_lshl_add_u64 v[18:19], v[6:7], 3, v[0:1]
	s_delay_alu instid0(VALU_DEP_3)
	v_mov_b32_e32 v3, v21
	s_cbranch_vccnz .LBB85_26
; %bb.25:                               ;   in Loop: Header=BB85_6 Depth=1
	global_load_b64 v[20:21], v[18:19], off
	v_mov_b64_e32 v[30:31], s[20:21]
	v_mov_b64_e32 v[32:33], s[2:3]
	s_mov_b32 s15, 0
	s_wait_loadcnt 0x0
	s_delay_alu instid0(VALU_DEP_2) | instskip(NEXT) | instid1(VALU_DEP_1)
	v_pk_mul_f32 v[30:31], v[20:21], v[30:31]
	v_pk_fma_f32 v[34:35], v[20:21], v[32:33], v[30:31] op_sel:[0,0,1] op_sel_hi:[1,1,0]
	v_pk_fma_f32 v[20:21], v[20:21], v[32:33], v[30:31] op_sel:[0,0,1] op_sel_hi:[1,1,0] neg_lo:[0,0,1] neg_hi:[0,0,1]
	s_delay_alu instid0(VALU_DEP_2) | instskip(NEXT) | instid1(VALU_DEP_1)
	v_mov_b32_e32 v21, v35
	v_pk_add_f32 v[20:21], v[2:3], v[20:21]
	global_store_b64 v[18:19], v[20:21], off
.LBB85_26:                              ;   in Loop: Header=BB85_6 Depth=1
	s_and_not1_b32 vcc_lo, exec_lo, s15
	s_cbranch_vccnz .LBB85_28
; %bb.27:                               ;   in Loop: Header=BB85_6 Depth=1
	global_store_b64 v[18:19], v[2:3], off
.LBB85_28:                              ;   in Loop: Header=BB85_6 Depth=1
	s_wait_xcnt 0x0
	s_or_b32 exec_lo, exec_lo, s14
	s_and_saveexec_b32 s14, s33
	s_cbranch_execz .LBB85_5
; %bb.29:                               ;   in Loop: Header=BB85_6 Depth=1
	v_mov_b64_e32 v[2:3], s[4:5]
	v_mov_b64_e32 v[18:19], s[10:11]
	v_lshl_add_u64 v[0:1], v[8:9], 3, v[0:1]
	s_and_not1_b32 vcc_lo, exec_lo, s18
	s_mov_b32 s15, -1
	s_delay_alu instid0(VALU_DEP_3) | instskip(NEXT) | instid1(VALU_DEP_1)
	v_pk_mul_f32 v[2:3], v[24:25], v[2:3] op_sel_hi:[0,1]
	v_pk_fma_f32 v[20:21], v[22:23], v[18:19], v[2:3] op_sel_hi:[0,1,1]
	v_pk_fma_f32 v[2:3], v[22:23], v[18:19], v[2:3] neg_lo:[0,0,1] neg_hi:[0,0,1]
	s_delay_alu instid0(VALU_DEP_2)
	v_mov_b32_e32 v3, v21
	s_cbranch_vccnz .LBB85_31
; %bb.30:                               ;   in Loop: Header=BB85_6 Depth=1
	global_load_b64 v[18:19], v[0:1], off
	v_mov_b64_e32 v[20:21], s[20:21]
	v_mov_b64_e32 v[30:31], s[2:3]
	s_mov_b32 s15, 0
	s_wait_loadcnt 0x0
	s_delay_alu instid0(VALU_DEP_2) | instskip(NEXT) | instid1(VALU_DEP_1)
	v_pk_mul_f32 v[20:21], v[18:19], v[20:21]
	v_pk_fma_f32 v[32:33], v[18:19], v[30:31], v[20:21] op_sel:[0,0,1] op_sel_hi:[1,1,0]
	v_pk_fma_f32 v[18:19], v[18:19], v[30:31], v[20:21] op_sel:[0,0,1] op_sel_hi:[1,1,0] neg_lo:[0,0,1] neg_hi:[0,0,1]
	s_delay_alu instid0(VALU_DEP_2) | instskip(NEXT) | instid1(VALU_DEP_1)
	v_mov_b32_e32 v19, v33
	v_pk_add_f32 v[18:19], v[2:3], v[18:19]
	global_store_b64 v[0:1], v[18:19], off
.LBB85_31:                              ;   in Loop: Header=BB85_6 Depth=1
	s_and_not1_b32 vcc_lo, exec_lo, s15
	s_cbranch_vccnz .LBB85_5
; %bb.32:                               ;   in Loop: Header=BB85_6 Depth=1
	global_store_b64 v[0:1], v[2:3], off
	s_branch .LBB85_5
.LBB85_33:
	s_endpgm
	.section	.rodata,"a",@progbits
	.p2align	6, 0x0
	.amdhsa_kernel _ZL29rocblas_internal_gemmt_kernelIiLi16ELi32ELi8ELc84ELc84ELc76ELb0ELb0E19rocblas_complex_numIfEPKS1_S3_PS1_EviT_T9_T10_S5_lS7_S5_lS6_T11_S5_li
		.amdhsa_group_segment_fixed_size 4096
		.amdhsa_private_segment_fixed_size 0
		.amdhsa_kernarg_size 100
		.amdhsa_user_sgpr_count 2
		.amdhsa_user_sgpr_dispatch_ptr 0
		.amdhsa_user_sgpr_queue_ptr 0
		.amdhsa_user_sgpr_kernarg_segment_ptr 1
		.amdhsa_user_sgpr_dispatch_id 0
		.amdhsa_user_sgpr_kernarg_preload_length 0
		.amdhsa_user_sgpr_kernarg_preload_offset 0
		.amdhsa_user_sgpr_private_segment_size 0
		.amdhsa_wavefront_size32 1
		.amdhsa_uses_dynamic_stack 0
		.amdhsa_enable_private_segment 0
		.amdhsa_system_sgpr_workgroup_id_x 1
		.amdhsa_system_sgpr_workgroup_id_y 1
		.amdhsa_system_sgpr_workgroup_id_z 1
		.amdhsa_system_sgpr_workgroup_info 0
		.amdhsa_system_vgpr_workitem_id 1
		.amdhsa_next_free_vgpr 56
		.amdhsa_next_free_sgpr 36
		.amdhsa_named_barrier_count 0
		.amdhsa_reserve_vcc 1
		.amdhsa_float_round_mode_32 0
		.amdhsa_float_round_mode_16_64 0
		.amdhsa_float_denorm_mode_32 3
		.amdhsa_float_denorm_mode_16_64 3
		.amdhsa_fp16_overflow 0
		.amdhsa_memory_ordered 1
		.amdhsa_forward_progress 1
		.amdhsa_inst_pref_size 25
		.amdhsa_round_robin_scheduling 0
		.amdhsa_exception_fp_ieee_invalid_op 0
		.amdhsa_exception_fp_denorm_src 0
		.amdhsa_exception_fp_ieee_div_zero 0
		.amdhsa_exception_fp_ieee_overflow 0
		.amdhsa_exception_fp_ieee_underflow 0
		.amdhsa_exception_fp_ieee_inexact 0
		.amdhsa_exception_int_div_zero 0
	.end_amdhsa_kernel
	.section	.text._ZL29rocblas_internal_gemmt_kernelIiLi16ELi32ELi8ELc84ELc84ELc76ELb0ELb0E19rocblas_complex_numIfEPKS1_S3_PS1_EviT_T9_T10_S5_lS7_S5_lS6_T11_S5_li,"axG",@progbits,_ZL29rocblas_internal_gemmt_kernelIiLi16ELi32ELi8ELc84ELc84ELc76ELb0ELb0E19rocblas_complex_numIfEPKS1_S3_PS1_EviT_T9_T10_S5_lS7_S5_lS6_T11_S5_li,comdat
.Lfunc_end85:
	.size	_ZL29rocblas_internal_gemmt_kernelIiLi16ELi32ELi8ELc84ELc84ELc76ELb0ELb0E19rocblas_complex_numIfEPKS1_S3_PS1_EviT_T9_T10_S5_lS7_S5_lS6_T11_S5_li, .Lfunc_end85-_ZL29rocblas_internal_gemmt_kernelIiLi16ELi32ELi8ELc84ELc84ELc76ELb0ELb0E19rocblas_complex_numIfEPKS1_S3_PS1_EviT_T9_T10_S5_lS7_S5_lS6_T11_S5_li
                                        ; -- End function
	.set _ZL29rocblas_internal_gemmt_kernelIiLi16ELi32ELi8ELc84ELc84ELc76ELb0ELb0E19rocblas_complex_numIfEPKS1_S3_PS1_EviT_T9_T10_S5_lS7_S5_lS6_T11_S5_li.num_vgpr, 56
	.set _ZL29rocblas_internal_gemmt_kernelIiLi16ELi32ELi8ELc84ELc84ELc76ELb0ELb0E19rocblas_complex_numIfEPKS1_S3_PS1_EviT_T9_T10_S5_lS7_S5_lS6_T11_S5_li.num_agpr, 0
	.set _ZL29rocblas_internal_gemmt_kernelIiLi16ELi32ELi8ELc84ELc84ELc76ELb0ELb0E19rocblas_complex_numIfEPKS1_S3_PS1_EviT_T9_T10_S5_lS7_S5_lS6_T11_S5_li.numbered_sgpr, 36
	.set _ZL29rocblas_internal_gemmt_kernelIiLi16ELi32ELi8ELc84ELc84ELc76ELb0ELb0E19rocblas_complex_numIfEPKS1_S3_PS1_EviT_T9_T10_S5_lS7_S5_lS6_T11_S5_li.num_named_barrier, 0
	.set _ZL29rocblas_internal_gemmt_kernelIiLi16ELi32ELi8ELc84ELc84ELc76ELb0ELb0E19rocblas_complex_numIfEPKS1_S3_PS1_EviT_T9_T10_S5_lS7_S5_lS6_T11_S5_li.private_seg_size, 0
	.set _ZL29rocblas_internal_gemmt_kernelIiLi16ELi32ELi8ELc84ELc84ELc76ELb0ELb0E19rocblas_complex_numIfEPKS1_S3_PS1_EviT_T9_T10_S5_lS7_S5_lS6_T11_S5_li.uses_vcc, 1
	.set _ZL29rocblas_internal_gemmt_kernelIiLi16ELi32ELi8ELc84ELc84ELc76ELb0ELb0E19rocblas_complex_numIfEPKS1_S3_PS1_EviT_T9_T10_S5_lS7_S5_lS6_T11_S5_li.uses_flat_scratch, 0
	.set _ZL29rocblas_internal_gemmt_kernelIiLi16ELi32ELi8ELc84ELc84ELc76ELb0ELb0E19rocblas_complex_numIfEPKS1_S3_PS1_EviT_T9_T10_S5_lS7_S5_lS6_T11_S5_li.has_dyn_sized_stack, 0
	.set _ZL29rocblas_internal_gemmt_kernelIiLi16ELi32ELi8ELc84ELc84ELc76ELb0ELb0E19rocblas_complex_numIfEPKS1_S3_PS1_EviT_T9_T10_S5_lS7_S5_lS6_T11_S5_li.has_recursion, 0
	.set _ZL29rocblas_internal_gemmt_kernelIiLi16ELi32ELi8ELc84ELc84ELc76ELb0ELb0E19rocblas_complex_numIfEPKS1_S3_PS1_EviT_T9_T10_S5_lS7_S5_lS6_T11_S5_li.has_indirect_call, 0
	.section	.AMDGPU.csdata,"",@progbits
; Kernel info:
; codeLenInByte = 3184
; TotalNumSgprs: 38
; NumVgprs: 56
; ScratchSize: 0
; MemoryBound: 0
; FloatMode: 240
; IeeeMode: 1
; LDSByteSize: 4096 bytes/workgroup (compile time only)
; SGPRBlocks: 0
; VGPRBlocks: 3
; NumSGPRsForWavesPerEU: 38
; NumVGPRsForWavesPerEU: 56
; NamedBarCnt: 0
; Occupancy: 16
; WaveLimiterHint : 0
; COMPUTE_PGM_RSRC2:SCRATCH_EN: 0
; COMPUTE_PGM_RSRC2:USER_SGPR: 2
; COMPUTE_PGM_RSRC2:TRAP_HANDLER: 0
; COMPUTE_PGM_RSRC2:TGID_X_EN: 1
; COMPUTE_PGM_RSRC2:TGID_Y_EN: 1
; COMPUTE_PGM_RSRC2:TGID_Z_EN: 1
; COMPUTE_PGM_RSRC2:TIDIG_COMP_CNT: 1
	.section	.text._ZL29rocblas_internal_gemmt_kernelIiLi16ELi32ELi8ELc84ELc67ELc76ELb0ELb1E19rocblas_complex_numIfEPKS1_S3_PS1_EviT_T9_T10_S5_lS7_S5_lS6_T11_S5_li,"axG",@progbits,_ZL29rocblas_internal_gemmt_kernelIiLi16ELi32ELi8ELc84ELc67ELc76ELb0ELb1E19rocblas_complex_numIfEPKS1_S3_PS1_EviT_T9_T10_S5_lS7_S5_lS6_T11_S5_li,comdat
	.globl	_ZL29rocblas_internal_gemmt_kernelIiLi16ELi32ELi8ELc84ELc67ELc76ELb0ELb1E19rocblas_complex_numIfEPKS1_S3_PS1_EviT_T9_T10_S5_lS7_S5_lS6_T11_S5_li ; -- Begin function _ZL29rocblas_internal_gemmt_kernelIiLi16ELi32ELi8ELc84ELc67ELc76ELb0ELb1E19rocblas_complex_numIfEPKS1_S3_PS1_EviT_T9_T10_S5_lS7_S5_lS6_T11_S5_li
	.p2align	8
	.type	_ZL29rocblas_internal_gemmt_kernelIiLi16ELi32ELi8ELc84ELc67ELc76ELb0ELb1E19rocblas_complex_numIfEPKS1_S3_PS1_EviT_T9_T10_S5_lS7_S5_lS6_T11_S5_li,@function
_ZL29rocblas_internal_gemmt_kernelIiLi16ELi32ELi8ELc84ELc67ELc76ELb0ELb1E19rocblas_complex_numIfEPKS1_S3_PS1_EviT_T9_T10_S5_lS7_S5_lS6_T11_S5_li: ; @_ZL29rocblas_internal_gemmt_kernelIiLi16ELi32ELi8ELc84ELc67ELc76ELb0ELb1E19rocblas_complex_numIfEPKS1_S3_PS1_EviT_T9_T10_S5_lS7_S5_lS6_T11_S5_li
; %bb.0:
	s_load_b128 s[8:11], s[0:1], 0x38
	s_wait_kmcnt 0x0
	s_load_b64 s[20:21], s[10:11], 0x0
	s_clause 0x1
	s_load_b128 s[4:7], s[0:1], 0x8
	s_load_b64 s[22:23], s[0:1], 0x0
	s_wait_kmcnt 0x0
	s_cmp_neq_f32 s20, 1.0
	s_load_b64 s[10:11], s[4:5], 0x0
	s_cselect_b32 s2, -1, 0
	s_and_b32 s3, s21, 0x7fffffff
	s_delay_alu instid0(SALU_CYCLE_1) | instskip(SKIP_3) | instid1(SALU_CYCLE_1)
	s_cmp_eq_u32 s3, 0
	s_cselect_b32 s30, -1, 0
	s_cmp_lg_u32 s3, 0
	s_cselect_b32 s3, -1, 0
	s_or_b32 s2, s2, s3
	s_delay_alu instid0(SALU_CYCLE_1)
	s_and_b32 vcc_lo, exec_lo, s2
	s_cbranch_vccnz .LBB86_2
; %bb.1:
	s_cmp_lg_u32 s23, 0
	s_cselect_b32 s2, -1, 0
	s_wait_kmcnt 0x0
	s_cmp_neq_f32 s10, 0
	s_cselect_b32 s3, -1, 0
	s_cmp_neq_f32 s11, 0
	s_cselect_b32 s4, -1, 0
	s_delay_alu instid0(SALU_CYCLE_1) | instskip(NEXT) | instid1(SALU_CYCLE_1)
	s_or_b32 s3, s3, s4
	s_and_b32 s2, s2, s3
.LBB86_2:
	s_delay_alu instid0(SALU_CYCLE_1)
	s_and_not1_b32 vcc_lo, exec_lo, s2
	s_cbranch_vccnz .LBB86_35
; %bb.3:
	s_load_b32 s19, s[0:1], 0x60
	s_bfe_u32 s2, ttmp6, 0x40014
	s_lshr_b32 s3, ttmp7, 16
	s_add_co_i32 s2, s2, 1
	s_wait_xcnt 0x0
	s_bfe_u32 s5, ttmp6, 0x40008
	s_mul_i32 s2, s3, s2
	s_getreg_b32 s4, hwreg(HW_REG_IB_STS2, 6, 4)
	s_add_co_i32 s5, s5, s2
	s_cmp_eq_u32 s4, 0
	s_mov_b32 s25, 0
	s_cselect_b32 s24, s3, s5
	s_wait_kmcnt 0x0
	s_cmp_ge_u32 s24, s19
	s_cbranch_scc1 .LBB86_35
; %bb.4:
	s_clause 0x3
	s_load_b32 s2, s[0:1], 0x18
	s_load_b32 s28, s[0:1], 0x30
	s_load_b96 s[16:18], s[0:1], 0x48
	s_load_b128 s[12:15], s[0:1], 0x20
	v_and_b32_e32 v6, 0x3ff, v0
	v_bfe_u32 v9, v0, 10, 10
	s_load_b64 s[26:27], s[0:1], 0x58
	s_wait_xcnt 0x0
	s_bfe_u32 s1, ttmp6, 0x4000c
	s_bfe_u32 s3, ttmp6, 0x40010
	s_and_b32 s31, ttmp7, 0xffff
	v_lshl_add_u32 v1, v9, 4, v6
	s_add_co_i32 s1, s1, 1
	s_add_co_i32 s3, s3, 1
	s_and_b32 s0, ttmp6, 15
	s_bfe_u32 s33, ttmp6, 0x40004
	s_mul_i32 s1, ttmp9, s1
	s_mul_i32 s34, s31, s3
	s_add_co_i32 s0, s0, s1
	s_add_co_i32 s33, s33, s34
	v_dual_lshrrev_b32 v25, 5, v1 :: v_dual_bitop2_b32 v4, 7, v0 bitop3:0x40
	s_wait_kmcnt 0x0
	s_ashr_i32 s3, s2, 31
	s_ashr_i32 s29, s28, 31
	;; [unrolled: 1-line block ×3, first 2 shown]
	v_dual_mov_b32 v7, 0 :: v_dual_lshlrev_b32 v8, 3, v4
	s_cmp_eq_u32 s4, 0
	v_dual_lshrrev_b32 v1, 3, v1 :: v_dual_bitop2_b32 v3, 31, v1 bitop3:0x40
	s_cselect_b32 s0, ttmp9, s0
	s_cselect_b32 s1, s31, s33
	s_lshl_b32 s31, s0, 5
	v_mov_b32_e32 v5, v7
	s_lshl_b32 s1, s1, 5
	s_cmp_neq_f32 s10, 0
	v_dual_add_nc_u32 v2, s1, v1 :: v_dual_bitop2_b32 v0, s31, v3 bitop3:0x54
	v_lshlrev_b32_e32 v3, 3, v3
	v_mul_u64_e32 v[16:17], s[28:29], v[4:5]
	s_cselect_b32 s0, -1, 0
	s_cmp_neq_f32 s11, 0
	v_lshl_or_b32 v8, v1, 6, v8
	v_dual_ashrrev_i32 v1, 31, v0 :: v_dual_add_nc_u32 v18, s1, v9
	s_mov_b32 s4, s18
	s_cselect_b32 s18, -1, 0
	v_lshl_or_b32 v5, v25, 8, v3
	s_or_b32 s33, s0, s18
	v_cmp_gt_i32_e64 s0, s22, v0
	v_mul_u64_e32 v[0:1], s[2:3], v[0:1]
	v_dual_add_nc_u32 v20, 16, v18 :: v_dual_ashrrev_i32 v19, 31, v18
	v_ashrrev_i32_e32 v3, 31, v2
	v_add_nc_u32_e32 v27, 0x800, v8
	v_dual_lshlrev_b32 v29, 3, v6 :: v_dual_add_nc_u32 v8, s31, v6
	s_delay_alu instid0(VALU_DEP_4)
	v_ashrrev_i32_e32 v21, 31, v20
	v_mul_u64_e32 v[10:11], s[4:5], v[18:19]
	v_cmp_gt_i32_e32 vcc_lo, s22, v2
	v_lshlrev_b64_e32 v[2:3], 3, v[2:3]
	v_add_nc_u32_e32 v12, 16, v8
	v_mul_u64_e32 v[14:15], s[4:5], v[20:21]
	v_lshl_add_u32 v31, v9, 6, 0x800
	v_dual_ashrrev_i32 v9, 31, v8 :: v_dual_lshlrev_b32 v6, 3, v25
	s_delay_alu instid0(VALU_DEP_4)
	v_ashrrev_i32_e32 v13, 31, v12
	s_cmp_gt_i32 s23, 0
	v_cmp_le_i32_e64 s1, v18, v8
	v_cmp_gt_i32_e64 s2, s22, v8
	v_cmp_le_i32_e64 s3, v18, v12
	v_lshl_add_u64 v[2:3], v[16:17], 3, v[2:3]
	v_cmp_gt_i32_e64 s4, s22, v12
	s_cselect_b32 s34, -1, 0
	s_cmp_neq_f32 s20, 0
	v_add_nc_u64_e32 v[2:3], s[14:15], v[2:3]
	s_cselect_b32 s18, -1, 0
	s_xor_b32 s5, s30, -1
	s_and_b32 s22, s1, s2
	s_and_b32 s30, s3, s4
	v_lshl_add_u64 v[0:1], v[0:1], 3, v[6:7]
	v_cmp_le_i32_e64 s1, v20, v8
	v_cmp_le_i32_e64 s3, v20, v12
	v_add_nc_u64_e32 v[18:19], 4, v[2:3]
	s_or_b32 s18, s18, s5
	v_add_nc_u64_e32 v[16:17], s[6:7], v[0:1]
	s_and_b32 s1, s1, s2
	s_and_b32 s31, s3, s4
	s_mov_b32 s2, s20
	s_mov_b32 s3, s20
	;; [unrolled: 1-line block ×5, first 2 shown]
	s_lshl_b64 s[6:7], s[12:13], 3
	s_and_b32 s33, s33, s34
	s_lshl_b64 s[8:9], s[8:9], 3
	s_lshl_b64 s[12:13], s[28:29], 6
	s_xor_b32 s28, vcc_lo, -1
	s_branch .LBB86_6
.LBB86_5:                               ;   in Loop: Header=BB86_6 Depth=1
	s_wait_xcnt 0x0
	s_or_b32 exec_lo, exec_lo, s14
	s_add_co_i32 s24, s24, 0x10000
	s_delay_alu instid0(SALU_CYCLE_1)
	s_cmp_lt_u32 s24, s19
	s_cbranch_scc0 .LBB86_35
.LBB86_6:                               ; =>This Loop Header: Depth=1
                                        ;     Child Loop BB86_9 Depth 2
	v_dual_mov_b32 v34, 0 :: v_dual_mov_b32 v36, 0
	v_dual_mov_b32 v30, 0 :: v_dual_mov_b32 v32, 0
	;; [unrolled: 1-line block ×4, first 2 shown]
	s_and_not1_b32 vcc_lo, exec_lo, s33
	s_cbranch_vccnz .LBB86_15
; %bb.7:                                ;   in Loop: Header=BB86_6 Depth=1
	v_mad_nc_u64_u32 v[20:21], s6, s24, v[16:17]
	v_mad_nc_u64_u32 v[22:23], s8, s24, v[18:19]
	v_dual_mov_b32 v24, 0 :: v_dual_mov_b32 v6, 0
	v_dual_mov_b32 v28, 0 :: v_dual_mov_b32 v26, 0
	;; [unrolled: 1-line block ×4, first 2 shown]
	s_mov_b32 s14, 0
	v_mad_u32 v21, s7, s24, v21
	v_mad_u32 v23, s9, s24, v23
	s_branch .LBB86_9
.LBB86_8:                               ;   in Loop: Header=BB86_9 Depth=2
	s_wait_xcnt 0x0
	s_or_b32 exec_lo, exec_lo, s15
	ds_store_b32 v27, v0 offset:4
	s_wait_dscnt 0x0
	s_barrier_signal -1
	s_barrier_wait -1
	ds_load_b128 v[38:41], v31
	ds_load_b128 v[42:45], v31 offset:16
	ds_load_b128 v[46:49], v31 offset:32
	;; [unrolled: 1-line block ×3, first 2 shown]
	ds_load_2addr_b64 v[50:53], v29 offset1:16
	v_add_nc_u64_e32 v[20:21], 64, v[20:21]
	v_add_nc_u64_e32 v[22:23], s[12:13], v[22:23]
	s_add_co_i32 s14, s14, 8
	s_delay_alu instid0(SALU_CYCLE_1) | instskip(SKIP_2) | instid1(VALU_DEP_1)
	s_cmp_lt_i32 s14, s23
	s_wait_dscnt 0x0
	v_dual_mul_f32 v33, v39, v51 :: v_dual_mul_f32 v35, v38, v51
	v_dual_fma_f32 v33, v38, v50, -v33 :: v_dual_fmac_f32 v35, v39, v50
	s_delay_alu instid0(VALU_DEP_1) | instskip(SKIP_1) | instid1(VALU_DEP_1)
	v_dual_add_f32 v54, v34, v33 :: v_dual_add_f32 v55, v36, v35
	v_dual_mul_f32 v33, v39, v53 :: v_dual_mul_f32 v34, v38, v53
	v_dual_fma_f32 v33, v38, v52, -v33 :: v_dual_fmac_f32 v34, v39, v52
	s_delay_alu instid0(VALU_DEP_1) | instskip(SKIP_3) | instid1(VALU_DEP_1)
	v_dual_add_f32 v30, v30, v33 :: v_dual_add_f32 v56, v32, v34
	ds_load_b128 v[32:35], v31 offset:1024
	s_wait_dscnt 0x0
	v_dual_mul_f32 v36, v33, v51 :: v_dual_mul_f32 v37, v32, v51
	v_dual_fma_f32 v36, v32, v50, -v36 :: v_dual_fmac_f32 v37, v33, v50
	s_delay_alu instid0(VALU_DEP_1) | instskip(SKIP_1) | instid1(VALU_DEP_1)
	v_dual_add_f32 v26, v26, v36 :: v_dual_add_f32 v28, v28, v37
	v_mul_f32_e32 v36, v33, v53
	v_dual_fma_f32 v36, v32, v52, -v36 :: v_dual_mul_f32 v32, v32, v53
	s_delay_alu instid0(VALU_DEP_1) | instskip(SKIP_3) | instid1(VALU_DEP_1)
	v_add_f32_e32 v6, v6, v36
	ds_load_2addr_b64 v[36:39], v29 offset0:32 offset1:48
	s_wait_dscnt 0x0
	v_dual_fmac_f32 v32, v33, v52 :: v_dual_mul_f32 v33, v40, v37
	v_dual_add_f32 v24, v24, v32 :: v_dual_mul_f32 v32, v41, v37
	s_delay_alu instid0(VALU_DEP_1) | instskip(NEXT) | instid1(VALU_DEP_1)
	v_dual_fmac_f32 v33, v41, v36 :: v_dual_fma_f32 v32, v40, v36, -v32
	v_dual_add_f32 v50, v54, v32 :: v_dual_mul_f32 v32, v41, v39
	s_delay_alu instid0(VALU_DEP_1) | instskip(NEXT) | instid1(VALU_DEP_1)
	v_dual_add_f32 v51, v55, v33 :: v_dual_fma_f32 v32, v40, v38, -v32
	v_dual_mul_f32 v33, v40, v39 :: v_dual_add_f32 v30, v30, v32
	s_delay_alu instid0(VALU_DEP_1) | instskip(NEXT) | instid1(VALU_DEP_1)
	v_dual_fmac_f32 v33, v41, v38 :: v_dual_mul_f32 v32, v35, v37
	v_dual_add_f32 v40, v56, v33 :: v_dual_fma_f32 v32, v34, v36, -v32
	v_mul_f32_e32 v33, v34, v37
	s_delay_alu instid0(VALU_DEP_2) | instskip(NEXT) | instid1(VALU_DEP_1)
	v_dual_add_f32 v26, v26, v32 :: v_dual_mul_f32 v32, v35, v39
	v_dual_fmac_f32 v33, v35, v36 :: v_dual_fma_f32 v32, v34, v38, -v32
	s_delay_alu instid0(VALU_DEP_1) | instskip(NEXT) | instid1(VALU_DEP_1)
	v_dual_add_f32 v28, v28, v33 :: v_dual_mul_f32 v33, v34, v39
	v_dual_add_f32 v6, v6, v32 :: v_dual_fmac_f32 v33, v35, v38
	s_delay_alu instid0(VALU_DEP_1) | instskip(SKIP_3) | instid1(VALU_DEP_1)
	v_add_f32_e32 v24, v24, v33
	ds_load_2addr_b64 v[32:35], v29 offset0:64 offset1:80
	s_wait_dscnt 0x0
	v_dual_mul_f32 v36, v43, v33 :: v_dual_mul_f32 v37, v42, v33
	v_dual_fma_f32 v36, v42, v32, -v36 :: v_dual_fmac_f32 v37, v43, v32
	s_delay_alu instid0(VALU_DEP_1) | instskip(SKIP_1) | instid1(VALU_DEP_1)
	v_dual_add_f32 v41, v50, v36 :: v_dual_add_f32 v50, v51, v37
	v_dual_mul_f32 v36, v43, v35 :: v_dual_mul_f32 v37, v42, v35
	v_dual_fma_f32 v36, v42, v34, -v36 :: v_dual_fmac_f32 v37, v43, v34
	s_delay_alu instid0(VALU_DEP_1) | instskip(SKIP_3) | instid1(VALU_DEP_1)
	v_dual_add_f32 v30, v30, v36 :: v_dual_add_f32 v40, v40, v37
	ds_load_b128 v[36:39], v31 offset:1040
	s_wait_dscnt 0x0
	v_dual_mul_f32 v42, v37, v33 :: v_dual_mul_f32 v33, v36, v33
	v_dual_fma_f32 v42, v36, v32, -v42 :: v_dual_fmac_f32 v33, v37, v32
	s_delay_alu instid0(VALU_DEP_1) | instskip(NEXT) | instid1(VALU_DEP_2)
	v_dual_mul_f32 v32, v37, v35 :: v_dual_add_f32 v26, v26, v42
	v_add_f32_e32 v28, v28, v33
	s_delay_alu instid0(VALU_DEP_2) | instskip(NEXT) | instid1(VALU_DEP_1)
	v_dual_mul_f32 v33, v36, v35 :: v_dual_fma_f32 v32, v36, v34, -v32
	v_dual_fmac_f32 v33, v37, v34 :: v_dual_add_f32 v6, v6, v32
	s_delay_alu instid0(VALU_DEP_1) | instskip(SKIP_3) | instid1(VALU_DEP_1)
	v_add_f32_e32 v24, v24, v33
	ds_load_2addr_b64 v[32:35], v29 offset0:96 offset1:112
	s_wait_dscnt 0x0
	v_dual_mul_f32 v36, v45, v33 :: v_dual_mul_f32 v37, v44, v33
	v_dual_mul_f32 v42, v44, v35 :: v_dual_fma_f32 v36, v44, v32, -v36
	s_delay_alu instid0(VALU_DEP_1) | instskip(NEXT) | instid1(VALU_DEP_1)
	v_dual_fmac_f32 v37, v45, v32 :: v_dual_fmac_f32 v42, v45, v34
	v_dual_add_f32 v36, v41, v36 :: v_dual_add_f32 v37, v50, v37
	s_delay_alu instid0(VALU_DEP_2) | instskip(NEXT) | instid1(VALU_DEP_1)
	v_dual_mul_f32 v41, v45, v35 :: v_dual_add_f32 v40, v40, v42
	v_fma_f32 v41, v44, v34, -v41
	s_delay_alu instid0(VALU_DEP_1) | instskip(SKIP_1) | instid1(VALU_DEP_1)
	v_add_f32_e32 v30, v30, v41
	v_dual_mul_f32 v41, v39, v33 :: v_dual_mul_f32 v33, v38, v33
	v_fmac_f32_e32 v33, v39, v32
	s_delay_alu instid0(VALU_DEP_2) | instskip(NEXT) | instid1(VALU_DEP_2)
	v_dual_fma_f32 v41, v38, v32, -v41 :: v_dual_mul_f32 v32, v39, v35
	v_dual_add_f32 v28, v28, v33 :: v_dual_mul_f32 v33, v38, v35
	s_delay_alu instid0(VALU_DEP_2) | instskip(NEXT) | instid1(VALU_DEP_2)
	v_fma_f32 v32, v38, v34, -v32
	v_dual_add_f32 v26, v26, v41 :: v_dual_fmac_f32 v33, v39, v34
	s_delay_alu instid0(VALU_DEP_1) | instskip(SKIP_3) | instid1(VALU_DEP_1)
	v_dual_add_f32 v6, v6, v32 :: v_dual_add_f32 v24, v24, v33
	ds_load_2addr_b64 v[32:35], v29 offset0:128 offset1:144
	s_wait_dscnt 0x0
	v_dual_mul_f32 v38, v47, v33 :: v_dual_mul_f32 v39, v46, v33
	v_dual_fma_f32 v38, v46, v32, -v38 :: v_dual_fmac_f32 v39, v47, v32
	s_delay_alu instid0(VALU_DEP_1) | instskip(SKIP_1) | instid1(VALU_DEP_1)
	v_dual_add_f32 v41, v36, v38 :: v_dual_add_f32 v42, v37, v39
	v_dual_mul_f32 v36, v47, v35 :: v_dual_mul_f32 v37, v46, v35
	v_dual_fma_f32 v36, v46, v34, -v36 :: v_dual_fmac_f32 v37, v47, v34
	s_delay_alu instid0(VALU_DEP_1) | instskip(SKIP_3) | instid1(VALU_DEP_1)
	v_dual_add_f32 v30, v30, v36 :: v_dual_add_f32 v40, v40, v37
	ds_load_b128 v[36:39], v31 offset:1056
	s_wait_dscnt 0x0
	v_dual_mul_f32 v43, v37, v33 :: v_dual_mul_f32 v33, v36, v33
	v_dual_fma_f32 v43, v36, v32, -v43 :: v_dual_fmac_f32 v33, v37, v32
	v_mul_f32_e32 v32, v37, v35
	s_delay_alu instid0(VALU_DEP_2) | instskip(NEXT) | instid1(VALU_DEP_2)
	v_dual_add_f32 v26, v26, v43 :: v_dual_add_f32 v28, v28, v33
	v_dual_mul_f32 v33, v36, v35 :: v_dual_fma_f32 v32, v36, v34, -v32
	s_delay_alu instid0(VALU_DEP_1) | instskip(NEXT) | instid1(VALU_DEP_1)
	v_dual_fmac_f32 v33, v37, v34 :: v_dual_add_f32 v6, v6, v32
	v_add_f32_e32 v24, v24, v33
	ds_load_2addr_b64 v[32:35], v29 offset0:160 offset1:176
	s_wait_dscnt 0x0
	v_dual_mul_f32 v36, v49, v33 :: v_dual_mul_f32 v37, v48, v33
	s_delay_alu instid0(VALU_DEP_1) | instskip(NEXT) | instid1(VALU_DEP_1)
	v_dual_fma_f32 v36, v48, v32, -v36 :: v_dual_fmac_f32 v37, v49, v32
	v_dual_add_f32 v36, v41, v36 :: v_dual_add_f32 v37, v42, v37
	v_dual_mul_f32 v41, v49, v35 :: v_dual_mul_f32 v42, v48, v35
	s_delay_alu instid0(VALU_DEP_1) | instskip(NEXT) | instid1(VALU_DEP_1)
	v_dual_fma_f32 v41, v48, v34, -v41 :: v_dual_fmac_f32 v42, v49, v34
	v_dual_add_f32 v30, v30, v41 :: v_dual_add_f32 v40, v40, v42
	v_dual_mul_f32 v41, v39, v33 :: v_dual_mul_f32 v33, v38, v33
	s_delay_alu instid0(VALU_DEP_1) | instskip(NEXT) | instid1(VALU_DEP_2)
	v_fmac_f32_e32 v33, v39, v32
	v_dual_fma_f32 v41, v38, v32, -v41 :: v_dual_mul_f32 v32, v39, v35
	s_delay_alu instid0(VALU_DEP_2) | instskip(NEXT) | instid1(VALU_DEP_2)
	v_dual_add_f32 v28, v28, v33 :: v_dual_mul_f32 v33, v38, v35
	v_fma_f32 v32, v38, v34, -v32
	s_delay_alu instid0(VALU_DEP_2) | instskip(NEXT) | instid1(VALU_DEP_1)
	v_dual_add_f32 v26, v26, v41 :: v_dual_fmac_f32 v33, v39, v34
	v_dual_add_f32 v6, v6, v32 :: v_dual_add_f32 v24, v24, v33
	ds_load_2addr_b64 v[32:35], v29 offset0:192 offset1:208
	s_wait_dscnt 0x0
	v_dual_mul_f32 v38, v1, v33 :: v_dual_mul_f32 v39, v0, v33
	s_delay_alu instid0(VALU_DEP_1) | instskip(NEXT) | instid1(VALU_DEP_1)
	v_dual_fma_f32 v38, v0, v32, -v38 :: v_dual_fmac_f32 v39, v1, v32
	v_dual_add_f32 v44, v36, v38 :: v_dual_add_f32 v45, v37, v39
	v_mul_f32_e32 v36, v1, v35
	s_delay_alu instid0(VALU_DEP_1) | instskip(NEXT) | instid1(VALU_DEP_1)
	v_dual_fma_f32 v36, v0, v34, -v36 :: v_dual_mul_f32 v0, v0, v35
	v_dual_fmac_f32 v0, v1, v34 :: v_dual_add_f32 v1, v30, v36
	ds_load_b128 v[36:39], v31 offset:1072
	s_wait_dscnt 0x0
	v_dual_mul_f32 v30, v37, v33 :: v_dual_mul_f32 v33, v36, v33
	s_delay_alu instid0(VALU_DEP_1)
	v_fma_f32 v30, v36, v32, -v30
	v_add_f32_e32 v0, v40, v0
	ds_load_2addr_b64 v[40:43], v29 offset0:224 offset1:240
	v_dual_fmac_f32 v33, v37, v32 :: v_dual_mul_f32 v32, v36, v35
	v_dual_add_f32 v26, v26, v30 :: v_dual_mul_f32 v30, v37, v35
	s_wait_dscnt 0x0
	s_delay_alu instid0(VALU_DEP_2) | instskip(SKIP_1) | instid1(VALU_DEP_2)
	v_dual_add_f32 v28, v28, v33 :: v_dual_fmac_f32 v32, v37, v34
	s_barrier_signal -1
	v_fma_f32 v30, v36, v34, -v30
	s_barrier_wait -1
	s_delay_alu instid0(VALU_DEP_1) | instskip(SKIP_1) | instid1(VALU_DEP_1)
	v_dual_add_f32 v24, v24, v32 :: v_dual_add_f32 v6, v6, v30
	v_dual_mul_f32 v30, v3, v41 :: v_dual_mul_f32 v32, v2, v41
	v_dual_fma_f32 v30, v2, v40, -v30 :: v_dual_fmac_f32 v32, v3, v40
	s_delay_alu instid0(VALU_DEP_1) | instskip(SKIP_1) | instid1(VALU_DEP_1)
	v_dual_add_f32 v34, v44, v30 :: v_dual_add_f32 v36, v45, v32
	v_mul_f32_e32 v30, v3, v43
	v_dual_fma_f32 v30, v2, v42, -v30 :: v_dual_mul_f32 v2, v2, v43
	s_delay_alu instid0(VALU_DEP_1) | instskip(NEXT) | instid1(VALU_DEP_1)
	v_fmac_f32_e32 v2, v3, v42
	v_dual_add_f32 v32, v0, v2 :: v_dual_mul_f32 v0, v39, v41
	s_delay_alu instid0(VALU_DEP_3) | instskip(NEXT) | instid1(VALU_DEP_1)
	v_dual_add_f32 v30, v1, v30 :: v_dual_mul_f32 v1, v38, v41
	v_dual_fma_f32 v0, v38, v40, -v0 :: v_dual_fmac_f32 v1, v39, v40
	s_delay_alu instid0(VALU_DEP_1) | instskip(NEXT) | instid1(VALU_DEP_2)
	v_dual_add_f32 v26, v26, v0 :: v_dual_mul_f32 v0, v39, v43
	v_dual_add_f32 v28, v28, v1 :: v_dual_mul_f32 v1, v38, v43
	s_delay_alu instid0(VALU_DEP_1) | instskip(NEXT) | instid1(VALU_DEP_1)
	v_dual_fma_f32 v0, v38, v42, -v0 :: v_dual_fmac_f32 v1, v39, v42
	v_dual_add_f32 v6, v6, v0 :: v_dual_add_f32 v24, v24, v1
	s_cbranch_scc0 .LBB86_15
.LBB86_9:                               ;   Parent Loop BB86_6 Depth=1
                                        ; =>  This Inner Loop Header: Depth=2
	v_dual_mov_b32 v1, 0 :: v_dual_add_nc_u32 v0, s14, v25
	s_delay_alu instid0(VALU_DEP_1) | instskip(SKIP_2) | instid1(SALU_CYCLE_1)
	v_cmp_gt_i32_e32 vcc_lo, s23, v0
	v_mov_b32_e32 v0, 0
	s_and_b32 s29, s0, vcc_lo
	s_and_saveexec_b32 s15, s29
	s_cbranch_execz .LBB86_11
; %bb.10:                               ;   in Loop: Header=BB86_9 Depth=2
	global_load_b64 v[0:1], v[20:21], off
.LBB86_11:                              ;   in Loop: Header=BB86_9 Depth=2
	s_wait_xcnt 0x0
	s_or_b32 exec_lo, exec_lo, s15
	v_add_nc_u32_e32 v2, s14, v4
	s_wait_loadcnt 0x0
	ds_store_b64 v5, v[0:1]
	v_cmp_le_i32_e32 vcc_lo, s23, v2
	s_or_b32 s15, vcc_lo, s28
	s_delay_alu instid0(SALU_CYCLE_1) | instskip(NEXT) | instid1(SALU_CYCLE_1)
	s_and_saveexec_b32 s29, s15
	s_xor_b32 s15, exec_lo, s29
; %bb.12:                               ;   in Loop: Header=BB86_9 Depth=2
	ds_store_b32 v27, v7
; %bb.13:                               ;   in Loop: Header=BB86_9 Depth=2
	s_or_saveexec_b32 s15, s15
	v_mov_b32_e32 v0, 0
	s_xor_b32 exec_lo, exec_lo, s15
	s_cbranch_execz .LBB86_8
; %bb.14:                               ;   in Loop: Header=BB86_9 Depth=2
	global_load_b64 v[2:3], v[22:23], off offset:-4
	s_wait_loadcnt 0x0
	v_xor_b32_e32 v0, 0x80000000, v3
	ds_store_b32 v27, v2
	s_branch .LBB86_8
.LBB86_15:                              ;   in Loop: Header=BB86_6 Depth=1
	s_mul_u64 s[14:15], s[26:27], s[24:25]
	s_delay_alu instid0(SALU_CYCLE_1) | instskip(NEXT) | instid1(SALU_CYCLE_1)
	s_lshl_b64 s[14:15], s[14:15], 3
	s_add_nc_u64 s[14:15], s[16:17], s[14:15]
	s_delay_alu instid0(SALU_CYCLE_1)
	v_lshl_add_u64 v[0:1], v[10:11], 3, s[14:15]
	s_and_saveexec_b32 s29, s22
	s_cbranch_execz .LBB86_20
; %bb.16:                               ;   in Loop: Header=BB86_6 Depth=1
	v_mov_b64_e32 v[2:3], s[4:5]
	v_mov_b64_e32 v[20:21], s[10:11]
	s_and_b32 vcc_lo, exec_lo, s18
	s_mov_b32 s34, -1
	s_delay_alu instid0(VALU_DEP_2) | instskip(NEXT) | instid1(VALU_DEP_1)
	v_pk_mul_f32 v[2:3], v[36:37], v[2:3] op_sel_hi:[0,1]
	v_pk_fma_f32 v[22:23], v[34:35], v[20:21], v[2:3] op_sel_hi:[0,1,1]
	v_pk_fma_f32 v[2:3], v[34:35], v[20:21], v[2:3] neg_lo:[0,0,1] neg_hi:[0,0,1]
	v_lshl_add_u64 v[20:21], v[8:9], 3, v[0:1]
	s_delay_alu instid0(VALU_DEP_3)
	v_mov_b32_e32 v3, v23
	s_cbranch_vccz .LBB86_18
; %bb.17:                               ;   in Loop: Header=BB86_6 Depth=1
	global_load_b64 v[22:23], v[20:21], off
	v_mov_b64_e32 v[34:35], s[20:21]
	v_mov_b64_e32 v[36:37], s[2:3]
	s_mov_b32 s34, 0
	s_wait_loadcnt 0x0
	s_delay_alu instid0(VALU_DEP_2) | instskip(NEXT) | instid1(VALU_DEP_1)
	v_pk_mul_f32 v[34:35], v[22:23], v[34:35]
	v_pk_fma_f32 v[38:39], v[22:23], v[36:37], v[34:35] op_sel:[0,0,1] op_sel_hi:[1,1,0]
	v_pk_fma_f32 v[22:23], v[22:23], v[36:37], v[34:35] op_sel:[0,0,1] op_sel_hi:[1,1,0] neg_lo:[0,0,1] neg_hi:[0,0,1]
	s_delay_alu instid0(VALU_DEP_2) | instskip(NEXT) | instid1(VALU_DEP_1)
	v_mov_b32_e32 v23, v39
	v_pk_add_f32 v[22:23], v[2:3], v[22:23]
	global_store_b64 v[20:21], v[22:23], off
.LBB86_18:                              ;   in Loop: Header=BB86_6 Depth=1
	s_and_not1_b32 vcc_lo, exec_lo, s34
	s_cbranch_vccnz .LBB86_20
; %bb.19:                               ;   in Loop: Header=BB86_6 Depth=1
	global_store_b64 v[20:21], v[2:3], off
.LBB86_20:                              ;   in Loop: Header=BB86_6 Depth=1
	s_wait_xcnt 0x0
	s_or_b32 exec_lo, exec_lo, s29
	s_and_saveexec_b32 s29, s30
	s_cbranch_execz .LBB86_25
; %bb.21:                               ;   in Loop: Header=BB86_6 Depth=1
	v_mov_b64_e32 v[2:3], s[4:5]
	v_mov_b64_e32 v[20:21], s[10:11]
	v_lshl_add_u64 v[0:1], v[12:13], 3, v[0:1]
	s_and_not1_b32 vcc_lo, exec_lo, s18
	s_mov_b32 s34, -1
	s_delay_alu instid0(VALU_DEP_3) | instskip(NEXT) | instid1(VALU_DEP_1)
	v_pk_mul_f32 v[2:3], v[32:33], v[2:3] op_sel_hi:[0,1]
	v_pk_fma_f32 v[22:23], v[30:31], v[20:21], v[2:3] op_sel_hi:[0,1,1]
	v_pk_fma_f32 v[2:3], v[30:31], v[20:21], v[2:3] neg_lo:[0,0,1] neg_hi:[0,0,1]
	s_delay_alu instid0(VALU_DEP_2)
	v_mov_b32_e32 v3, v23
	s_cbranch_vccnz .LBB86_23
; %bb.22:                               ;   in Loop: Header=BB86_6 Depth=1
	global_load_b64 v[20:21], v[0:1], off
	v_mov_b64_e32 v[22:23], s[20:21]
	v_mov_b64_e32 v[32:33], s[2:3]
	s_mov_b32 s34, 0
	s_wait_loadcnt 0x0
	s_delay_alu instid0(VALU_DEP_2) | instskip(NEXT) | instid1(VALU_DEP_1)
	v_pk_mul_f32 v[22:23], v[20:21], v[22:23]
	v_pk_fma_f32 v[34:35], v[20:21], v[32:33], v[22:23] op_sel:[0,0,1] op_sel_hi:[1,1,0]
	v_pk_fma_f32 v[20:21], v[20:21], v[32:33], v[22:23] op_sel:[0,0,1] op_sel_hi:[1,1,0] neg_lo:[0,0,1] neg_hi:[0,0,1]
	s_delay_alu instid0(VALU_DEP_2) | instskip(NEXT) | instid1(VALU_DEP_1)
	v_mov_b32_e32 v21, v35
	v_pk_add_f32 v[20:21], v[2:3], v[20:21]
	global_store_b64 v[0:1], v[20:21], off
.LBB86_23:                              ;   in Loop: Header=BB86_6 Depth=1
	s_and_not1_b32 vcc_lo, exec_lo, s34
	s_cbranch_vccnz .LBB86_25
; %bb.24:                               ;   in Loop: Header=BB86_6 Depth=1
	global_store_b64 v[0:1], v[2:3], off
.LBB86_25:                              ;   in Loop: Header=BB86_6 Depth=1
	s_wait_xcnt 0x0
	s_or_b32 exec_lo, exec_lo, s29
	v_lshl_add_u64 v[0:1], v[14:15], 3, s[14:15]
	s_and_saveexec_b32 s14, s1
	s_cbranch_execz .LBB86_30
; %bb.26:                               ;   in Loop: Header=BB86_6 Depth=1
	v_mov_b64_e32 v[2:3], s[4:5]
	v_mov_b64_e32 v[20:21], s[10:11]
	s_and_not1_b32 vcc_lo, exec_lo, s18
	s_mov_b32 s15, -1
	s_delay_alu instid0(VALU_DEP_2) | instskip(NEXT) | instid1(VALU_DEP_1)
	v_pk_mul_f32 v[2:3], v[28:29], v[2:3] op_sel_hi:[0,1]
	v_pk_fma_f32 v[22:23], v[26:27], v[20:21], v[2:3] op_sel_hi:[0,1,1]
	v_pk_fma_f32 v[2:3], v[26:27], v[20:21], v[2:3] neg_lo:[0,0,1] neg_hi:[0,0,1]
	v_lshl_add_u64 v[20:21], v[8:9], 3, v[0:1]
	s_delay_alu instid0(VALU_DEP_3)
	v_mov_b32_e32 v3, v23
	s_cbranch_vccnz .LBB86_28
; %bb.27:                               ;   in Loop: Header=BB86_6 Depth=1
	global_load_b64 v[22:23], v[20:21], off
	v_mov_b64_e32 v[32:33], s[20:21]
	v_mov_b64_e32 v[34:35], s[2:3]
	s_mov_b32 s15, 0
	s_wait_loadcnt 0x0
	s_delay_alu instid0(VALU_DEP_2) | instskip(NEXT) | instid1(VALU_DEP_1)
	v_pk_mul_f32 v[32:33], v[22:23], v[32:33]
	v_pk_fma_f32 v[36:37], v[22:23], v[34:35], v[32:33] op_sel:[0,0,1] op_sel_hi:[1,1,0]
	v_pk_fma_f32 v[22:23], v[22:23], v[34:35], v[32:33] op_sel:[0,0,1] op_sel_hi:[1,1,0] neg_lo:[0,0,1] neg_hi:[0,0,1]
	s_delay_alu instid0(VALU_DEP_2) | instskip(NEXT) | instid1(VALU_DEP_1)
	v_mov_b32_e32 v23, v37
	v_pk_add_f32 v[22:23], v[2:3], v[22:23]
	global_store_b64 v[20:21], v[22:23], off
.LBB86_28:                              ;   in Loop: Header=BB86_6 Depth=1
	s_and_not1_b32 vcc_lo, exec_lo, s15
	s_cbranch_vccnz .LBB86_30
; %bb.29:                               ;   in Loop: Header=BB86_6 Depth=1
	global_store_b64 v[20:21], v[2:3], off
.LBB86_30:                              ;   in Loop: Header=BB86_6 Depth=1
	s_wait_xcnt 0x0
	s_or_b32 exec_lo, exec_lo, s14
	s_and_saveexec_b32 s14, s31
	s_cbranch_execz .LBB86_5
; %bb.31:                               ;   in Loop: Header=BB86_6 Depth=1
	v_mov_b64_e32 v[2:3], s[4:5]
	v_mov_b64_e32 v[20:21], s[10:11]
	v_lshl_add_u64 v[0:1], v[12:13], 3, v[0:1]
	s_and_not1_b32 vcc_lo, exec_lo, s18
	s_mov_b32 s15, -1
	s_delay_alu instid0(VALU_DEP_3) | instskip(NEXT) | instid1(VALU_DEP_1)
	v_pk_mul_f32 v[2:3], v[24:25], v[2:3] op_sel_hi:[0,1]
	v_pk_fma_f32 v[22:23], v[6:7], v[20:21], v[2:3] op_sel_hi:[0,1,1]
	v_pk_fma_f32 v[2:3], v[6:7], v[20:21], v[2:3] neg_lo:[0,0,1] neg_hi:[0,0,1]
	s_delay_alu instid0(VALU_DEP_2)
	v_mov_b32_e32 v3, v23
	s_cbranch_vccnz .LBB86_33
; %bb.32:                               ;   in Loop: Header=BB86_6 Depth=1
	global_load_b64 v[20:21], v[0:1], off
	v_mov_b64_e32 v[22:23], s[20:21]
	v_mov_b64_e32 v[32:33], s[2:3]
	s_mov_b32 s15, 0
	s_wait_loadcnt 0x0
	s_delay_alu instid0(VALU_DEP_2) | instskip(NEXT) | instid1(VALU_DEP_1)
	v_pk_mul_f32 v[22:23], v[20:21], v[22:23]
	v_pk_fma_f32 v[34:35], v[20:21], v[32:33], v[22:23] op_sel:[0,0,1] op_sel_hi:[1,1,0]
	v_pk_fma_f32 v[20:21], v[20:21], v[32:33], v[22:23] op_sel:[0,0,1] op_sel_hi:[1,1,0] neg_lo:[0,0,1] neg_hi:[0,0,1]
	s_delay_alu instid0(VALU_DEP_2) | instskip(NEXT) | instid1(VALU_DEP_1)
	v_mov_b32_e32 v21, v35
	v_pk_add_f32 v[20:21], v[2:3], v[20:21]
	global_store_b64 v[0:1], v[20:21], off
.LBB86_33:                              ;   in Loop: Header=BB86_6 Depth=1
	s_and_not1_b32 vcc_lo, exec_lo, s15
	s_cbranch_vccnz .LBB86_5
; %bb.34:                               ;   in Loop: Header=BB86_6 Depth=1
	global_store_b64 v[0:1], v[2:3], off
	s_branch .LBB86_5
.LBB86_35:
	s_endpgm
	.section	.rodata,"a",@progbits
	.p2align	6, 0x0
	.amdhsa_kernel _ZL29rocblas_internal_gemmt_kernelIiLi16ELi32ELi8ELc84ELc67ELc76ELb0ELb1E19rocblas_complex_numIfEPKS1_S3_PS1_EviT_T9_T10_S5_lS7_S5_lS6_T11_S5_li
		.amdhsa_group_segment_fixed_size 4096
		.amdhsa_private_segment_fixed_size 0
		.amdhsa_kernarg_size 100
		.amdhsa_user_sgpr_count 2
		.amdhsa_user_sgpr_dispatch_ptr 0
		.amdhsa_user_sgpr_queue_ptr 0
		.amdhsa_user_sgpr_kernarg_segment_ptr 1
		.amdhsa_user_sgpr_dispatch_id 0
		.amdhsa_user_sgpr_kernarg_preload_length 0
		.amdhsa_user_sgpr_kernarg_preload_offset 0
		.amdhsa_user_sgpr_private_segment_size 0
		.amdhsa_wavefront_size32 1
		.amdhsa_uses_dynamic_stack 0
		.amdhsa_enable_private_segment 0
		.amdhsa_system_sgpr_workgroup_id_x 1
		.amdhsa_system_sgpr_workgroup_id_y 1
		.amdhsa_system_sgpr_workgroup_id_z 1
		.amdhsa_system_sgpr_workgroup_info 0
		.amdhsa_system_vgpr_workitem_id 1
		.amdhsa_next_free_vgpr 57
		.amdhsa_next_free_sgpr 35
		.amdhsa_named_barrier_count 0
		.amdhsa_reserve_vcc 1
		.amdhsa_float_round_mode_32 0
		.amdhsa_float_round_mode_16_64 0
		.amdhsa_float_denorm_mode_32 3
		.amdhsa_float_denorm_mode_16_64 3
		.amdhsa_fp16_overflow 0
		.amdhsa_memory_ordered 1
		.amdhsa_forward_progress 1
		.amdhsa_inst_pref_size 26
		.amdhsa_round_robin_scheduling 0
		.amdhsa_exception_fp_ieee_invalid_op 0
		.amdhsa_exception_fp_denorm_src 0
		.amdhsa_exception_fp_ieee_div_zero 0
		.amdhsa_exception_fp_ieee_overflow 0
		.amdhsa_exception_fp_ieee_underflow 0
		.amdhsa_exception_fp_ieee_inexact 0
		.amdhsa_exception_int_div_zero 0
	.end_amdhsa_kernel
	.section	.text._ZL29rocblas_internal_gemmt_kernelIiLi16ELi32ELi8ELc84ELc67ELc76ELb0ELb1E19rocblas_complex_numIfEPKS1_S3_PS1_EviT_T9_T10_S5_lS7_S5_lS6_T11_S5_li,"axG",@progbits,_ZL29rocblas_internal_gemmt_kernelIiLi16ELi32ELi8ELc84ELc67ELc76ELb0ELb1E19rocblas_complex_numIfEPKS1_S3_PS1_EviT_T9_T10_S5_lS7_S5_lS6_T11_S5_li,comdat
.Lfunc_end86:
	.size	_ZL29rocblas_internal_gemmt_kernelIiLi16ELi32ELi8ELc84ELc67ELc76ELb0ELb1E19rocblas_complex_numIfEPKS1_S3_PS1_EviT_T9_T10_S5_lS7_S5_lS6_T11_S5_li, .Lfunc_end86-_ZL29rocblas_internal_gemmt_kernelIiLi16ELi32ELi8ELc84ELc67ELc76ELb0ELb1E19rocblas_complex_numIfEPKS1_S3_PS1_EviT_T9_T10_S5_lS7_S5_lS6_T11_S5_li
                                        ; -- End function
	.set _ZL29rocblas_internal_gemmt_kernelIiLi16ELi32ELi8ELc84ELc67ELc76ELb0ELb1E19rocblas_complex_numIfEPKS1_S3_PS1_EviT_T9_T10_S5_lS7_S5_lS6_T11_S5_li.num_vgpr, 57
	.set _ZL29rocblas_internal_gemmt_kernelIiLi16ELi32ELi8ELc84ELc67ELc76ELb0ELb1E19rocblas_complex_numIfEPKS1_S3_PS1_EviT_T9_T10_S5_lS7_S5_lS6_T11_S5_li.num_agpr, 0
	.set _ZL29rocblas_internal_gemmt_kernelIiLi16ELi32ELi8ELc84ELc67ELc76ELb0ELb1E19rocblas_complex_numIfEPKS1_S3_PS1_EviT_T9_T10_S5_lS7_S5_lS6_T11_S5_li.numbered_sgpr, 35
	.set _ZL29rocblas_internal_gemmt_kernelIiLi16ELi32ELi8ELc84ELc67ELc76ELb0ELb1E19rocblas_complex_numIfEPKS1_S3_PS1_EviT_T9_T10_S5_lS7_S5_lS6_T11_S5_li.num_named_barrier, 0
	.set _ZL29rocblas_internal_gemmt_kernelIiLi16ELi32ELi8ELc84ELc67ELc76ELb0ELb1E19rocblas_complex_numIfEPKS1_S3_PS1_EviT_T9_T10_S5_lS7_S5_lS6_T11_S5_li.private_seg_size, 0
	.set _ZL29rocblas_internal_gemmt_kernelIiLi16ELi32ELi8ELc84ELc67ELc76ELb0ELb1E19rocblas_complex_numIfEPKS1_S3_PS1_EviT_T9_T10_S5_lS7_S5_lS6_T11_S5_li.uses_vcc, 1
	.set _ZL29rocblas_internal_gemmt_kernelIiLi16ELi32ELi8ELc84ELc67ELc76ELb0ELb1E19rocblas_complex_numIfEPKS1_S3_PS1_EviT_T9_T10_S5_lS7_S5_lS6_T11_S5_li.uses_flat_scratch, 0
	.set _ZL29rocblas_internal_gemmt_kernelIiLi16ELi32ELi8ELc84ELc67ELc76ELb0ELb1E19rocblas_complex_numIfEPKS1_S3_PS1_EviT_T9_T10_S5_lS7_S5_lS6_T11_S5_li.has_dyn_sized_stack, 0
	.set _ZL29rocblas_internal_gemmt_kernelIiLi16ELi32ELi8ELc84ELc67ELc76ELb0ELb1E19rocblas_complex_numIfEPKS1_S3_PS1_EviT_T9_T10_S5_lS7_S5_lS6_T11_S5_li.has_recursion, 0
	.set _ZL29rocblas_internal_gemmt_kernelIiLi16ELi32ELi8ELc84ELc67ELc76ELb0ELb1E19rocblas_complex_numIfEPKS1_S3_PS1_EviT_T9_T10_S5_lS7_S5_lS6_T11_S5_li.has_indirect_call, 0
	.section	.AMDGPU.csdata,"",@progbits
; Kernel info:
; codeLenInByte = 3252
; TotalNumSgprs: 37
; NumVgprs: 57
; ScratchSize: 0
; MemoryBound: 0
; FloatMode: 240
; IeeeMode: 1
; LDSByteSize: 4096 bytes/workgroup (compile time only)
; SGPRBlocks: 0
; VGPRBlocks: 3
; NumSGPRsForWavesPerEU: 37
; NumVGPRsForWavesPerEU: 57
; NamedBarCnt: 0
; Occupancy: 16
; WaveLimiterHint : 0
; COMPUTE_PGM_RSRC2:SCRATCH_EN: 0
; COMPUTE_PGM_RSRC2:USER_SGPR: 2
; COMPUTE_PGM_RSRC2:TRAP_HANDLER: 0
; COMPUTE_PGM_RSRC2:TGID_X_EN: 1
; COMPUTE_PGM_RSRC2:TGID_Y_EN: 1
; COMPUTE_PGM_RSRC2:TGID_Z_EN: 1
; COMPUTE_PGM_RSRC2:TIDIG_COMP_CNT: 1
	.section	.text._ZL29rocblas_internal_gemmt_kernelIiLi16ELi32ELi8ELc67ELc78ELc76ELb1ELb0E19rocblas_complex_numIfEPKS1_S3_PS1_EviT_T9_T10_S5_lS7_S5_lS6_T11_S5_li,"axG",@progbits,_ZL29rocblas_internal_gemmt_kernelIiLi16ELi32ELi8ELc67ELc78ELc76ELb1ELb0E19rocblas_complex_numIfEPKS1_S3_PS1_EviT_T9_T10_S5_lS7_S5_lS6_T11_S5_li,comdat
	.globl	_ZL29rocblas_internal_gemmt_kernelIiLi16ELi32ELi8ELc67ELc78ELc76ELb1ELb0E19rocblas_complex_numIfEPKS1_S3_PS1_EviT_T9_T10_S5_lS7_S5_lS6_T11_S5_li ; -- Begin function _ZL29rocblas_internal_gemmt_kernelIiLi16ELi32ELi8ELc67ELc78ELc76ELb1ELb0E19rocblas_complex_numIfEPKS1_S3_PS1_EviT_T9_T10_S5_lS7_S5_lS6_T11_S5_li
	.p2align	8
	.type	_ZL29rocblas_internal_gemmt_kernelIiLi16ELi32ELi8ELc67ELc78ELc76ELb1ELb0E19rocblas_complex_numIfEPKS1_S3_PS1_EviT_T9_T10_S5_lS7_S5_lS6_T11_S5_li,@function
_ZL29rocblas_internal_gemmt_kernelIiLi16ELi32ELi8ELc67ELc78ELc76ELb1ELb0E19rocblas_complex_numIfEPKS1_S3_PS1_EviT_T9_T10_S5_lS7_S5_lS6_T11_S5_li: ; @_ZL29rocblas_internal_gemmt_kernelIiLi16ELi32ELi8ELc67ELc78ELc76ELb1ELb0E19rocblas_complex_numIfEPKS1_S3_PS1_EviT_T9_T10_S5_lS7_S5_lS6_T11_S5_li
; %bb.0:
	s_load_b128 s[8:11], s[0:1], 0x38
	s_wait_kmcnt 0x0
	s_load_b64 s[20:21], s[10:11], 0x0
	s_clause 0x1
	s_load_b128 s[4:7], s[0:1], 0x8
	s_load_b64 s[22:23], s[0:1], 0x0
	s_wait_kmcnt 0x0
	s_cmp_neq_f32 s20, 1.0
	s_load_b64 s[10:11], s[4:5], 0x0
	s_cselect_b32 s2, -1, 0
	s_and_b32 s3, s21, 0x7fffffff
	s_delay_alu instid0(SALU_CYCLE_1) | instskip(SKIP_3) | instid1(SALU_CYCLE_1)
	s_cmp_eq_u32 s3, 0
	s_cselect_b32 s29, -1, 0
	s_cmp_lg_u32 s3, 0
	s_cselect_b32 s3, -1, 0
	s_or_b32 s2, s2, s3
	s_delay_alu instid0(SALU_CYCLE_1)
	s_and_b32 vcc_lo, exec_lo, s2
	s_cbranch_vccnz .LBB87_2
; %bb.1:
	s_cmp_lg_u32 s23, 0
	s_cselect_b32 s2, -1, 0
	s_wait_kmcnt 0x0
	s_cmp_neq_f32 s10, 0
	s_cselect_b32 s3, -1, 0
	s_cmp_neq_f32 s11, 0
	s_cselect_b32 s4, -1, 0
	s_delay_alu instid0(SALU_CYCLE_1) | instskip(NEXT) | instid1(SALU_CYCLE_1)
	s_or_b32 s3, s3, s4
	s_and_b32 s2, s2, s3
.LBB87_2:
	s_delay_alu instid0(SALU_CYCLE_1)
	s_and_not1_b32 vcc_lo, exec_lo, s2
	s_cbranch_vccnz .LBB87_35
; %bb.3:
	s_load_b32 s28, s[0:1], 0x60
	s_bfe_u32 s2, ttmp6, 0x40014
	s_lshr_b32 s3, ttmp7, 16
	s_add_co_i32 s2, s2, 1
	s_wait_xcnt 0x0
	s_bfe_u32 s4, ttmp6, 0x40008
	s_mul_i32 s2, s3, s2
	s_getreg_b32 s30, hwreg(HW_REG_IB_STS2, 6, 4)
	s_add_co_i32 s4, s4, s2
	s_cmp_eq_u32 s30, 0
	s_mov_b32 s25, 0
	s_cselect_b32 s24, s3, s4
	s_wait_kmcnt 0x0
	s_cmp_ge_u32 s24, s28
	s_cbranch_scc1 .LBB87_35
; %bb.4:
	s_clause 0x4
	s_load_b32 s4, s[0:1], 0x18
	s_load_b32 s2, s[0:1], 0x30
	s_load_b96 s[16:18], s[0:1], 0x48
	s_load_b128 s[12:15], s[0:1], 0x20
	s_load_b64 s[26:27], s[0:1], 0x58
	s_wait_xcnt 0x0
	s_bfe_u32 s1, ttmp6, 0x4000c
	s_bfe_u32 s3, ttmp6, 0x40010
	v_and_b32_e32 v4, 0x3ff, v0
	v_bfe_u32 v5, v0, 10, 10
	s_and_b32 s31, ttmp7, 0xffff
	s_add_co_i32 s1, s1, 1
	s_add_co_i32 s3, s3, 1
	s_and_b32 s0, ttmp6, 15
	s_bfe_u32 s5, ttmp6, 0x40004
	s_mul_i32 s1, ttmp9, s1
	s_mul_i32 s3, s31, s3
	s_add_co_i32 s0, s0, s1
	s_add_co_i32 s1, s5, s3
	v_lshl_add_u32 v1, v5, 4, v4
	v_and_b32_e32 v25, 7, v0
	s_wait_kmcnt 0x0
	s_ashr_i32 s5, s4, 31
	s_ashr_i32 s3, s2, 31
	;; [unrolled: 1-line block ×3, first 2 shown]
	s_cmp_eq_u32 s30, 0
	v_dual_lshrrev_b32 v23, 5, v1 :: v_dual_lshrrev_b32 v3, 3, v1
	s_cselect_b32 s1, s31, s1
	s_cselect_b32 s0, ttmp9, s0
	s_lshl_b32 s1, s1, 5
	s_delay_alu instid0(VALU_DEP_1) | instid1(SALU_CYCLE_1)
	v_dual_add_nc_u32 v2, s1, v3 :: v_dual_bitop2_b32 v6, 31, v1 bitop3:0x40
	s_lshl_b32 s30, s0, 5
	s_cmp_neq_f32 s10, 0
	s_delay_alu instid0(VALU_DEP_1) | instskip(SKIP_3) | instid1(VALU_DEP_2)
	v_dual_add_nc_u32 v12, s1, v5 :: v_dual_bitop2_b32 v0, s30, v6 bitop3:0x54
	v_lshlrev_b32_e32 v6, 3, v6
	s_cselect_b32 s0, -1, 0
	s_cmp_neq_f32 s11, 0
	v_dual_add_nc_u32 v16, 16, v12 :: v_dual_ashrrev_i32 v13, 31, v12
	v_dual_ashrrev_i32 v1, 31, v0 :: v_dual_lshlrev_b32 v14, 3, v25
	v_cmp_gt_i32_e32 vcc_lo, s22, v0
	s_cselect_b32 s31, -1, 0
	v_lshlrev_b32_e32 v31, 3, v4
	s_delay_alu instid0(VALU_DEP_3)
	v_mul_u64_e32 v[0:1], s[4:5], v[0:1]
	v_lshl_or_b32 v7, v3, 6, v14
	v_ashrrev_i32_e32 v3, 31, v2
	s_or_b32 s31, s0, s31
	v_cmp_gt_i32_e64 s0, s22, v2
	v_ashrrev_i32_e32 v17, 31, v16
	v_add_nc_u32_e32 v4, s30, v4
	v_mul_u64_e32 v[2:3], s[2:3], v[2:3]
	v_lshl_or_b32 v27, v23, 8, v6
	v_add_nc_u32_e32 v29, 0x800, v7
	v_mul_u64_e32 v[6:7], s[18:19], v[12:13]
	v_mov_b32_e32 v13, 0
	v_mul_u64_e32 v[10:11], s[18:19], v[16:17]
	s_cmp_gt_i32 s23, 0
	v_cmp_le_i32_e64 s1, v12, v4
	v_cmp_gt_i32_e64 s2, s22, v4
	v_add_nc_u32_e32 v8, 16, v4
	s_cselect_b32 s33, -1, 0
	s_cmp_neq_f32 s20, 0
	v_lshl_add_u32 v33, v5, 6, 0x800
	v_mov_b32_e32 v15, v13
	s_mov_b32 s5, s10
	s_cselect_b32 s3, -1, 0
	s_and_b32 s19, s1, s2
	v_cmp_le_i32_e64 s1, v12, v8
	v_dual_lshlrev_b32 v12, 3, v23 :: v_dual_ashrrev_i32 v5, 31, v4
	v_ashrrev_i32_e32 v9, 31, v8
	s_xor_b32 s4, s29, -1
	s_lshl_b64 s[8:9], s[8:9], 3
	s_or_b32 s18, s3, s4
	v_cmp_gt_i32_e64 s3, s22, v8
	v_lshl_add_u64 v[0:1], v[0:1], 3, v[12:13]
	v_cmp_le_i32_e64 s4, v16, v4
	s_and_b32 s22, s1, s3
	v_add_nc_u64_e32 v[0:1], s[6:7], v[0:1]
	v_cmp_le_i32_e64 s1, v16, v8
	v_lshl_add_u64 v[2:3], v[2:3], 3, v[14:15]
	s_and_b32 s29, s4, s2
	s_mov_b32 s2, s20
	s_mov_b32 s4, s11
	s_and_b32 s1, s1, s3
	v_add_nc_u64_e32 v[14:15], 4, v[0:1]
	v_add_nc_u64_e32 v[16:17], s[14:15], v[2:3]
	s_mov_b32 s3, s20
	s_mov_b32 s20, s21
	s_and_b32 s14, s31, s33
	s_lshl_b64 s[6:7], s[12:13], 3
	s_xor_b32 s15, vcc_lo, -1
	s_branch .LBB87_6
.LBB87_5:                               ;   in Loop: Header=BB87_6 Depth=1
	s_wait_xcnt 0x0
	s_or_b32 exec_lo, exec_lo, s12
	s_add_co_i32 s24, s24, 0x10000
	s_delay_alu instid0(SALU_CYCLE_1)
	s_cmp_lt_u32 s24, s28
	s_cbranch_scc0 .LBB87_35
.LBB87_6:                               ; =>This Loop Header: Depth=1
                                        ;     Child Loop BB87_9 Depth 2
	v_dual_mov_b32 v32, 0 :: v_dual_mov_b32 v34, 0
	v_dual_mov_b32 v28, 0 :: v_dual_mov_b32 v30, 0
	;; [unrolled: 1-line block ×4, first 2 shown]
	s_and_not1_b32 vcc_lo, exec_lo, s14
	s_cbranch_vccnz .LBB87_15
; %bb.7:                                ;   in Loop: Header=BB87_6 Depth=1
	v_mad_nc_u64_u32 v[18:19], s6, s24, v[14:15]
	v_mad_nc_u64_u32 v[20:21], s8, s24, v[16:17]
	v_dual_mov_b32 v22, 0 :: v_dual_mov_b32 v12, 0
	v_dual_mov_b32 v26, 0 :: v_dual_mov_b32 v24, 0
	;; [unrolled: 1-line block ×4, first 2 shown]
	s_mov_b32 s12, 0
	v_mad_u32 v19, s7, s24, v19
	v_mad_u32 v21, s9, s24, v21
	s_branch .LBB87_9
.LBB87_8:                               ;   in Loop: Header=BB87_9 Depth=2
	s_wait_xcnt 0x0
	s_or_b32 exec_lo, exec_lo, s13
	s_wait_loadcnt 0x0
	ds_store_b64 v29, v[0:1]
	s_wait_dscnt 0x0
	s_barrier_signal -1
	s_barrier_wait -1
	ds_load_b128 v[36:39], v33
	ds_load_b128 v[40:43], v33 offset:16
	ds_load_b128 v[44:47], v33 offset:32
	;; [unrolled: 1-line block ×3, first 2 shown]
	ds_load_2addr_b64 v[48:51], v31 offset1:16
	v_add_nc_u64_e32 v[18:19], 64, v[18:19]
	v_add_nc_u64_e32 v[20:21], 64, v[20:21]
	s_add_co_i32 s12, s12, 8
	s_delay_alu instid0(SALU_CYCLE_1) | instskip(SKIP_2) | instid1(VALU_DEP_1)
	s_cmp_lt_i32 s12, s23
	s_wait_dscnt 0x0
	v_dual_mul_f32 v35, v37, v49 :: v_dual_mul_f32 v52, v36, v49
	v_dual_fma_f32 v35, v36, v48, -v35 :: v_dual_fmac_f32 v52, v37, v48
	s_delay_alu instid0(VALU_DEP_1) | instskip(SKIP_1) | instid1(VALU_DEP_1)
	v_dual_add_f32 v32, v32, v35 :: v_dual_add_f32 v52, v34, v52
	v_dual_mul_f32 v34, v37, v51 :: v_dual_mul_f32 v35, v36, v51
	v_dual_fma_f32 v34, v36, v50, -v34 :: v_dual_fmac_f32 v35, v37, v50
	s_delay_alu instid0(VALU_DEP_1) | instskip(SKIP_3) | instid1(VALU_DEP_1)
	v_dual_add_f32 v28, v28, v34 :: v_dual_add_f32 v30, v30, v35
	ds_load_b128 v[34:37], v33 offset:1024
	s_wait_dscnt 0x0
	v_dual_mul_f32 v53, v35, v49 :: v_dual_mul_f32 v49, v34, v49
	v_fma_f32 v53, v34, v48, -v53
	s_delay_alu instid0(VALU_DEP_2) | instskip(NEXT) | instid1(VALU_DEP_1)
	v_dual_fmac_f32 v49, v35, v48 :: v_dual_mul_f32 v48, v35, v51
	v_dual_add_f32 v24, v24, v53 :: v_dual_fma_f32 v48, v34, v50, -v48
	v_mul_f32_e32 v34, v34, v51
	s_delay_alu instid0(VALU_DEP_1) | instskip(NEXT) | instid1(VALU_DEP_3)
	v_dual_add_f32 v26, v26, v49 :: v_dual_fmac_f32 v34, v35, v50
	v_add_f32_e32 v12, v12, v48
	ds_load_2addr_b64 v[48:51], v31 offset0:32 offset1:48
	s_wait_dscnt 0x0
	v_dual_add_f32 v22, v22, v34 :: v_dual_mul_f32 v34, v39, v49
	s_delay_alu instid0(VALU_DEP_1) | instskip(NEXT) | instid1(VALU_DEP_1)
	v_dual_mul_f32 v35, v38, v49 :: v_dual_fma_f32 v34, v38, v48, -v34
	v_dual_fmac_f32 v35, v39, v48 :: v_dual_add_f32 v32, v32, v34
	v_mul_f32_e32 v34, v39, v51
	s_delay_alu instid0(VALU_DEP_1) | instskip(NEXT) | instid1(VALU_DEP_1)
	v_dual_add_f32 v52, v52, v35 :: v_dual_fma_f32 v34, v38, v50, -v34
	v_dual_mul_f32 v35, v38, v51 :: v_dual_add_f32 v28, v28, v34
	s_delay_alu instid0(VALU_DEP_1) | instskip(NEXT) | instid1(VALU_DEP_1)
	v_dual_fmac_f32 v35, v39, v50 :: v_dual_mul_f32 v34, v37, v49
	v_dual_add_f32 v30, v30, v35 :: v_dual_fma_f32 v34, v36, v48, -v34
	v_mul_f32_e32 v35, v36, v49
	s_delay_alu instid0(VALU_DEP_2) | instskip(NEXT) | instid1(VALU_DEP_1)
	v_dual_add_f32 v24, v24, v34 :: v_dual_mul_f32 v34, v37, v51
	v_dual_fmac_f32 v35, v37, v48 :: v_dual_fma_f32 v34, v36, v50, -v34
	s_delay_alu instid0(VALU_DEP_1) | instskip(SKIP_1) | instid1(VALU_DEP_1)
	v_add_f32_e32 v26, v26, v35
	v_mul_f32_e32 v35, v36, v51
	v_fmac_f32_e32 v35, v37, v50
	s_delay_alu instid0(VALU_DEP_1) | instskip(SKIP_3) | instid1(VALU_DEP_1)
	v_dual_add_f32 v12, v12, v34 :: v_dual_add_f32 v22, v22, v35
	ds_load_2addr_b64 v[34:37], v31 offset0:64 offset1:80
	s_wait_dscnt 0x0
	v_dual_mul_f32 v38, v41, v35 :: v_dual_mul_f32 v39, v40, v35
	v_dual_fma_f32 v38, v40, v34, -v38 :: v_dual_fmac_f32 v39, v41, v34
	s_delay_alu instid0(VALU_DEP_1) | instskip(SKIP_1) | instid1(VALU_DEP_3)
	v_add_f32_e32 v48, v52, v39
	v_mul_f32_e32 v39, v40, v37
	v_dual_add_f32 v32, v32, v38 :: v_dual_mul_f32 v38, v41, v37
	s_delay_alu instid0(VALU_DEP_1) | instskip(NEXT) | instid1(VALU_DEP_1)
	v_dual_fmac_f32 v39, v41, v36 :: v_dual_fma_f32 v38, v40, v36, -v38
	v_dual_add_f32 v30, v30, v39 :: v_dual_add_f32 v28, v28, v38
	ds_load_b128 v[38:41], v33 offset:1040
	s_wait_dscnt 0x0
	v_dual_mul_f32 v49, v39, v35 :: v_dual_mul_f32 v35, v38, v35
	s_delay_alu instid0(VALU_DEP_1) | instskip(SKIP_1) | instid1(VALU_DEP_2)
	v_dual_fma_f32 v49, v38, v34, -v49 :: v_dual_fmac_f32 v35, v39, v34
	v_mul_f32_e32 v34, v39, v37
	v_dual_add_f32 v24, v24, v49 :: v_dual_add_f32 v26, v26, v35
	s_delay_alu instid0(VALU_DEP_2) | instskip(NEXT) | instid1(VALU_DEP_1)
	v_dual_mul_f32 v35, v38, v37 :: v_dual_fma_f32 v34, v38, v36, -v34
	v_dual_fmac_f32 v35, v39, v36 :: v_dual_add_f32 v12, v12, v34
	s_delay_alu instid0(VALU_DEP_1) | instskip(SKIP_3) | instid1(VALU_DEP_1)
	v_add_f32_e32 v22, v22, v35
	ds_load_2addr_b64 v[34:37], v31 offset0:96 offset1:112
	s_wait_dscnt 0x0
	v_dual_mul_f32 v38, v43, v35 :: v_dual_mul_f32 v39, v42, v35
	v_dual_fma_f32 v38, v42, v34, -v38 :: v_dual_fmac_f32 v39, v43, v34
	s_delay_alu instid0(VALU_DEP_1) | instskip(NEXT) | instid1(VALU_DEP_2)
	v_add_f32_e32 v32, v32, v38
	v_dual_add_f32 v38, v48, v39 :: v_dual_mul_f32 v39, v43, v37
	s_delay_alu instid0(VALU_DEP_1) | instskip(NEXT) | instid1(VALU_DEP_1)
	v_dual_fma_f32 v39, v42, v36, -v39 :: v_dual_mul_f32 v42, v42, v37
	v_dual_add_f32 v28, v28, v39 :: v_dual_fmac_f32 v42, v43, v36
	v_dual_mul_f32 v39, v41, v35 :: v_dual_mul_f32 v35, v40, v35
	s_delay_alu instid0(VALU_DEP_2) | instskip(NEXT) | instid1(VALU_DEP_2)
	v_add_f32_e32 v30, v30, v42
	v_fmac_f32_e32 v35, v41, v34
	s_delay_alu instid0(VALU_DEP_3) | instskip(NEXT) | instid1(VALU_DEP_2)
	v_dual_fma_f32 v39, v40, v34, -v39 :: v_dual_mul_f32 v34, v41, v37
	v_dual_add_f32 v26, v26, v35 :: v_dual_mul_f32 v35, v40, v37
	s_delay_alu instid0(VALU_DEP_2) | instskip(NEXT) | instid1(VALU_DEP_2)
	v_fma_f32 v34, v40, v36, -v34
	v_dual_add_f32 v24, v24, v39 :: v_dual_fmac_f32 v35, v41, v36
	s_delay_alu instid0(VALU_DEP_1) | instskip(SKIP_3) | instid1(VALU_DEP_1)
	v_dual_add_f32 v12, v12, v34 :: v_dual_add_f32 v22, v22, v35
	ds_load_2addr_b64 v[34:37], v31 offset0:128 offset1:144
	s_wait_dscnt 0x0
	v_dual_mul_f32 v39, v45, v35 :: v_dual_mul_f32 v40, v44, v35
	v_dual_fma_f32 v39, v44, v34, -v39 :: v_dual_fmac_f32 v40, v45, v34
	s_delay_alu instid0(VALU_DEP_1) | instskip(SKIP_1) | instid1(VALU_DEP_1)
	v_dual_add_f32 v32, v32, v39 :: v_dual_add_f32 v42, v38, v40
	v_dual_mul_f32 v38, v45, v37 :: v_dual_mul_f32 v39, v44, v37
	v_dual_fma_f32 v38, v44, v36, -v38 :: v_dual_fmac_f32 v39, v45, v36
	s_delay_alu instid0(VALU_DEP_1) | instskip(SKIP_3) | instid1(VALU_DEP_1)
	v_dual_add_f32 v28, v28, v38 :: v_dual_add_f32 v30, v30, v39
	ds_load_b128 v[38:41], v33 offset:1056
	s_wait_dscnt 0x0
	v_dual_mul_f32 v43, v39, v35 :: v_dual_mul_f32 v35, v38, v35
	v_fma_f32 v43, v38, v34, -v43
	s_delay_alu instid0(VALU_DEP_2) | instskip(NEXT) | instid1(VALU_DEP_2)
	v_dual_fmac_f32 v35, v39, v34 :: v_dual_mul_f32 v34, v39, v37
	v_add_f32_e32 v24, v24, v43
	s_delay_alu instid0(VALU_DEP_2) | instskip(NEXT) | instid1(VALU_DEP_3)
	v_add_f32_e32 v26, v26, v35
	v_dual_fma_f32 v34, v38, v36, -v34 :: v_dual_mul_f32 v35, v38, v37
	s_delay_alu instid0(VALU_DEP_1) | instskip(NEXT) | instid1(VALU_DEP_1)
	v_dual_fmac_f32 v35, v39, v36 :: v_dual_add_f32 v12, v12, v34
	v_add_f32_e32 v22, v22, v35
	ds_load_2addr_b64 v[34:37], v31 offset0:160 offset1:176
	s_wait_dscnt 0x0
	v_dual_mul_f32 v38, v47, v35 :: v_dual_mul_f32 v39, v46, v35
	s_delay_alu instid0(VALU_DEP_1) | instskip(NEXT) | instid1(VALU_DEP_1)
	v_dual_fma_f32 v38, v46, v34, -v38 :: v_dual_fmac_f32 v39, v47, v34
	v_dual_add_f32 v32, v32, v38 :: v_dual_add_f32 v38, v42, v39
	v_dual_mul_f32 v39, v47, v37 :: v_dual_mul_f32 v42, v46, v37
	s_delay_alu instid0(VALU_DEP_1) | instskip(NEXT) | instid1(VALU_DEP_1)
	v_dual_fma_f32 v39, v46, v36, -v39 :: v_dual_fmac_f32 v42, v47, v36
	v_dual_add_f32 v28, v28, v39 :: v_dual_add_f32 v30, v30, v42
	v_dual_mul_f32 v39, v41, v35 :: v_dual_mul_f32 v35, v40, v35
	s_delay_alu instid0(VALU_DEP_1) | instskip(NEXT) | instid1(VALU_DEP_2)
	v_fmac_f32_e32 v35, v41, v34
	v_dual_fma_f32 v39, v40, v34, -v39 :: v_dual_mul_f32 v34, v41, v37
	s_delay_alu instid0(VALU_DEP_2) | instskip(NEXT) | instid1(VALU_DEP_2)
	v_dual_add_f32 v26, v26, v35 :: v_dual_mul_f32 v35, v40, v37
	v_fma_f32 v34, v40, v36, -v34
	s_delay_alu instid0(VALU_DEP_2) | instskip(NEXT) | instid1(VALU_DEP_1)
	v_dual_add_f32 v24, v24, v39 :: v_dual_fmac_f32 v35, v41, v36
	v_dual_add_f32 v12, v12, v34 :: v_dual_add_f32 v22, v22, v35
	ds_load_2addr_b64 v[34:37], v31 offset0:192 offset1:208
	s_wait_dscnt 0x0
	v_dual_mul_f32 v39, v1, v35 :: v_dual_mul_f32 v40, v0, v35
	s_delay_alu instid0(VALU_DEP_1) | instskip(NEXT) | instid1(VALU_DEP_1)
	v_dual_fma_f32 v39, v0, v34, -v39 :: v_dual_fmac_f32 v40, v1, v34
	v_dual_add_f32 v32, v32, v39 :: v_dual_add_f32 v42, v38, v40
	v_mul_f32_e32 v38, v1, v37
	s_delay_alu instid0(VALU_DEP_1) | instskip(NEXT) | instid1(VALU_DEP_1)
	v_dual_fma_f32 v38, v0, v36, -v38 :: v_dual_mul_f32 v0, v0, v37
	v_dual_fmac_f32 v0, v1, v36 :: v_dual_add_f32 v1, v28, v38
	ds_load_b128 v[38:41], v33 offset:1072
	s_wait_dscnt 0x0
	v_dual_add_f32 v0, v30, v0 :: v_dual_mul_f32 v28, v39, v35
	s_delay_alu instid0(VALU_DEP_1) | instskip(NEXT) | instid1(VALU_DEP_1)
	v_dual_mul_f32 v30, v38, v35 :: v_dual_fma_f32 v28, v38, v34, -v28
	v_dual_fmac_f32 v30, v39, v34 :: v_dual_add_f32 v24, v24, v28
	s_delay_alu instid0(VALU_DEP_1) | instskip(NEXT) | instid1(VALU_DEP_1)
	v_dual_add_f32 v26, v26, v30 :: v_dual_mul_f32 v28, v39, v37
	v_dual_mul_f32 v30, v38, v37 :: v_dual_fma_f32 v28, v38, v36, -v28
	s_delay_alu instid0(VALU_DEP_1)
	v_fmac_f32_e32 v30, v39, v36
	ds_load_2addr_b64 v[36:39], v31 offset0:224 offset1:240
	s_wait_dscnt 0x0
	s_barrier_signal -1
	v_dual_add_f32 v12, v12, v28 :: v_dual_add_f32 v22, v22, v30
	s_barrier_wait -1
	v_dual_mul_f32 v28, v3, v37 :: v_dual_mul_f32 v30, v2, v37
	s_delay_alu instid0(VALU_DEP_1) | instskip(NEXT) | instid1(VALU_DEP_1)
	v_dual_fma_f32 v28, v2, v36, -v28 :: v_dual_fmac_f32 v30, v3, v36
	v_dual_add_f32 v32, v32, v28 :: v_dual_add_f32 v34, v42, v30
	v_mul_f32_e32 v28, v3, v39
	s_delay_alu instid0(VALU_DEP_1) | instskip(NEXT) | instid1(VALU_DEP_1)
	v_dual_fma_f32 v28, v2, v38, -v28 :: v_dual_mul_f32 v2, v2, v39
	v_dual_fmac_f32 v2, v3, v38 :: v_dual_add_f32 v28, v1, v28
	v_mul_f32_e32 v1, v40, v37
	s_delay_alu instid0(VALU_DEP_2) | instskip(NEXT) | instid1(VALU_DEP_1)
	v_dual_add_f32 v30, v0, v2 :: v_dual_mul_f32 v0, v41, v37
	v_dual_fmac_f32 v1, v41, v36 :: v_dual_fma_f32 v0, v40, v36, -v0
	s_delay_alu instid0(VALU_DEP_1) | instskip(NEXT) | instid1(VALU_DEP_2)
	v_dual_add_f32 v26, v26, v1 :: v_dual_mul_f32 v1, v40, v39
	v_dual_add_f32 v24, v24, v0 :: v_dual_mul_f32 v0, v41, v39
	s_delay_alu instid0(VALU_DEP_1) | instskip(NEXT) | instid1(VALU_DEP_1)
	v_dual_fmac_f32 v1, v41, v38 :: v_dual_fma_f32 v0, v40, v38, -v0
	v_dual_add_f32 v22, v22, v1 :: v_dual_add_f32 v12, v12, v0
	s_cbranch_scc0 .LBB87_15
.LBB87_9:                               ;   Parent Loop BB87_6 Depth=1
                                        ; =>  This Inner Loop Header: Depth=2
	v_add_nc_u32_e32 v0, s12, v23
	s_delay_alu instid0(VALU_DEP_1) | instskip(SKIP_1) | instid1(SALU_CYCLE_1)
	v_cmp_le_i32_e32 vcc_lo, s23, v0
	s_or_b32 s13, s15, vcc_lo
	s_and_saveexec_b32 s30, s13
	s_delay_alu instid0(SALU_CYCLE_1)
	s_xor_b32 s13, exec_lo, s30
; %bb.10:                               ;   in Loop: Header=BB87_9 Depth=2
	ds_store_b32 v27, v13
; %bb.11:                               ;   in Loop: Header=BB87_9 Depth=2
	s_or_saveexec_b32 s13, s13
	v_dual_mov_b32 v0, 0 :: v_dual_mov_b32 v2, 0
	s_xor_b32 exec_lo, exec_lo, s13
	s_cbranch_execz .LBB87_13
; %bb.12:                               ;   in Loop: Header=BB87_9 Depth=2
	global_load_b64 v[36:37], v[18:19], off offset:-4
	s_wait_loadcnt 0x0
	v_xor_b32_e32 v2, 0x80000000, v37
	ds_store_b32 v27, v36
.LBB87_13:                              ;   in Loop: Header=BB87_9 Depth=2
	s_wait_xcnt 0x0
	s_or_b32 exec_lo, exec_lo, s13
	v_add_nc_u32_e32 v1, s12, v25
	ds_store_b32 v27, v2 offset:4
	v_cmp_gt_i32_e32 vcc_lo, s23, v1
	v_mov_b32_e32 v1, 0
	s_and_b32 s30, vcc_lo, s0
	s_delay_alu instid0(SALU_CYCLE_1)
	s_and_saveexec_b32 s13, s30
	s_cbranch_execz .LBB87_8
; %bb.14:                               ;   in Loop: Header=BB87_9 Depth=2
	global_load_b64 v[0:1], v[20:21], off
	s_branch .LBB87_8
.LBB87_15:                              ;   in Loop: Header=BB87_6 Depth=1
	s_mul_u64 s[12:13], s[26:27], s[24:25]
	s_delay_alu instid0(SALU_CYCLE_1) | instskip(NEXT) | instid1(SALU_CYCLE_1)
	s_lshl_b64 s[12:13], s[12:13], 3
	s_add_nc_u64 s[12:13], s[16:17], s[12:13]
	s_delay_alu instid0(SALU_CYCLE_1)
	v_lshl_add_u64 v[0:1], v[6:7], 3, s[12:13]
	s_and_saveexec_b32 s30, s19
	s_cbranch_execz .LBB87_20
; %bb.16:                               ;   in Loop: Header=BB87_6 Depth=1
	v_mov_b64_e32 v[2:3], s[4:5]
	v_mov_b64_e32 v[18:19], s[10:11]
	s_and_b32 vcc_lo, exec_lo, s18
	s_mov_b32 s31, -1
	s_delay_alu instid0(VALU_DEP_2) | instskip(NEXT) | instid1(VALU_DEP_1)
	v_pk_mul_f32 v[2:3], v[34:35], v[2:3] op_sel_hi:[0,1]
	v_pk_fma_f32 v[20:21], v[32:33], v[18:19], v[2:3] op_sel_hi:[0,1,1]
	v_pk_fma_f32 v[2:3], v[32:33], v[18:19], v[2:3] neg_lo:[0,0,1] neg_hi:[0,0,1]
	v_lshl_add_u64 v[18:19], v[4:5], 3, v[0:1]
	s_delay_alu instid0(VALU_DEP_3)
	v_mov_b32_e32 v3, v21
	s_cbranch_vccz .LBB87_18
; %bb.17:                               ;   in Loop: Header=BB87_6 Depth=1
	global_load_b64 v[20:21], v[18:19], off
	v_mov_b64_e32 v[34:35], s[20:21]
	v_mov_b64_e32 v[36:37], s[2:3]
	s_mov_b32 s31, 0
	s_wait_loadcnt 0x0
	s_delay_alu instid0(VALU_DEP_2) | instskip(NEXT) | instid1(VALU_DEP_1)
	v_pk_mul_f32 v[34:35], v[20:21], v[34:35]
	v_pk_fma_f32 v[38:39], v[20:21], v[36:37], v[34:35] op_sel:[0,0,1] op_sel_hi:[1,1,0]
	v_pk_fma_f32 v[20:21], v[20:21], v[36:37], v[34:35] op_sel:[0,0,1] op_sel_hi:[1,1,0] neg_lo:[0,0,1] neg_hi:[0,0,1]
	s_delay_alu instid0(VALU_DEP_2) | instskip(NEXT) | instid1(VALU_DEP_1)
	v_mov_b32_e32 v21, v39
	v_pk_add_f32 v[20:21], v[2:3], v[20:21]
	global_store_b64 v[18:19], v[20:21], off
.LBB87_18:                              ;   in Loop: Header=BB87_6 Depth=1
	s_and_not1_b32 vcc_lo, exec_lo, s31
	s_cbranch_vccnz .LBB87_20
; %bb.19:                               ;   in Loop: Header=BB87_6 Depth=1
	global_store_b64 v[18:19], v[2:3], off
.LBB87_20:                              ;   in Loop: Header=BB87_6 Depth=1
	s_wait_xcnt 0x0
	s_or_b32 exec_lo, exec_lo, s30
	s_and_saveexec_b32 s30, s22
	s_cbranch_execz .LBB87_25
; %bb.21:                               ;   in Loop: Header=BB87_6 Depth=1
	v_mov_b64_e32 v[2:3], s[4:5]
	v_mov_b64_e32 v[18:19], s[10:11]
	v_lshl_add_u64 v[0:1], v[8:9], 3, v[0:1]
	s_and_not1_b32 vcc_lo, exec_lo, s18
	s_mov_b32 s31, -1
	s_delay_alu instid0(VALU_DEP_3) | instskip(NEXT) | instid1(VALU_DEP_1)
	v_pk_mul_f32 v[2:3], v[30:31], v[2:3] op_sel_hi:[0,1]
	v_pk_fma_f32 v[20:21], v[28:29], v[18:19], v[2:3] op_sel_hi:[0,1,1]
	v_pk_fma_f32 v[2:3], v[28:29], v[18:19], v[2:3] neg_lo:[0,0,1] neg_hi:[0,0,1]
	s_delay_alu instid0(VALU_DEP_2)
	v_mov_b32_e32 v3, v21
	s_cbranch_vccnz .LBB87_23
; %bb.22:                               ;   in Loop: Header=BB87_6 Depth=1
	global_load_b64 v[18:19], v[0:1], off
	v_mov_b64_e32 v[20:21], s[20:21]
	v_mov_b64_e32 v[34:35], s[2:3]
	s_mov_b32 s31, 0
	s_wait_loadcnt 0x0
	s_delay_alu instid0(VALU_DEP_2) | instskip(NEXT) | instid1(VALU_DEP_1)
	v_pk_mul_f32 v[20:21], v[18:19], v[20:21]
	v_pk_fma_f32 v[36:37], v[18:19], v[34:35], v[20:21] op_sel:[0,0,1] op_sel_hi:[1,1,0]
	v_pk_fma_f32 v[18:19], v[18:19], v[34:35], v[20:21] op_sel:[0,0,1] op_sel_hi:[1,1,0] neg_lo:[0,0,1] neg_hi:[0,0,1]
	s_delay_alu instid0(VALU_DEP_2) | instskip(NEXT) | instid1(VALU_DEP_1)
	v_mov_b32_e32 v19, v37
	v_pk_add_f32 v[18:19], v[2:3], v[18:19]
	global_store_b64 v[0:1], v[18:19], off
.LBB87_23:                              ;   in Loop: Header=BB87_6 Depth=1
	s_and_not1_b32 vcc_lo, exec_lo, s31
	s_cbranch_vccnz .LBB87_25
; %bb.24:                               ;   in Loop: Header=BB87_6 Depth=1
	global_store_b64 v[0:1], v[2:3], off
.LBB87_25:                              ;   in Loop: Header=BB87_6 Depth=1
	s_wait_xcnt 0x0
	s_or_b32 exec_lo, exec_lo, s30
	v_lshl_add_u64 v[0:1], v[10:11], 3, s[12:13]
	s_and_saveexec_b32 s12, s29
	s_cbranch_execz .LBB87_30
; %bb.26:                               ;   in Loop: Header=BB87_6 Depth=1
	v_mov_b64_e32 v[2:3], s[4:5]
	v_mov_b64_e32 v[18:19], s[10:11]
	s_and_not1_b32 vcc_lo, exec_lo, s18
	s_mov_b32 s13, -1
	s_delay_alu instid0(VALU_DEP_2) | instskip(NEXT) | instid1(VALU_DEP_1)
	v_pk_mul_f32 v[2:3], v[26:27], v[2:3] op_sel_hi:[0,1]
	v_pk_fma_f32 v[20:21], v[24:25], v[18:19], v[2:3] op_sel_hi:[0,1,1]
	v_pk_fma_f32 v[2:3], v[24:25], v[18:19], v[2:3] neg_lo:[0,0,1] neg_hi:[0,0,1]
	v_lshl_add_u64 v[18:19], v[4:5], 3, v[0:1]
	s_delay_alu instid0(VALU_DEP_3)
	v_mov_b32_e32 v3, v21
	s_cbranch_vccnz .LBB87_28
; %bb.27:                               ;   in Loop: Header=BB87_6 Depth=1
	global_load_b64 v[20:21], v[18:19], off
	v_mov_b64_e32 v[34:35], s[20:21]
	v_mov_b64_e32 v[36:37], s[2:3]
	s_mov_b32 s13, 0
	s_wait_loadcnt 0x0
	s_delay_alu instid0(VALU_DEP_2) | instskip(NEXT) | instid1(VALU_DEP_1)
	v_pk_mul_f32 v[34:35], v[20:21], v[34:35]
	v_pk_fma_f32 v[38:39], v[20:21], v[36:37], v[34:35] op_sel:[0,0,1] op_sel_hi:[1,1,0]
	v_pk_fma_f32 v[20:21], v[20:21], v[36:37], v[34:35] op_sel:[0,0,1] op_sel_hi:[1,1,0] neg_lo:[0,0,1] neg_hi:[0,0,1]
	s_delay_alu instid0(VALU_DEP_2) | instskip(NEXT) | instid1(VALU_DEP_1)
	v_mov_b32_e32 v21, v39
	v_pk_add_f32 v[20:21], v[2:3], v[20:21]
	global_store_b64 v[18:19], v[20:21], off
.LBB87_28:                              ;   in Loop: Header=BB87_6 Depth=1
	s_and_not1_b32 vcc_lo, exec_lo, s13
	s_cbranch_vccnz .LBB87_30
; %bb.29:                               ;   in Loop: Header=BB87_6 Depth=1
	global_store_b64 v[18:19], v[2:3], off
.LBB87_30:                              ;   in Loop: Header=BB87_6 Depth=1
	s_wait_xcnt 0x0
	s_or_b32 exec_lo, exec_lo, s12
	s_and_saveexec_b32 s12, s1
	s_cbranch_execz .LBB87_5
; %bb.31:                               ;   in Loop: Header=BB87_6 Depth=1
	v_mov_b64_e32 v[2:3], s[4:5]
	v_mov_b64_e32 v[18:19], s[10:11]
	v_lshl_add_u64 v[0:1], v[8:9], 3, v[0:1]
	s_and_not1_b32 vcc_lo, exec_lo, s18
	s_mov_b32 s13, -1
	s_delay_alu instid0(VALU_DEP_3) | instskip(NEXT) | instid1(VALU_DEP_1)
	v_pk_mul_f32 v[2:3], v[22:23], v[2:3] op_sel_hi:[0,1]
	v_pk_fma_f32 v[20:21], v[12:13], v[18:19], v[2:3] op_sel_hi:[0,1,1]
	v_pk_fma_f32 v[2:3], v[12:13], v[18:19], v[2:3] neg_lo:[0,0,1] neg_hi:[0,0,1]
	s_delay_alu instid0(VALU_DEP_2)
	v_mov_b32_e32 v3, v21
	s_cbranch_vccnz .LBB87_33
; %bb.32:                               ;   in Loop: Header=BB87_6 Depth=1
	global_load_b64 v[18:19], v[0:1], off
	v_mov_b64_e32 v[20:21], s[20:21]
	v_mov_b64_e32 v[34:35], s[2:3]
	s_mov_b32 s13, 0
	s_wait_loadcnt 0x0
	s_delay_alu instid0(VALU_DEP_2) | instskip(NEXT) | instid1(VALU_DEP_1)
	v_pk_mul_f32 v[20:21], v[18:19], v[20:21]
	v_pk_fma_f32 v[36:37], v[18:19], v[34:35], v[20:21] op_sel:[0,0,1] op_sel_hi:[1,1,0]
	v_pk_fma_f32 v[18:19], v[18:19], v[34:35], v[20:21] op_sel:[0,0,1] op_sel_hi:[1,1,0] neg_lo:[0,0,1] neg_hi:[0,0,1]
	s_delay_alu instid0(VALU_DEP_2) | instskip(NEXT) | instid1(VALU_DEP_1)
	v_mov_b32_e32 v19, v37
	v_pk_add_f32 v[18:19], v[2:3], v[18:19]
	global_store_b64 v[0:1], v[18:19], off
.LBB87_33:                              ;   in Loop: Header=BB87_6 Depth=1
	s_and_not1_b32 vcc_lo, exec_lo, s13
	s_cbranch_vccnz .LBB87_5
; %bb.34:                               ;   in Loop: Header=BB87_6 Depth=1
	global_store_b64 v[0:1], v[2:3], off
	s_branch .LBB87_5
.LBB87_35:
	s_endpgm
	.section	.rodata,"a",@progbits
	.p2align	6, 0x0
	.amdhsa_kernel _ZL29rocblas_internal_gemmt_kernelIiLi16ELi32ELi8ELc67ELc78ELc76ELb1ELb0E19rocblas_complex_numIfEPKS1_S3_PS1_EviT_T9_T10_S5_lS7_S5_lS6_T11_S5_li
		.amdhsa_group_segment_fixed_size 4096
		.amdhsa_private_segment_fixed_size 0
		.amdhsa_kernarg_size 100
		.amdhsa_user_sgpr_count 2
		.amdhsa_user_sgpr_dispatch_ptr 0
		.amdhsa_user_sgpr_queue_ptr 0
		.amdhsa_user_sgpr_kernarg_segment_ptr 1
		.amdhsa_user_sgpr_dispatch_id 0
		.amdhsa_user_sgpr_kernarg_preload_length 0
		.amdhsa_user_sgpr_kernarg_preload_offset 0
		.amdhsa_user_sgpr_private_segment_size 0
		.amdhsa_wavefront_size32 1
		.amdhsa_uses_dynamic_stack 0
		.amdhsa_enable_private_segment 0
		.amdhsa_system_sgpr_workgroup_id_x 1
		.amdhsa_system_sgpr_workgroup_id_y 1
		.amdhsa_system_sgpr_workgroup_id_z 1
		.amdhsa_system_sgpr_workgroup_info 0
		.amdhsa_system_vgpr_workitem_id 1
		.amdhsa_next_free_vgpr 54
		.amdhsa_next_free_sgpr 34
		.amdhsa_named_barrier_count 0
		.amdhsa_reserve_vcc 1
		.amdhsa_float_round_mode_32 0
		.amdhsa_float_round_mode_16_64 0
		.amdhsa_float_denorm_mode_32 3
		.amdhsa_float_denorm_mode_16_64 3
		.amdhsa_fp16_overflow 0
		.amdhsa_memory_ordered 1
		.amdhsa_forward_progress 1
		.amdhsa_inst_pref_size 26
		.amdhsa_round_robin_scheduling 0
		.amdhsa_exception_fp_ieee_invalid_op 0
		.amdhsa_exception_fp_denorm_src 0
		.amdhsa_exception_fp_ieee_div_zero 0
		.amdhsa_exception_fp_ieee_overflow 0
		.amdhsa_exception_fp_ieee_underflow 0
		.amdhsa_exception_fp_ieee_inexact 0
		.amdhsa_exception_int_div_zero 0
	.end_amdhsa_kernel
	.section	.text._ZL29rocblas_internal_gemmt_kernelIiLi16ELi32ELi8ELc67ELc78ELc76ELb1ELb0E19rocblas_complex_numIfEPKS1_S3_PS1_EviT_T9_T10_S5_lS7_S5_lS6_T11_S5_li,"axG",@progbits,_ZL29rocblas_internal_gemmt_kernelIiLi16ELi32ELi8ELc67ELc78ELc76ELb1ELb0E19rocblas_complex_numIfEPKS1_S3_PS1_EviT_T9_T10_S5_lS7_S5_lS6_T11_S5_li,comdat
.Lfunc_end87:
	.size	_ZL29rocblas_internal_gemmt_kernelIiLi16ELi32ELi8ELc67ELc78ELc76ELb1ELb0E19rocblas_complex_numIfEPKS1_S3_PS1_EviT_T9_T10_S5_lS7_S5_lS6_T11_S5_li, .Lfunc_end87-_ZL29rocblas_internal_gemmt_kernelIiLi16ELi32ELi8ELc67ELc78ELc76ELb1ELb0E19rocblas_complex_numIfEPKS1_S3_PS1_EviT_T9_T10_S5_lS7_S5_lS6_T11_S5_li
                                        ; -- End function
	.set _ZL29rocblas_internal_gemmt_kernelIiLi16ELi32ELi8ELc67ELc78ELc76ELb1ELb0E19rocblas_complex_numIfEPKS1_S3_PS1_EviT_T9_T10_S5_lS7_S5_lS6_T11_S5_li.num_vgpr, 54
	.set _ZL29rocblas_internal_gemmt_kernelIiLi16ELi32ELi8ELc67ELc78ELc76ELb1ELb0E19rocblas_complex_numIfEPKS1_S3_PS1_EviT_T9_T10_S5_lS7_S5_lS6_T11_S5_li.num_agpr, 0
	.set _ZL29rocblas_internal_gemmt_kernelIiLi16ELi32ELi8ELc67ELc78ELc76ELb1ELb0E19rocblas_complex_numIfEPKS1_S3_PS1_EviT_T9_T10_S5_lS7_S5_lS6_T11_S5_li.numbered_sgpr, 34
	.set _ZL29rocblas_internal_gemmt_kernelIiLi16ELi32ELi8ELc67ELc78ELc76ELb1ELb0E19rocblas_complex_numIfEPKS1_S3_PS1_EviT_T9_T10_S5_lS7_S5_lS6_T11_S5_li.num_named_barrier, 0
	.set _ZL29rocblas_internal_gemmt_kernelIiLi16ELi32ELi8ELc67ELc78ELc76ELb1ELb0E19rocblas_complex_numIfEPKS1_S3_PS1_EviT_T9_T10_S5_lS7_S5_lS6_T11_S5_li.private_seg_size, 0
	.set _ZL29rocblas_internal_gemmt_kernelIiLi16ELi32ELi8ELc67ELc78ELc76ELb1ELb0E19rocblas_complex_numIfEPKS1_S3_PS1_EviT_T9_T10_S5_lS7_S5_lS6_T11_S5_li.uses_vcc, 1
	.set _ZL29rocblas_internal_gemmt_kernelIiLi16ELi32ELi8ELc67ELc78ELc76ELb1ELb0E19rocblas_complex_numIfEPKS1_S3_PS1_EviT_T9_T10_S5_lS7_S5_lS6_T11_S5_li.uses_flat_scratch, 0
	.set _ZL29rocblas_internal_gemmt_kernelIiLi16ELi32ELi8ELc67ELc78ELc76ELb1ELb0E19rocblas_complex_numIfEPKS1_S3_PS1_EviT_T9_T10_S5_lS7_S5_lS6_T11_S5_li.has_dyn_sized_stack, 0
	.set _ZL29rocblas_internal_gemmt_kernelIiLi16ELi32ELi8ELc67ELc78ELc76ELb1ELb0E19rocblas_complex_numIfEPKS1_S3_PS1_EviT_T9_T10_S5_lS7_S5_lS6_T11_S5_li.has_recursion, 0
	.set _ZL29rocblas_internal_gemmt_kernelIiLi16ELi32ELi8ELc67ELc78ELc76ELb1ELb0E19rocblas_complex_numIfEPKS1_S3_PS1_EviT_T9_T10_S5_lS7_S5_lS6_T11_S5_li.has_indirect_call, 0
	.section	.AMDGPU.csdata,"",@progbits
; Kernel info:
; codeLenInByte = 3284
; TotalNumSgprs: 36
; NumVgprs: 54
; ScratchSize: 0
; MemoryBound: 0
; FloatMode: 240
; IeeeMode: 1
; LDSByteSize: 4096 bytes/workgroup (compile time only)
; SGPRBlocks: 0
; VGPRBlocks: 3
; NumSGPRsForWavesPerEU: 36
; NumVGPRsForWavesPerEU: 54
; NamedBarCnt: 0
; Occupancy: 16
; WaveLimiterHint : 0
; COMPUTE_PGM_RSRC2:SCRATCH_EN: 0
; COMPUTE_PGM_RSRC2:USER_SGPR: 2
; COMPUTE_PGM_RSRC2:TRAP_HANDLER: 0
; COMPUTE_PGM_RSRC2:TGID_X_EN: 1
; COMPUTE_PGM_RSRC2:TGID_Y_EN: 1
; COMPUTE_PGM_RSRC2:TGID_Z_EN: 1
; COMPUTE_PGM_RSRC2:TIDIG_COMP_CNT: 1
	.section	.text._ZL29rocblas_internal_gemmt_kernelIiLi16ELi32ELi8ELc67ELc84ELc76ELb1ELb0E19rocblas_complex_numIfEPKS1_S3_PS1_EviT_T9_T10_S5_lS7_S5_lS6_T11_S5_li,"axG",@progbits,_ZL29rocblas_internal_gemmt_kernelIiLi16ELi32ELi8ELc67ELc84ELc76ELb1ELb0E19rocblas_complex_numIfEPKS1_S3_PS1_EviT_T9_T10_S5_lS7_S5_lS6_T11_S5_li,comdat
	.globl	_ZL29rocblas_internal_gemmt_kernelIiLi16ELi32ELi8ELc67ELc84ELc76ELb1ELb0E19rocblas_complex_numIfEPKS1_S3_PS1_EviT_T9_T10_S5_lS7_S5_lS6_T11_S5_li ; -- Begin function _ZL29rocblas_internal_gemmt_kernelIiLi16ELi32ELi8ELc67ELc84ELc76ELb1ELb0E19rocblas_complex_numIfEPKS1_S3_PS1_EviT_T9_T10_S5_lS7_S5_lS6_T11_S5_li
	.p2align	8
	.type	_ZL29rocblas_internal_gemmt_kernelIiLi16ELi32ELi8ELc67ELc84ELc76ELb1ELb0E19rocblas_complex_numIfEPKS1_S3_PS1_EviT_T9_T10_S5_lS7_S5_lS6_T11_S5_li,@function
_ZL29rocblas_internal_gemmt_kernelIiLi16ELi32ELi8ELc67ELc84ELc76ELb1ELb0E19rocblas_complex_numIfEPKS1_S3_PS1_EviT_T9_T10_S5_lS7_S5_lS6_T11_S5_li: ; @_ZL29rocblas_internal_gemmt_kernelIiLi16ELi32ELi8ELc67ELc84ELc76ELb1ELb0E19rocblas_complex_numIfEPKS1_S3_PS1_EviT_T9_T10_S5_lS7_S5_lS6_T11_S5_li
; %bb.0:
	s_load_b128 s[8:11], s[0:1], 0x38
	s_wait_kmcnt 0x0
	s_load_b64 s[20:21], s[10:11], 0x0
	s_clause 0x1
	s_load_b128 s[4:7], s[0:1], 0x8
	s_load_b64 s[22:23], s[0:1], 0x0
	s_wait_kmcnt 0x0
	s_cmp_neq_f32 s20, 1.0
	s_load_b64 s[10:11], s[4:5], 0x0
	s_cselect_b32 s2, -1, 0
	s_and_b32 s3, s21, 0x7fffffff
	s_delay_alu instid0(SALU_CYCLE_1) | instskip(SKIP_3) | instid1(SALU_CYCLE_1)
	s_cmp_eq_u32 s3, 0
	s_cselect_b32 s30, -1, 0
	s_cmp_lg_u32 s3, 0
	s_cselect_b32 s3, -1, 0
	s_or_b32 s2, s2, s3
	s_delay_alu instid0(SALU_CYCLE_1)
	s_and_b32 vcc_lo, exec_lo, s2
	s_cbranch_vccnz .LBB88_2
; %bb.1:
	s_cmp_lg_u32 s23, 0
	s_cselect_b32 s2, -1, 0
	s_wait_kmcnt 0x0
	s_cmp_neq_f32 s10, 0
	s_cselect_b32 s3, -1, 0
	s_cmp_neq_f32 s11, 0
	s_cselect_b32 s4, -1, 0
	s_delay_alu instid0(SALU_CYCLE_1) | instskip(NEXT) | instid1(SALU_CYCLE_1)
	s_or_b32 s3, s3, s4
	s_and_b32 s2, s2, s3
.LBB88_2:
	s_delay_alu instid0(SALU_CYCLE_1)
	s_and_not1_b32 vcc_lo, exec_lo, s2
	s_cbranch_vccnz .LBB88_35
; %bb.3:
	s_load_b32 s19, s[0:1], 0x60
	s_bfe_u32 s2, ttmp6, 0x40014
	s_lshr_b32 s3, ttmp7, 16
	s_add_co_i32 s2, s2, 1
	s_wait_xcnt 0x0
	s_bfe_u32 s5, ttmp6, 0x40008
	s_mul_i32 s2, s3, s2
	s_getreg_b32 s4, hwreg(HW_REG_IB_STS2, 6, 4)
	s_add_co_i32 s5, s5, s2
	s_cmp_eq_u32 s4, 0
	s_mov_b32 s25, 0
	s_cselect_b32 s24, s3, s5
	s_wait_kmcnt 0x0
	s_cmp_ge_u32 s24, s19
	s_cbranch_scc1 .LBB88_35
; %bb.4:
	s_clause 0x4
	s_load_b32 s2, s[0:1], 0x18
	s_load_b32 s28, s[0:1], 0x30
	s_load_b96 s[16:18], s[0:1], 0x48
	s_load_b128 s[12:15], s[0:1], 0x20
	s_load_b64 s[26:27], s[0:1], 0x58
	s_wait_xcnt 0x0
	s_bfe_u32 s1, ttmp6, 0x4000c
	s_bfe_u32 s3, ttmp6, 0x40010
	v_and_b32_e32 v6, 0x3ff, v0
	v_bfe_u32 v9, v0, 10, 10
	s_and_b32 s31, ttmp7, 0xffff
	s_add_co_i32 s1, s1, 1
	s_add_co_i32 s3, s3, 1
	s_and_b32 s0, ttmp6, 15
	s_bfe_u32 s5, ttmp6, 0x40004
	s_mul_i32 s1, ttmp9, s1
	s_mul_i32 s3, s31, s3
	s_add_co_i32 s0, s0, s1
	s_add_co_i32 s1, s5, s3
	v_lshl_add_u32 v1, v9, 4, v6
	v_and_b32_e32 v4, 7, v0
	s_wait_kmcnt 0x0
	s_ashr_i32 s3, s2, 31
	s_ashr_i32 s29, s28, 31
	s_ashr_i32 s5, s18, 31
	s_cmp_eq_u32 s4, 0
	v_dual_lshrrev_b32 v25, 5, v1 :: v_dual_lshrrev_b32 v3, 3, v1
	s_cselect_b32 s1, s31, s1
	s_cselect_b32 s0, ttmp9, s0
	s_lshl_b32 s1, s1, 5
	s_delay_alu instid0(VALU_DEP_1) | instid1(SALU_CYCLE_1)
	v_dual_add_nc_u32 v2, s1, v3 :: v_dual_bitop2_b32 v5, 31, v1 bitop3:0x40
	s_lshl_b32 s31, s0, 5
	s_mov_b32 s4, s18
	s_cmp_neq_f32 s10, 0
	s_delay_alu instid0(VALU_DEP_1) | instskip(SKIP_2) | instid1(VALU_DEP_1)
	v_dual_lshlrev_b32 v5, 3, v5 :: v_dual_bitop2_b32 v0, s31, v5 bitop3:0x54
	s_cselect_b32 s0, -1, 0
	s_cmp_neq_f32 s11, 0
	v_ashrrev_i32_e32 v1, 31, v0
	v_lshlrev_b32_e32 v7, 3, v4
	v_cmp_gt_i32_e32 vcc_lo, s22, v0
	s_cselect_b32 s18, -1, 0
	s_delay_alu instid0(VALU_DEP_3) | instskip(NEXT) | instid1(VALU_DEP_3)
	v_mul_u64_e32 v[16:17], s[2:3], v[0:1]
	v_lshl_or_b32 v3, v3, 6, v7
	v_mov_b32_e32 v7, 0
	v_lshl_or_b32 v27, v25, 8, v5
	v_dual_add_nc_u32 v0, s1, v9 :: v_dual_lshlrev_b32 v31, 3, v6
	s_delay_alu instid0(VALU_DEP_4) | instskip(NEXT) | instid1(VALU_DEP_4)
	v_add_nc_u32_e32 v29, 0x800, v3
	v_dual_mov_b32 v5, v7 :: v_dual_ashrrev_i32 v3, 31, v2
	s_delay_alu instid0(VALU_DEP_3) | instskip(SKIP_1) | instid1(VALU_DEP_3)
	v_dual_add_nc_u32 v20, 16, v0 :: v_dual_ashrrev_i32 v1, 31, v0
	v_add_nc_u32_e32 v8, s31, v6
	v_mul_u64_e32 v[18:19], s[28:29], v[4:5]
	s_delay_alu instid0(VALU_DEP_3) | instskip(NEXT) | instid1(VALU_DEP_4)
	v_dual_lshlrev_b32 v6, 3, v25 :: v_dual_ashrrev_i32 v21, 31, v20
	v_mul_u64_e32 v[10:11], s[4:5], v[0:1]
	s_delay_alu instid0(VALU_DEP_4)
	v_add_nc_u32_e32 v12, 16, v8
	s_or_b32 s33, s0, s18
	v_cmp_gt_i32_e64 s0, s22, v2
	v_mul_u64_e32 v[14:15], s[4:5], v[20:21]
	v_cmp_le_i32_e64 s1, v0, v8
	v_cmp_le_i32_e64 s3, v0, v12
	v_lshlrev_b64_e32 v[2:3], 3, v[2:3]
	s_cmp_gt_i32 s23, 0
	v_cmp_gt_i32_e64 s2, s22, v8
	v_cmp_gt_i32_e64 s4, s22, v12
	s_cselect_b32 s34, -1, 0
	s_cmp_neq_f32 s20, 0
	v_lshl_add_u32 v5, v9, 6, 0x800
	v_ashrrev_i32_e32 v9, 31, v8
	v_ashrrev_i32_e32 v13, 31, v12
	s_cselect_b32 s18, -1, 0
	v_lshl_add_u64 v[0:1], v[16:17], 3, v[6:7]
	s_xor_b32 s5, s30, -1
	s_and_b32 s22, s1, s2
	s_and_b32 s30, s3, s4
	v_cmp_le_i32_e64 s1, v20, v8
	v_add_nc_u64_e32 v[0:1], s[6:7], v[0:1]
	v_cmp_le_i32_e64 s3, v20, v12
	s_or_b32 s18, s18, s5
	s_mov_b32 s5, s10
	s_and_b32 s1, s1, s2
	s_mov_b32 s2, s20
	s_and_b32 s31, s3, s4
	v_lshl_add_u64 v[2:3], v[18:19], 3, v[2:3]
	v_add_nc_u64_e32 v[16:17], 4, v[0:1]
	s_mov_b32 s3, s20
	s_mov_b32 s20, s21
	;; [unrolled: 1-line block ×3, first 2 shown]
	v_add_nc_u64_e32 v[18:19], s[14:15], v[2:3]
	s_lshl_b64 s[6:7], s[12:13], 3
	s_and_b32 s33, s33, s34
	s_lshl_b64 s[8:9], s[8:9], 3
	s_lshl_b64 s[12:13], s[28:29], 6
	s_xor_b32 s28, vcc_lo, -1
	s_branch .LBB88_6
.LBB88_5:                               ;   in Loop: Header=BB88_6 Depth=1
	s_wait_xcnt 0x0
	s_or_b32 exec_lo, exec_lo, s14
	s_add_co_i32 s24, s24, 0x10000
	s_delay_alu instid0(SALU_CYCLE_1)
	s_cmp_lt_u32 s24, s19
	s_cbranch_scc0 .LBB88_35
.LBB88_6:                               ; =>This Loop Header: Depth=1
                                        ;     Child Loop BB88_9 Depth 2
	v_dual_mov_b32 v34, 0 :: v_dual_mov_b32 v36, 0
	v_dual_mov_b32 v30, 0 :: v_dual_mov_b32 v32, 0
	;; [unrolled: 1-line block ×4, first 2 shown]
	s_and_not1_b32 vcc_lo, exec_lo, s33
	s_cbranch_vccnz .LBB88_15
; %bb.7:                                ;   in Loop: Header=BB88_6 Depth=1
	v_mad_nc_u64_u32 v[20:21], s6, s24, v[16:17]
	v_mad_nc_u64_u32 v[22:23], s8, s24, v[18:19]
	v_dual_mov_b32 v24, 0 :: v_dual_mov_b32 v6, 0
	v_dual_mov_b32 v28, 0 :: v_dual_mov_b32 v26, 0
	;; [unrolled: 1-line block ×4, first 2 shown]
	s_mov_b32 s14, 0
	v_mad_u32 v21, s7, s24, v21
	v_mad_u32 v23, s9, s24, v23
	s_branch .LBB88_9
.LBB88_8:                               ;   in Loop: Header=BB88_9 Depth=2
	s_wait_xcnt 0x0
	s_or_b32 exec_lo, exec_lo, s15
	s_wait_loadcnt 0x0
	ds_store_b64 v29, v[0:1]
	s_wait_dscnt 0x0
	s_barrier_signal -1
	s_barrier_wait -1
	ds_load_b128 v[38:41], v5
	ds_load_b128 v[42:45], v5 offset:16
	ds_load_b128 v[46:49], v5 offset:32
	;; [unrolled: 1-line block ×3, first 2 shown]
	ds_load_2addr_b64 v[50:53], v31 offset1:16
	v_add_nc_u64_e32 v[20:21], 64, v[20:21]
	v_add_nc_u64_e32 v[22:23], s[12:13], v[22:23]
	s_add_co_i32 s14, s14, 8
	s_delay_alu instid0(SALU_CYCLE_1) | instskip(SKIP_2) | instid1(VALU_DEP_1)
	s_cmp_lt_i32 s14, s23
	s_wait_dscnt 0x0
	v_dual_mul_f32 v33, v39, v51 :: v_dual_mul_f32 v35, v38, v51
	v_dual_fma_f32 v33, v38, v50, -v33 :: v_dual_fmac_f32 v35, v39, v50
	s_delay_alu instid0(VALU_DEP_1) | instskip(SKIP_1) | instid1(VALU_DEP_1)
	v_dual_add_f32 v54, v34, v33 :: v_dual_add_f32 v55, v36, v35
	v_dual_mul_f32 v33, v39, v53 :: v_dual_mul_f32 v34, v38, v53
	v_dual_fma_f32 v33, v38, v52, -v33 :: v_dual_fmac_f32 v34, v39, v52
	s_delay_alu instid0(VALU_DEP_1) | instskip(SKIP_3) | instid1(VALU_DEP_1)
	v_dual_add_f32 v30, v30, v33 :: v_dual_add_f32 v56, v32, v34
	ds_load_b128 v[32:35], v5 offset:1024
	s_wait_dscnt 0x0
	v_dual_mul_f32 v36, v33, v51 :: v_dual_mul_f32 v37, v32, v51
	v_dual_fma_f32 v36, v32, v50, -v36 :: v_dual_fmac_f32 v37, v33, v50
	s_delay_alu instid0(VALU_DEP_1) | instskip(SKIP_1) | instid1(VALU_DEP_1)
	v_dual_add_f32 v26, v26, v36 :: v_dual_add_f32 v28, v28, v37
	v_mul_f32_e32 v36, v33, v53
	v_dual_fma_f32 v36, v32, v52, -v36 :: v_dual_mul_f32 v32, v32, v53
	s_delay_alu instid0(VALU_DEP_1) | instskip(SKIP_3) | instid1(VALU_DEP_1)
	v_add_f32_e32 v6, v6, v36
	ds_load_2addr_b64 v[36:39], v31 offset0:32 offset1:48
	s_wait_dscnt 0x0
	v_dual_fmac_f32 v32, v33, v52 :: v_dual_mul_f32 v33, v40, v37
	v_dual_add_f32 v24, v24, v32 :: v_dual_mul_f32 v32, v41, v37
	s_delay_alu instid0(VALU_DEP_1) | instskip(NEXT) | instid1(VALU_DEP_1)
	v_dual_fmac_f32 v33, v41, v36 :: v_dual_fma_f32 v32, v40, v36, -v32
	v_dual_add_f32 v50, v54, v32 :: v_dual_mul_f32 v32, v41, v39
	s_delay_alu instid0(VALU_DEP_1) | instskip(NEXT) | instid1(VALU_DEP_1)
	v_dual_add_f32 v51, v55, v33 :: v_dual_fma_f32 v32, v40, v38, -v32
	v_dual_mul_f32 v33, v40, v39 :: v_dual_add_f32 v30, v30, v32
	s_delay_alu instid0(VALU_DEP_1) | instskip(NEXT) | instid1(VALU_DEP_1)
	v_dual_fmac_f32 v33, v41, v38 :: v_dual_mul_f32 v32, v35, v37
	v_dual_add_f32 v40, v56, v33 :: v_dual_fma_f32 v32, v34, v36, -v32
	v_mul_f32_e32 v33, v34, v37
	s_delay_alu instid0(VALU_DEP_2) | instskip(NEXT) | instid1(VALU_DEP_1)
	v_dual_add_f32 v26, v26, v32 :: v_dual_mul_f32 v32, v35, v39
	v_dual_fmac_f32 v33, v35, v36 :: v_dual_fma_f32 v32, v34, v38, -v32
	s_delay_alu instid0(VALU_DEP_1) | instskip(NEXT) | instid1(VALU_DEP_1)
	v_dual_add_f32 v28, v28, v33 :: v_dual_mul_f32 v33, v34, v39
	v_dual_add_f32 v6, v6, v32 :: v_dual_fmac_f32 v33, v35, v38
	s_delay_alu instid0(VALU_DEP_1) | instskip(SKIP_3) | instid1(VALU_DEP_1)
	v_add_f32_e32 v24, v24, v33
	ds_load_2addr_b64 v[32:35], v31 offset0:64 offset1:80
	s_wait_dscnt 0x0
	v_dual_mul_f32 v36, v43, v33 :: v_dual_mul_f32 v37, v42, v33
	v_dual_fma_f32 v36, v42, v32, -v36 :: v_dual_fmac_f32 v37, v43, v32
	s_delay_alu instid0(VALU_DEP_1) | instskip(SKIP_1) | instid1(VALU_DEP_1)
	v_dual_add_f32 v41, v50, v36 :: v_dual_add_f32 v50, v51, v37
	v_dual_mul_f32 v36, v43, v35 :: v_dual_mul_f32 v37, v42, v35
	v_dual_fma_f32 v36, v42, v34, -v36 :: v_dual_fmac_f32 v37, v43, v34
	s_delay_alu instid0(VALU_DEP_1) | instskip(SKIP_3) | instid1(VALU_DEP_1)
	v_dual_add_f32 v30, v30, v36 :: v_dual_add_f32 v40, v40, v37
	ds_load_b128 v[36:39], v5 offset:1040
	s_wait_dscnt 0x0
	v_dual_mul_f32 v42, v37, v33 :: v_dual_mul_f32 v33, v36, v33
	v_dual_fma_f32 v42, v36, v32, -v42 :: v_dual_fmac_f32 v33, v37, v32
	s_delay_alu instid0(VALU_DEP_1) | instskip(NEXT) | instid1(VALU_DEP_2)
	v_dual_mul_f32 v32, v37, v35 :: v_dual_add_f32 v26, v26, v42
	v_add_f32_e32 v28, v28, v33
	s_delay_alu instid0(VALU_DEP_2) | instskip(NEXT) | instid1(VALU_DEP_1)
	v_dual_mul_f32 v33, v36, v35 :: v_dual_fma_f32 v32, v36, v34, -v32
	v_dual_fmac_f32 v33, v37, v34 :: v_dual_add_f32 v6, v6, v32
	s_delay_alu instid0(VALU_DEP_1) | instskip(SKIP_3) | instid1(VALU_DEP_1)
	v_add_f32_e32 v24, v24, v33
	ds_load_2addr_b64 v[32:35], v31 offset0:96 offset1:112
	s_wait_dscnt 0x0
	v_dual_mul_f32 v36, v45, v33 :: v_dual_mul_f32 v37, v44, v33
	v_dual_mul_f32 v42, v44, v35 :: v_dual_fma_f32 v36, v44, v32, -v36
	s_delay_alu instid0(VALU_DEP_1) | instskip(NEXT) | instid1(VALU_DEP_1)
	v_dual_fmac_f32 v37, v45, v32 :: v_dual_fmac_f32 v42, v45, v34
	v_dual_add_f32 v36, v41, v36 :: v_dual_add_f32 v37, v50, v37
	s_delay_alu instid0(VALU_DEP_2) | instskip(NEXT) | instid1(VALU_DEP_1)
	v_dual_mul_f32 v41, v45, v35 :: v_dual_add_f32 v40, v40, v42
	v_fma_f32 v41, v44, v34, -v41
	s_delay_alu instid0(VALU_DEP_1) | instskip(SKIP_1) | instid1(VALU_DEP_1)
	v_add_f32_e32 v30, v30, v41
	v_dual_mul_f32 v41, v39, v33 :: v_dual_mul_f32 v33, v38, v33
	v_fmac_f32_e32 v33, v39, v32
	s_delay_alu instid0(VALU_DEP_2) | instskip(NEXT) | instid1(VALU_DEP_2)
	v_dual_fma_f32 v41, v38, v32, -v41 :: v_dual_mul_f32 v32, v39, v35
	v_dual_add_f32 v28, v28, v33 :: v_dual_mul_f32 v33, v38, v35
	s_delay_alu instid0(VALU_DEP_2) | instskip(NEXT) | instid1(VALU_DEP_2)
	v_fma_f32 v32, v38, v34, -v32
	v_dual_add_f32 v26, v26, v41 :: v_dual_fmac_f32 v33, v39, v34
	s_delay_alu instid0(VALU_DEP_1) | instskip(SKIP_3) | instid1(VALU_DEP_1)
	v_dual_add_f32 v6, v6, v32 :: v_dual_add_f32 v24, v24, v33
	ds_load_2addr_b64 v[32:35], v31 offset0:128 offset1:144
	s_wait_dscnt 0x0
	v_dual_mul_f32 v38, v47, v33 :: v_dual_mul_f32 v39, v46, v33
	v_dual_fma_f32 v38, v46, v32, -v38 :: v_dual_fmac_f32 v39, v47, v32
	s_delay_alu instid0(VALU_DEP_1) | instskip(SKIP_1) | instid1(VALU_DEP_1)
	v_dual_add_f32 v41, v36, v38 :: v_dual_add_f32 v42, v37, v39
	v_dual_mul_f32 v36, v47, v35 :: v_dual_mul_f32 v37, v46, v35
	v_dual_fma_f32 v36, v46, v34, -v36 :: v_dual_fmac_f32 v37, v47, v34
	s_delay_alu instid0(VALU_DEP_1) | instskip(SKIP_3) | instid1(VALU_DEP_1)
	v_dual_add_f32 v30, v30, v36 :: v_dual_add_f32 v40, v40, v37
	ds_load_b128 v[36:39], v5 offset:1056
	s_wait_dscnt 0x0
	v_dual_mul_f32 v43, v37, v33 :: v_dual_mul_f32 v33, v36, v33
	v_dual_fma_f32 v43, v36, v32, -v43 :: v_dual_fmac_f32 v33, v37, v32
	v_mul_f32_e32 v32, v37, v35
	s_delay_alu instid0(VALU_DEP_2) | instskip(NEXT) | instid1(VALU_DEP_2)
	v_dual_add_f32 v26, v26, v43 :: v_dual_add_f32 v28, v28, v33
	v_dual_mul_f32 v33, v36, v35 :: v_dual_fma_f32 v32, v36, v34, -v32
	s_delay_alu instid0(VALU_DEP_1) | instskip(NEXT) | instid1(VALU_DEP_1)
	v_dual_fmac_f32 v33, v37, v34 :: v_dual_add_f32 v6, v6, v32
	v_add_f32_e32 v24, v24, v33
	ds_load_2addr_b64 v[32:35], v31 offset0:160 offset1:176
	s_wait_dscnt 0x0
	v_dual_mul_f32 v36, v49, v33 :: v_dual_mul_f32 v37, v48, v33
	s_delay_alu instid0(VALU_DEP_1) | instskip(NEXT) | instid1(VALU_DEP_1)
	v_dual_fma_f32 v36, v48, v32, -v36 :: v_dual_fmac_f32 v37, v49, v32
	v_dual_add_f32 v36, v41, v36 :: v_dual_add_f32 v37, v42, v37
	v_dual_mul_f32 v41, v49, v35 :: v_dual_mul_f32 v42, v48, v35
	s_delay_alu instid0(VALU_DEP_1) | instskip(NEXT) | instid1(VALU_DEP_1)
	v_dual_fma_f32 v41, v48, v34, -v41 :: v_dual_fmac_f32 v42, v49, v34
	v_dual_add_f32 v30, v30, v41 :: v_dual_add_f32 v40, v40, v42
	v_dual_mul_f32 v41, v39, v33 :: v_dual_mul_f32 v33, v38, v33
	s_delay_alu instid0(VALU_DEP_1) | instskip(NEXT) | instid1(VALU_DEP_2)
	v_fmac_f32_e32 v33, v39, v32
	v_dual_fma_f32 v41, v38, v32, -v41 :: v_dual_mul_f32 v32, v39, v35
	s_delay_alu instid0(VALU_DEP_2) | instskip(NEXT) | instid1(VALU_DEP_2)
	v_dual_add_f32 v28, v28, v33 :: v_dual_mul_f32 v33, v38, v35
	v_fma_f32 v32, v38, v34, -v32
	s_delay_alu instid0(VALU_DEP_2) | instskip(NEXT) | instid1(VALU_DEP_1)
	v_dual_add_f32 v26, v26, v41 :: v_dual_fmac_f32 v33, v39, v34
	v_dual_add_f32 v6, v6, v32 :: v_dual_add_f32 v24, v24, v33
	ds_load_2addr_b64 v[32:35], v31 offset0:192 offset1:208
	s_wait_dscnt 0x0
	v_dual_mul_f32 v38, v1, v33 :: v_dual_mul_f32 v39, v0, v33
	s_delay_alu instid0(VALU_DEP_1) | instskip(NEXT) | instid1(VALU_DEP_1)
	v_dual_fma_f32 v38, v0, v32, -v38 :: v_dual_fmac_f32 v39, v1, v32
	v_dual_add_f32 v44, v36, v38 :: v_dual_add_f32 v45, v37, v39
	v_mul_f32_e32 v36, v1, v35
	s_delay_alu instid0(VALU_DEP_1) | instskip(NEXT) | instid1(VALU_DEP_1)
	v_dual_fma_f32 v36, v0, v34, -v36 :: v_dual_mul_f32 v0, v0, v35
	v_dual_fmac_f32 v0, v1, v34 :: v_dual_add_f32 v1, v30, v36
	ds_load_b128 v[36:39], v5 offset:1072
	s_wait_dscnt 0x0
	v_dual_mul_f32 v30, v37, v33 :: v_dual_mul_f32 v33, v36, v33
	s_delay_alu instid0(VALU_DEP_1)
	v_fma_f32 v30, v36, v32, -v30
	v_add_f32_e32 v0, v40, v0
	ds_load_2addr_b64 v[40:43], v31 offset0:224 offset1:240
	v_dual_fmac_f32 v33, v37, v32 :: v_dual_mul_f32 v32, v36, v35
	v_dual_add_f32 v26, v26, v30 :: v_dual_mul_f32 v30, v37, v35
	s_wait_dscnt 0x0
	s_delay_alu instid0(VALU_DEP_2) | instskip(SKIP_1) | instid1(VALU_DEP_2)
	v_dual_add_f32 v28, v28, v33 :: v_dual_fmac_f32 v32, v37, v34
	s_barrier_signal -1
	v_fma_f32 v30, v36, v34, -v30
	s_barrier_wait -1
	s_delay_alu instid0(VALU_DEP_1) | instskip(SKIP_1) | instid1(VALU_DEP_1)
	v_dual_add_f32 v24, v24, v32 :: v_dual_add_f32 v6, v6, v30
	v_dual_mul_f32 v30, v3, v41 :: v_dual_mul_f32 v32, v2, v41
	v_dual_fma_f32 v30, v2, v40, -v30 :: v_dual_fmac_f32 v32, v3, v40
	s_delay_alu instid0(VALU_DEP_1) | instskip(SKIP_1) | instid1(VALU_DEP_1)
	v_dual_add_f32 v34, v44, v30 :: v_dual_add_f32 v36, v45, v32
	v_mul_f32_e32 v30, v3, v43
	v_dual_fma_f32 v30, v2, v42, -v30 :: v_dual_mul_f32 v2, v2, v43
	s_delay_alu instid0(VALU_DEP_1) | instskip(NEXT) | instid1(VALU_DEP_1)
	v_fmac_f32_e32 v2, v3, v42
	v_dual_add_f32 v32, v0, v2 :: v_dual_mul_f32 v0, v39, v41
	s_delay_alu instid0(VALU_DEP_3) | instskip(NEXT) | instid1(VALU_DEP_1)
	v_dual_add_f32 v30, v1, v30 :: v_dual_mul_f32 v1, v38, v41
	v_dual_fma_f32 v0, v38, v40, -v0 :: v_dual_fmac_f32 v1, v39, v40
	s_delay_alu instid0(VALU_DEP_1) | instskip(NEXT) | instid1(VALU_DEP_2)
	v_dual_add_f32 v26, v26, v0 :: v_dual_mul_f32 v0, v39, v43
	v_dual_add_f32 v28, v28, v1 :: v_dual_mul_f32 v1, v38, v43
	s_delay_alu instid0(VALU_DEP_1) | instskip(NEXT) | instid1(VALU_DEP_1)
	v_dual_fma_f32 v0, v38, v42, -v0 :: v_dual_fmac_f32 v1, v39, v42
	v_dual_add_f32 v6, v6, v0 :: v_dual_add_f32 v24, v24, v1
	s_cbranch_scc0 .LBB88_15
.LBB88_9:                               ;   Parent Loop BB88_6 Depth=1
                                        ; =>  This Inner Loop Header: Depth=2
	v_add_nc_u32_e32 v0, s14, v25
	s_delay_alu instid0(VALU_DEP_1) | instskip(SKIP_1) | instid1(SALU_CYCLE_1)
	v_cmp_le_i32_e32 vcc_lo, s23, v0
	s_or_b32 s15, s28, vcc_lo
	s_and_saveexec_b32 s29, s15
	s_delay_alu instid0(SALU_CYCLE_1)
	s_xor_b32 s15, exec_lo, s29
; %bb.10:                               ;   in Loop: Header=BB88_9 Depth=2
	ds_store_b32 v27, v7
; %bb.11:                               ;   in Loop: Header=BB88_9 Depth=2
	s_or_saveexec_b32 s15, s15
	v_dual_mov_b32 v0, 0 :: v_dual_mov_b32 v2, 0
	s_xor_b32 exec_lo, exec_lo, s15
	s_cbranch_execz .LBB88_13
; %bb.12:                               ;   in Loop: Header=BB88_9 Depth=2
	global_load_b64 v[38:39], v[20:21], off offset:-4
	s_wait_loadcnt 0x0
	v_xor_b32_e32 v2, 0x80000000, v39
	ds_store_b32 v27, v38
.LBB88_13:                              ;   in Loop: Header=BB88_9 Depth=2
	s_wait_xcnt 0x0
	s_or_b32 exec_lo, exec_lo, s15
	v_add_nc_u32_e32 v1, s14, v4
	ds_store_b32 v27, v2 offset:4
	v_cmp_gt_i32_e32 vcc_lo, s23, v1
	v_mov_b32_e32 v1, 0
	s_and_b32 s29, vcc_lo, s0
	s_delay_alu instid0(SALU_CYCLE_1)
	s_and_saveexec_b32 s15, s29
	s_cbranch_execz .LBB88_8
; %bb.14:                               ;   in Loop: Header=BB88_9 Depth=2
	global_load_b64 v[0:1], v[22:23], off
	s_branch .LBB88_8
.LBB88_15:                              ;   in Loop: Header=BB88_6 Depth=1
	s_mul_u64 s[14:15], s[26:27], s[24:25]
	s_delay_alu instid0(SALU_CYCLE_1) | instskip(NEXT) | instid1(SALU_CYCLE_1)
	s_lshl_b64 s[14:15], s[14:15], 3
	s_add_nc_u64 s[14:15], s[16:17], s[14:15]
	s_delay_alu instid0(SALU_CYCLE_1)
	v_lshl_add_u64 v[0:1], v[10:11], 3, s[14:15]
	s_and_saveexec_b32 s29, s22
	s_cbranch_execz .LBB88_20
; %bb.16:                               ;   in Loop: Header=BB88_6 Depth=1
	v_mov_b64_e32 v[2:3], s[4:5]
	v_mov_b64_e32 v[20:21], s[10:11]
	s_and_b32 vcc_lo, exec_lo, s18
	s_mov_b32 s34, -1
	s_delay_alu instid0(VALU_DEP_2) | instskip(NEXT) | instid1(VALU_DEP_1)
	v_pk_mul_f32 v[2:3], v[36:37], v[2:3] op_sel_hi:[0,1]
	v_pk_fma_f32 v[22:23], v[34:35], v[20:21], v[2:3] op_sel_hi:[0,1,1]
	v_pk_fma_f32 v[2:3], v[34:35], v[20:21], v[2:3] neg_lo:[0,0,1] neg_hi:[0,0,1]
	v_lshl_add_u64 v[20:21], v[8:9], 3, v[0:1]
	s_delay_alu instid0(VALU_DEP_3)
	v_mov_b32_e32 v3, v23
	s_cbranch_vccz .LBB88_18
; %bb.17:                               ;   in Loop: Header=BB88_6 Depth=1
	global_load_b64 v[22:23], v[20:21], off
	v_mov_b64_e32 v[34:35], s[20:21]
	v_mov_b64_e32 v[36:37], s[2:3]
	s_mov_b32 s34, 0
	s_wait_loadcnt 0x0
	s_delay_alu instid0(VALU_DEP_2) | instskip(NEXT) | instid1(VALU_DEP_1)
	v_pk_mul_f32 v[34:35], v[22:23], v[34:35]
	v_pk_fma_f32 v[38:39], v[22:23], v[36:37], v[34:35] op_sel:[0,0,1] op_sel_hi:[1,1,0]
	v_pk_fma_f32 v[22:23], v[22:23], v[36:37], v[34:35] op_sel:[0,0,1] op_sel_hi:[1,1,0] neg_lo:[0,0,1] neg_hi:[0,0,1]
	s_delay_alu instid0(VALU_DEP_2) | instskip(NEXT) | instid1(VALU_DEP_1)
	v_mov_b32_e32 v23, v39
	v_pk_add_f32 v[22:23], v[2:3], v[22:23]
	global_store_b64 v[20:21], v[22:23], off
.LBB88_18:                              ;   in Loop: Header=BB88_6 Depth=1
	s_and_not1_b32 vcc_lo, exec_lo, s34
	s_cbranch_vccnz .LBB88_20
; %bb.19:                               ;   in Loop: Header=BB88_6 Depth=1
	global_store_b64 v[20:21], v[2:3], off
.LBB88_20:                              ;   in Loop: Header=BB88_6 Depth=1
	s_wait_xcnt 0x0
	s_or_b32 exec_lo, exec_lo, s29
	s_and_saveexec_b32 s29, s30
	s_cbranch_execz .LBB88_25
; %bb.21:                               ;   in Loop: Header=BB88_6 Depth=1
	v_mov_b64_e32 v[2:3], s[4:5]
	v_mov_b64_e32 v[20:21], s[10:11]
	v_lshl_add_u64 v[0:1], v[12:13], 3, v[0:1]
	s_and_not1_b32 vcc_lo, exec_lo, s18
	s_mov_b32 s34, -1
	s_delay_alu instid0(VALU_DEP_3) | instskip(NEXT) | instid1(VALU_DEP_1)
	v_pk_mul_f32 v[2:3], v[32:33], v[2:3] op_sel_hi:[0,1]
	v_pk_fma_f32 v[22:23], v[30:31], v[20:21], v[2:3] op_sel_hi:[0,1,1]
	v_pk_fma_f32 v[2:3], v[30:31], v[20:21], v[2:3] neg_lo:[0,0,1] neg_hi:[0,0,1]
	s_delay_alu instid0(VALU_DEP_2)
	v_mov_b32_e32 v3, v23
	s_cbranch_vccnz .LBB88_23
; %bb.22:                               ;   in Loop: Header=BB88_6 Depth=1
	global_load_b64 v[20:21], v[0:1], off
	v_mov_b64_e32 v[22:23], s[20:21]
	v_mov_b64_e32 v[32:33], s[2:3]
	s_mov_b32 s34, 0
	s_wait_loadcnt 0x0
	s_delay_alu instid0(VALU_DEP_2) | instskip(NEXT) | instid1(VALU_DEP_1)
	v_pk_mul_f32 v[22:23], v[20:21], v[22:23]
	v_pk_fma_f32 v[34:35], v[20:21], v[32:33], v[22:23] op_sel:[0,0,1] op_sel_hi:[1,1,0]
	v_pk_fma_f32 v[20:21], v[20:21], v[32:33], v[22:23] op_sel:[0,0,1] op_sel_hi:[1,1,0] neg_lo:[0,0,1] neg_hi:[0,0,1]
	s_delay_alu instid0(VALU_DEP_2) | instskip(NEXT) | instid1(VALU_DEP_1)
	v_mov_b32_e32 v21, v35
	v_pk_add_f32 v[20:21], v[2:3], v[20:21]
	global_store_b64 v[0:1], v[20:21], off
.LBB88_23:                              ;   in Loop: Header=BB88_6 Depth=1
	s_and_not1_b32 vcc_lo, exec_lo, s34
	s_cbranch_vccnz .LBB88_25
; %bb.24:                               ;   in Loop: Header=BB88_6 Depth=1
	global_store_b64 v[0:1], v[2:3], off
.LBB88_25:                              ;   in Loop: Header=BB88_6 Depth=1
	s_wait_xcnt 0x0
	s_or_b32 exec_lo, exec_lo, s29
	v_lshl_add_u64 v[0:1], v[14:15], 3, s[14:15]
	s_and_saveexec_b32 s14, s1
	s_cbranch_execz .LBB88_30
; %bb.26:                               ;   in Loop: Header=BB88_6 Depth=1
	v_mov_b64_e32 v[2:3], s[4:5]
	v_mov_b64_e32 v[20:21], s[10:11]
	s_and_not1_b32 vcc_lo, exec_lo, s18
	s_mov_b32 s15, -1
	s_delay_alu instid0(VALU_DEP_2) | instskip(NEXT) | instid1(VALU_DEP_1)
	v_pk_mul_f32 v[2:3], v[28:29], v[2:3] op_sel_hi:[0,1]
	v_pk_fma_f32 v[22:23], v[26:27], v[20:21], v[2:3] op_sel_hi:[0,1,1]
	v_pk_fma_f32 v[2:3], v[26:27], v[20:21], v[2:3] neg_lo:[0,0,1] neg_hi:[0,0,1]
	v_lshl_add_u64 v[20:21], v[8:9], 3, v[0:1]
	s_delay_alu instid0(VALU_DEP_3)
	v_mov_b32_e32 v3, v23
	s_cbranch_vccnz .LBB88_28
; %bb.27:                               ;   in Loop: Header=BB88_6 Depth=1
	global_load_b64 v[22:23], v[20:21], off
	v_mov_b64_e32 v[32:33], s[20:21]
	v_mov_b64_e32 v[34:35], s[2:3]
	s_mov_b32 s15, 0
	s_wait_loadcnt 0x0
	s_delay_alu instid0(VALU_DEP_2) | instskip(NEXT) | instid1(VALU_DEP_1)
	v_pk_mul_f32 v[32:33], v[22:23], v[32:33]
	v_pk_fma_f32 v[36:37], v[22:23], v[34:35], v[32:33] op_sel:[0,0,1] op_sel_hi:[1,1,0]
	v_pk_fma_f32 v[22:23], v[22:23], v[34:35], v[32:33] op_sel:[0,0,1] op_sel_hi:[1,1,0] neg_lo:[0,0,1] neg_hi:[0,0,1]
	s_delay_alu instid0(VALU_DEP_2) | instskip(NEXT) | instid1(VALU_DEP_1)
	v_mov_b32_e32 v23, v37
	v_pk_add_f32 v[22:23], v[2:3], v[22:23]
	global_store_b64 v[20:21], v[22:23], off
.LBB88_28:                              ;   in Loop: Header=BB88_6 Depth=1
	s_and_not1_b32 vcc_lo, exec_lo, s15
	s_cbranch_vccnz .LBB88_30
; %bb.29:                               ;   in Loop: Header=BB88_6 Depth=1
	global_store_b64 v[20:21], v[2:3], off
.LBB88_30:                              ;   in Loop: Header=BB88_6 Depth=1
	s_wait_xcnt 0x0
	s_or_b32 exec_lo, exec_lo, s14
	s_and_saveexec_b32 s14, s31
	s_cbranch_execz .LBB88_5
; %bb.31:                               ;   in Loop: Header=BB88_6 Depth=1
	v_mov_b64_e32 v[2:3], s[4:5]
	v_mov_b64_e32 v[20:21], s[10:11]
	v_lshl_add_u64 v[0:1], v[12:13], 3, v[0:1]
	s_and_not1_b32 vcc_lo, exec_lo, s18
	s_mov_b32 s15, -1
	s_delay_alu instid0(VALU_DEP_3) | instskip(NEXT) | instid1(VALU_DEP_1)
	v_pk_mul_f32 v[2:3], v[24:25], v[2:3] op_sel_hi:[0,1]
	v_pk_fma_f32 v[22:23], v[6:7], v[20:21], v[2:3] op_sel_hi:[0,1,1]
	v_pk_fma_f32 v[2:3], v[6:7], v[20:21], v[2:3] neg_lo:[0,0,1] neg_hi:[0,0,1]
	s_delay_alu instid0(VALU_DEP_2)
	v_mov_b32_e32 v3, v23
	s_cbranch_vccnz .LBB88_33
; %bb.32:                               ;   in Loop: Header=BB88_6 Depth=1
	global_load_b64 v[20:21], v[0:1], off
	v_mov_b64_e32 v[22:23], s[20:21]
	v_mov_b64_e32 v[32:33], s[2:3]
	s_mov_b32 s15, 0
	s_wait_loadcnt 0x0
	s_delay_alu instid0(VALU_DEP_2) | instskip(NEXT) | instid1(VALU_DEP_1)
	v_pk_mul_f32 v[22:23], v[20:21], v[22:23]
	v_pk_fma_f32 v[34:35], v[20:21], v[32:33], v[22:23] op_sel:[0,0,1] op_sel_hi:[1,1,0]
	v_pk_fma_f32 v[20:21], v[20:21], v[32:33], v[22:23] op_sel:[0,0,1] op_sel_hi:[1,1,0] neg_lo:[0,0,1] neg_hi:[0,0,1]
	s_delay_alu instid0(VALU_DEP_2) | instskip(NEXT) | instid1(VALU_DEP_1)
	v_mov_b32_e32 v21, v35
	v_pk_add_f32 v[20:21], v[2:3], v[20:21]
	global_store_b64 v[0:1], v[20:21], off
.LBB88_33:                              ;   in Loop: Header=BB88_6 Depth=1
	s_and_not1_b32 vcc_lo, exec_lo, s15
	s_cbranch_vccnz .LBB88_5
; %bb.34:                               ;   in Loop: Header=BB88_6 Depth=1
	global_store_b64 v[0:1], v[2:3], off
	s_branch .LBB88_5
.LBB88_35:
	s_endpgm
	.section	.rodata,"a",@progbits
	.p2align	6, 0x0
	.amdhsa_kernel _ZL29rocblas_internal_gemmt_kernelIiLi16ELi32ELi8ELc67ELc84ELc76ELb1ELb0E19rocblas_complex_numIfEPKS1_S3_PS1_EviT_T9_T10_S5_lS7_S5_lS6_T11_S5_li
		.amdhsa_group_segment_fixed_size 4096
		.amdhsa_private_segment_fixed_size 0
		.amdhsa_kernarg_size 100
		.amdhsa_user_sgpr_count 2
		.amdhsa_user_sgpr_dispatch_ptr 0
		.amdhsa_user_sgpr_queue_ptr 0
		.amdhsa_user_sgpr_kernarg_segment_ptr 1
		.amdhsa_user_sgpr_dispatch_id 0
		.amdhsa_user_sgpr_kernarg_preload_length 0
		.amdhsa_user_sgpr_kernarg_preload_offset 0
		.amdhsa_user_sgpr_private_segment_size 0
		.amdhsa_wavefront_size32 1
		.amdhsa_uses_dynamic_stack 0
		.amdhsa_enable_private_segment 0
		.amdhsa_system_sgpr_workgroup_id_x 1
		.amdhsa_system_sgpr_workgroup_id_y 1
		.amdhsa_system_sgpr_workgroup_id_z 1
		.amdhsa_system_sgpr_workgroup_info 0
		.amdhsa_system_vgpr_workitem_id 1
		.amdhsa_next_free_vgpr 57
		.amdhsa_next_free_sgpr 35
		.amdhsa_named_barrier_count 0
		.amdhsa_reserve_vcc 1
		.amdhsa_float_round_mode_32 0
		.amdhsa_float_round_mode_16_64 0
		.amdhsa_float_denorm_mode_32 3
		.amdhsa_float_denorm_mode_16_64 3
		.amdhsa_fp16_overflow 0
		.amdhsa_memory_ordered 1
		.amdhsa_forward_progress 1
		.amdhsa_inst_pref_size 26
		.amdhsa_round_robin_scheduling 0
		.amdhsa_exception_fp_ieee_invalid_op 0
		.amdhsa_exception_fp_denorm_src 0
		.amdhsa_exception_fp_ieee_div_zero 0
		.amdhsa_exception_fp_ieee_overflow 0
		.amdhsa_exception_fp_ieee_underflow 0
		.amdhsa_exception_fp_ieee_inexact 0
		.amdhsa_exception_int_div_zero 0
	.end_amdhsa_kernel
	.section	.text._ZL29rocblas_internal_gemmt_kernelIiLi16ELi32ELi8ELc67ELc84ELc76ELb1ELb0E19rocblas_complex_numIfEPKS1_S3_PS1_EviT_T9_T10_S5_lS7_S5_lS6_T11_S5_li,"axG",@progbits,_ZL29rocblas_internal_gemmt_kernelIiLi16ELi32ELi8ELc67ELc84ELc76ELb1ELb0E19rocblas_complex_numIfEPKS1_S3_PS1_EviT_T9_T10_S5_lS7_S5_lS6_T11_S5_li,comdat
.Lfunc_end88:
	.size	_ZL29rocblas_internal_gemmt_kernelIiLi16ELi32ELi8ELc67ELc84ELc76ELb1ELb0E19rocblas_complex_numIfEPKS1_S3_PS1_EviT_T9_T10_S5_lS7_S5_lS6_T11_S5_li, .Lfunc_end88-_ZL29rocblas_internal_gemmt_kernelIiLi16ELi32ELi8ELc67ELc84ELc76ELb1ELb0E19rocblas_complex_numIfEPKS1_S3_PS1_EviT_T9_T10_S5_lS7_S5_lS6_T11_S5_li
                                        ; -- End function
	.set _ZL29rocblas_internal_gemmt_kernelIiLi16ELi32ELi8ELc67ELc84ELc76ELb1ELb0E19rocblas_complex_numIfEPKS1_S3_PS1_EviT_T9_T10_S5_lS7_S5_lS6_T11_S5_li.num_vgpr, 57
	.set _ZL29rocblas_internal_gemmt_kernelIiLi16ELi32ELi8ELc67ELc84ELc76ELb1ELb0E19rocblas_complex_numIfEPKS1_S3_PS1_EviT_T9_T10_S5_lS7_S5_lS6_T11_S5_li.num_agpr, 0
	.set _ZL29rocblas_internal_gemmt_kernelIiLi16ELi32ELi8ELc67ELc84ELc76ELb1ELb0E19rocblas_complex_numIfEPKS1_S3_PS1_EviT_T9_T10_S5_lS7_S5_lS6_T11_S5_li.numbered_sgpr, 35
	.set _ZL29rocblas_internal_gemmt_kernelIiLi16ELi32ELi8ELc67ELc84ELc76ELb1ELb0E19rocblas_complex_numIfEPKS1_S3_PS1_EviT_T9_T10_S5_lS7_S5_lS6_T11_S5_li.num_named_barrier, 0
	.set _ZL29rocblas_internal_gemmt_kernelIiLi16ELi32ELi8ELc67ELc84ELc76ELb1ELb0E19rocblas_complex_numIfEPKS1_S3_PS1_EviT_T9_T10_S5_lS7_S5_lS6_T11_S5_li.private_seg_size, 0
	.set _ZL29rocblas_internal_gemmt_kernelIiLi16ELi32ELi8ELc67ELc84ELc76ELb1ELb0E19rocblas_complex_numIfEPKS1_S3_PS1_EviT_T9_T10_S5_lS7_S5_lS6_T11_S5_li.uses_vcc, 1
	.set _ZL29rocblas_internal_gemmt_kernelIiLi16ELi32ELi8ELc67ELc84ELc76ELb1ELb0E19rocblas_complex_numIfEPKS1_S3_PS1_EviT_T9_T10_S5_lS7_S5_lS6_T11_S5_li.uses_flat_scratch, 0
	.set _ZL29rocblas_internal_gemmt_kernelIiLi16ELi32ELi8ELc67ELc84ELc76ELb1ELb0E19rocblas_complex_numIfEPKS1_S3_PS1_EviT_T9_T10_S5_lS7_S5_lS6_T11_S5_li.has_dyn_sized_stack, 0
	.set _ZL29rocblas_internal_gemmt_kernelIiLi16ELi32ELi8ELc67ELc84ELc76ELb1ELb0E19rocblas_complex_numIfEPKS1_S3_PS1_EviT_T9_T10_S5_lS7_S5_lS6_T11_S5_li.has_recursion, 0
	.set _ZL29rocblas_internal_gemmt_kernelIiLi16ELi32ELi8ELc67ELc84ELc76ELb1ELb0E19rocblas_complex_numIfEPKS1_S3_PS1_EviT_T9_T10_S5_lS7_S5_lS6_T11_S5_li.has_indirect_call, 0
	.section	.AMDGPU.csdata,"",@progbits
; Kernel info:
; codeLenInByte = 3280
; TotalNumSgprs: 37
; NumVgprs: 57
; ScratchSize: 0
; MemoryBound: 0
; FloatMode: 240
; IeeeMode: 1
; LDSByteSize: 4096 bytes/workgroup (compile time only)
; SGPRBlocks: 0
; VGPRBlocks: 3
; NumSGPRsForWavesPerEU: 37
; NumVGPRsForWavesPerEU: 57
; NamedBarCnt: 0
; Occupancy: 16
; WaveLimiterHint : 0
; COMPUTE_PGM_RSRC2:SCRATCH_EN: 0
; COMPUTE_PGM_RSRC2:USER_SGPR: 2
; COMPUTE_PGM_RSRC2:TRAP_HANDLER: 0
; COMPUTE_PGM_RSRC2:TGID_X_EN: 1
; COMPUTE_PGM_RSRC2:TGID_Y_EN: 1
; COMPUTE_PGM_RSRC2:TGID_Z_EN: 1
; COMPUTE_PGM_RSRC2:TIDIG_COMP_CNT: 1
	.section	.text._ZL29rocblas_internal_gemmt_kernelIiLi16ELi32ELi8ELc67ELc67ELc76ELb1ELb1E19rocblas_complex_numIfEPKS1_S3_PS1_EviT_T9_T10_S5_lS7_S5_lS6_T11_S5_li,"axG",@progbits,_ZL29rocblas_internal_gemmt_kernelIiLi16ELi32ELi8ELc67ELc67ELc76ELb1ELb1E19rocblas_complex_numIfEPKS1_S3_PS1_EviT_T9_T10_S5_lS7_S5_lS6_T11_S5_li,comdat
	.globl	_ZL29rocblas_internal_gemmt_kernelIiLi16ELi32ELi8ELc67ELc67ELc76ELb1ELb1E19rocblas_complex_numIfEPKS1_S3_PS1_EviT_T9_T10_S5_lS7_S5_lS6_T11_S5_li ; -- Begin function _ZL29rocblas_internal_gemmt_kernelIiLi16ELi32ELi8ELc67ELc67ELc76ELb1ELb1E19rocblas_complex_numIfEPKS1_S3_PS1_EviT_T9_T10_S5_lS7_S5_lS6_T11_S5_li
	.p2align	8
	.type	_ZL29rocblas_internal_gemmt_kernelIiLi16ELi32ELi8ELc67ELc67ELc76ELb1ELb1E19rocblas_complex_numIfEPKS1_S3_PS1_EviT_T9_T10_S5_lS7_S5_lS6_T11_S5_li,@function
_ZL29rocblas_internal_gemmt_kernelIiLi16ELi32ELi8ELc67ELc67ELc76ELb1ELb1E19rocblas_complex_numIfEPKS1_S3_PS1_EviT_T9_T10_S5_lS7_S5_lS6_T11_S5_li: ; @_ZL29rocblas_internal_gemmt_kernelIiLi16ELi32ELi8ELc67ELc67ELc76ELb1ELb1E19rocblas_complex_numIfEPKS1_S3_PS1_EviT_T9_T10_S5_lS7_S5_lS6_T11_S5_li
; %bb.0:
	s_load_b128 s[8:11], s[0:1], 0x38
	s_wait_kmcnt 0x0
	s_load_b64 s[20:21], s[10:11], 0x0
	s_clause 0x1
	s_load_b128 s[4:7], s[0:1], 0x8
	s_load_b64 s[22:23], s[0:1], 0x0
	s_wait_kmcnt 0x0
	s_cmp_neq_f32 s20, 1.0
	s_load_b64 s[10:11], s[4:5], 0x0
	s_cselect_b32 s2, -1, 0
	s_and_b32 s3, s21, 0x7fffffff
	s_delay_alu instid0(SALU_CYCLE_1) | instskip(SKIP_3) | instid1(SALU_CYCLE_1)
	s_cmp_eq_u32 s3, 0
	s_cselect_b32 s30, -1, 0
	s_cmp_lg_u32 s3, 0
	s_cselect_b32 s3, -1, 0
	s_or_b32 s2, s2, s3
	s_delay_alu instid0(SALU_CYCLE_1)
	s_and_b32 vcc_lo, exec_lo, s2
	s_cbranch_vccnz .LBB89_2
; %bb.1:
	s_cmp_lg_u32 s23, 0
	s_cselect_b32 s2, -1, 0
	s_wait_kmcnt 0x0
	s_cmp_neq_f32 s10, 0
	s_cselect_b32 s3, -1, 0
	s_cmp_neq_f32 s11, 0
	s_cselect_b32 s4, -1, 0
	s_delay_alu instid0(SALU_CYCLE_1) | instskip(NEXT) | instid1(SALU_CYCLE_1)
	s_or_b32 s3, s3, s4
	s_and_b32 s2, s2, s3
.LBB89_2:
	s_delay_alu instid0(SALU_CYCLE_1)
	s_and_not1_b32 vcc_lo, exec_lo, s2
	s_cbranch_vccnz .LBB89_37
; %bb.3:
	s_load_b32 s19, s[0:1], 0x60
	s_bfe_u32 s2, ttmp6, 0x40014
	s_lshr_b32 s3, ttmp7, 16
	s_add_co_i32 s2, s2, 1
	s_wait_xcnt 0x0
	s_bfe_u32 s5, ttmp6, 0x40008
	s_mul_i32 s2, s3, s2
	s_getreg_b32 s4, hwreg(HW_REG_IB_STS2, 6, 4)
	s_add_co_i32 s5, s5, s2
	s_cmp_eq_u32 s4, 0
	s_mov_b32 s25, 0
	s_cselect_b32 s24, s3, s5
	s_wait_kmcnt 0x0
	s_cmp_ge_u32 s24, s19
	s_cbranch_scc1 .LBB89_37
; %bb.4:
	s_clause 0x3
	s_load_b32 s2, s[0:1], 0x18
	s_load_b32 s28, s[0:1], 0x30
	s_load_b96 s[16:18], s[0:1], 0x48
	s_load_b128 s[12:15], s[0:1], 0x20
	v_and_b32_e32 v6, 0x3ff, v0
	v_bfe_u32 v8, v0, 10, 10
	s_load_b64 s[26:27], s[0:1], 0x58
	s_wait_xcnt 0x0
	s_bfe_u32 s1, ttmp6, 0x4000c
	s_bfe_u32 s3, ttmp6, 0x40010
	s_and_b32 s31, ttmp7, 0xffff
	v_lshl_add_u32 v1, v8, 4, v6
	s_add_co_i32 s1, s1, 1
	s_add_co_i32 s3, s3, 1
	s_and_b32 s0, ttmp6, 15
	s_bfe_u32 s33, ttmp6, 0x40004
	s_mul_i32 s1, ttmp9, s1
	s_mul_i32 s34, s31, s3
	s_add_co_i32 s0, s0, s1
	s_add_co_i32 s33, s33, s34
	v_dual_lshrrev_b32 v25, 5, v1 :: v_dual_bitop2_b32 v4, 7, v0 bitop3:0x40
	s_wait_kmcnt 0x0
	s_ashr_i32 s3, s2, 31
	s_ashr_i32 s29, s28, 31
	;; [unrolled: 1-line block ×3, first 2 shown]
	v_dual_mov_b32 v7, 0 :: v_dual_lshlrev_b32 v9, 3, v4
	s_cmp_eq_u32 s4, 0
	v_dual_lshrrev_b32 v1, 3, v1 :: v_dual_bitop2_b32 v3, 31, v1 bitop3:0x40
	s_cselect_b32 s0, ttmp9, s0
	s_cselect_b32 s1, s31, s33
	s_lshl_b32 s31, s0, 5
	v_mov_b32_e32 v5, v7
	s_lshl_b32 s1, s1, 5
	s_delay_alu instid0(SALU_CYCLE_1) | instskip(SKIP_1) | instid1(VALU_DEP_3)
	v_dual_add_nc_u32 v2, s1, v1 :: v_dual_bitop2_b32 v0, s31, v3 bitop3:0x54
	v_lshlrev_b32_e32 v3, 3, v3
	v_mul_u64_e32 v[16:17], s[28:29], v[4:5]
	v_lshl_or_b32 v9, v1, 6, v9
	s_delay_alu instid0(VALU_DEP_4)
	v_ashrrev_i32_e32 v1, 31, v0
	v_dual_add_nc_u32 v18, s1, v8 :: v_dual_lshlrev_b32 v29, 3, v6
	v_cmp_gt_i32_e32 vcc_lo, s22, v0
	v_lshl_or_b32 v5, v25, 8, v3
	v_ashrrev_i32_e32 v3, 31, v2
	v_mul_u64_e32 v[0:1], s[2:3], v[0:1]
	v_dual_add_nc_u32 v20, 16, v18 :: v_dual_ashrrev_i32 v19, 31, v18
	v_lshl_add_u32 v31, v8, 6, 0x800
	v_add_nc_u32_e32 v8, s31, v6
	s_cmp_neq_f32 s10, 0
	s_delay_alu instid0(VALU_DEP_3)
	v_ashrrev_i32_e32 v21, 31, v20
	s_mov_b32 s4, s18
	v_add_nc_u32_e32 v27, 0x800, v9
	s_cselect_b32 s0, -1, 0
	s_cmp_neq_f32 s11, 0
	v_mul_u64_e32 v[12:13], s[4:5], v[18:19]
	v_mul_u64_e32 v[14:15], s[4:5], v[20:21]
	v_dual_add_nc_u32 v10, 16, v8 :: v_dual_ashrrev_i32 v9, 31, v8
	s_cselect_b32 s18, -1, 0
	v_lshlrev_b32_e32 v6, 3, v25
	s_or_b32 s34, s0, s18
	v_cmp_gt_i32_e64 s0, s22, v2
	v_lshlrev_b64_e32 v[2:3], 3, v[2:3]
	v_ashrrev_i32_e32 v11, 31, v10
	s_cmp_gt_i32 s23, 0
	v_cmp_le_i32_e64 s1, v18, v8
	s_cselect_b32 s35, -1, 0
	s_cmp_neq_f32 s20, 0
	v_cmp_gt_i32_e64 s2, s22, v8
	v_lshl_add_u64 v[2:3], v[16:17], 3, v[2:3]
	v_cmp_le_i32_e64 s3, v18, v10
	v_cmp_gt_i32_e64 s4, s22, v10
	s_cselect_b32 s18, -1, 0
	s_xor_b32 s30, s30, -1
	v_add_nc_u64_e32 v[2:3], s[14:15], v[2:3]
	v_lshl_add_u64 v[0:1], v[0:1], 3, v[6:7]
	s_or_b32 s18, s18, s30
	s_and_b32 s22, s1, s2
	s_and_b32 s30, s3, s4
	v_cmp_le_i32_e64 s1, v20, v8
	v_cmp_le_i32_e64 s3, v20, v10
	v_add_nc_u64_e32 v[16:17], s[6:7], v[0:1]
	v_add_nc_u64_e32 v[18:19], 4, v[2:3]
	s_mov_b32 s5, s10
	s_and_b32 s31, s1, s2
	s_and_b32 s33, s3, s4
	s_mov_b32 s2, s20
	s_mov_b32 s3, s20
	;; [unrolled: 1-line block ×4, first 2 shown]
	s_lshl_b64 s[6:7], s[12:13], 3
	s_lshl_b64 s[8:9], s[8:9], 3
	s_and_b32 s14, s34, s35
	s_lshl_b64 s[12:13], s[28:29], 6
	s_xor_b32 s15, vcc_lo, -1
	s_xor_b32 s28, s0, -1
	s_branch .LBB89_6
.LBB89_5:                               ;   in Loop: Header=BB89_6 Depth=1
	s_wait_xcnt 0x0
	s_or_b32 exec_lo, exec_lo, s0
	s_add_co_i32 s24, s24, 0x10000
	s_delay_alu instid0(SALU_CYCLE_1)
	s_cmp_lt_u32 s24, s19
	s_cbranch_scc0 .LBB89_37
.LBB89_6:                               ; =>This Loop Header: Depth=1
                                        ;     Child Loop BB89_9 Depth 2
	v_dual_mov_b32 v34, 0 :: v_dual_mov_b32 v36, 0
	v_dual_mov_b32 v30, 0 :: v_dual_mov_b32 v32, 0
	;; [unrolled: 1-line block ×4, first 2 shown]
	s_and_not1_b32 vcc_lo, exec_lo, s14
	s_cbranch_vccnz .LBB89_17
; %bb.7:                                ;   in Loop: Header=BB89_6 Depth=1
	v_mad_nc_u64_u32 v[20:21], s6, s24, v[16:17]
	v_mad_nc_u64_u32 v[22:23], s8, s24, v[18:19]
	v_dual_mov_b32 v24, 0 :: v_dual_mov_b32 v6, 0
	v_dual_mov_b32 v28, 0 :: v_dual_mov_b32 v26, 0
	;; [unrolled: 1-line block ×4, first 2 shown]
	s_mov_b32 s0, 0
	v_mad_u32 v21, s7, s24, v21
	v_mad_u32 v23, s9, s24, v23
	s_branch .LBB89_9
.LBB89_8:                               ;   in Loop: Header=BB89_9 Depth=2
	s_wait_xcnt 0x0
	s_or_b32 exec_lo, exec_lo, s1
	ds_store_b32 v27, v0 offset:4
	s_wait_dscnt 0x0
	s_barrier_signal -1
	s_barrier_wait -1
	ds_load_b128 v[38:41], v31
	ds_load_b128 v[42:45], v31 offset:16
	ds_load_b128 v[46:49], v31 offset:32
	;; [unrolled: 1-line block ×3, first 2 shown]
	ds_load_2addr_b64 v[50:53], v29 offset1:16
	v_add_nc_u64_e32 v[20:21], 64, v[20:21]
	v_add_nc_u64_e32 v[22:23], s[12:13], v[22:23]
	s_add_co_i32 s0, s0, 8
	s_delay_alu instid0(SALU_CYCLE_1) | instskip(SKIP_2) | instid1(VALU_DEP_1)
	s_cmp_lt_i32 s0, s23
	s_wait_dscnt 0x0
	v_dual_mul_f32 v33, v39, v51 :: v_dual_mul_f32 v35, v38, v51
	v_dual_fma_f32 v33, v38, v50, -v33 :: v_dual_fmac_f32 v35, v39, v50
	s_delay_alu instid0(VALU_DEP_1) | instskip(SKIP_1) | instid1(VALU_DEP_1)
	v_dual_add_f32 v54, v34, v33 :: v_dual_add_f32 v55, v36, v35
	v_dual_mul_f32 v33, v39, v53 :: v_dual_mul_f32 v34, v38, v53
	v_dual_fma_f32 v33, v38, v52, -v33 :: v_dual_fmac_f32 v34, v39, v52
	s_delay_alu instid0(VALU_DEP_1) | instskip(SKIP_3) | instid1(VALU_DEP_1)
	v_dual_add_f32 v30, v30, v33 :: v_dual_add_f32 v56, v32, v34
	ds_load_b128 v[32:35], v31 offset:1024
	s_wait_dscnt 0x0
	v_dual_mul_f32 v36, v33, v51 :: v_dual_mul_f32 v37, v32, v51
	v_dual_fma_f32 v36, v32, v50, -v36 :: v_dual_fmac_f32 v37, v33, v50
	s_delay_alu instid0(VALU_DEP_1) | instskip(SKIP_1) | instid1(VALU_DEP_1)
	v_dual_add_f32 v26, v26, v36 :: v_dual_add_f32 v28, v28, v37
	v_mul_f32_e32 v36, v33, v53
	v_dual_fma_f32 v36, v32, v52, -v36 :: v_dual_mul_f32 v32, v32, v53
	s_delay_alu instid0(VALU_DEP_1) | instskip(SKIP_3) | instid1(VALU_DEP_1)
	v_add_f32_e32 v6, v6, v36
	ds_load_2addr_b64 v[36:39], v29 offset0:32 offset1:48
	s_wait_dscnt 0x0
	v_dual_fmac_f32 v32, v33, v52 :: v_dual_mul_f32 v33, v40, v37
	v_dual_add_f32 v24, v24, v32 :: v_dual_mul_f32 v32, v41, v37
	s_delay_alu instid0(VALU_DEP_1) | instskip(NEXT) | instid1(VALU_DEP_1)
	v_dual_fmac_f32 v33, v41, v36 :: v_dual_fma_f32 v32, v40, v36, -v32
	v_dual_add_f32 v50, v54, v32 :: v_dual_mul_f32 v32, v41, v39
	s_delay_alu instid0(VALU_DEP_1) | instskip(NEXT) | instid1(VALU_DEP_1)
	v_dual_add_f32 v51, v55, v33 :: v_dual_fma_f32 v32, v40, v38, -v32
	v_dual_mul_f32 v33, v40, v39 :: v_dual_add_f32 v30, v30, v32
	s_delay_alu instid0(VALU_DEP_1) | instskip(NEXT) | instid1(VALU_DEP_1)
	v_dual_fmac_f32 v33, v41, v38 :: v_dual_mul_f32 v32, v35, v37
	v_dual_add_f32 v40, v56, v33 :: v_dual_fma_f32 v32, v34, v36, -v32
	v_mul_f32_e32 v33, v34, v37
	s_delay_alu instid0(VALU_DEP_2) | instskip(NEXT) | instid1(VALU_DEP_1)
	v_dual_add_f32 v26, v26, v32 :: v_dual_mul_f32 v32, v35, v39
	v_dual_fmac_f32 v33, v35, v36 :: v_dual_fma_f32 v32, v34, v38, -v32
	s_delay_alu instid0(VALU_DEP_1) | instskip(NEXT) | instid1(VALU_DEP_1)
	v_dual_add_f32 v28, v28, v33 :: v_dual_mul_f32 v33, v34, v39
	v_dual_add_f32 v6, v6, v32 :: v_dual_fmac_f32 v33, v35, v38
	s_delay_alu instid0(VALU_DEP_1) | instskip(SKIP_3) | instid1(VALU_DEP_1)
	v_add_f32_e32 v24, v24, v33
	ds_load_2addr_b64 v[32:35], v29 offset0:64 offset1:80
	s_wait_dscnt 0x0
	v_dual_mul_f32 v36, v43, v33 :: v_dual_mul_f32 v37, v42, v33
	v_dual_fma_f32 v36, v42, v32, -v36 :: v_dual_fmac_f32 v37, v43, v32
	s_delay_alu instid0(VALU_DEP_1) | instskip(SKIP_1) | instid1(VALU_DEP_1)
	v_dual_add_f32 v41, v50, v36 :: v_dual_add_f32 v50, v51, v37
	v_dual_mul_f32 v36, v43, v35 :: v_dual_mul_f32 v37, v42, v35
	v_dual_fma_f32 v36, v42, v34, -v36 :: v_dual_fmac_f32 v37, v43, v34
	s_delay_alu instid0(VALU_DEP_1) | instskip(SKIP_3) | instid1(VALU_DEP_1)
	v_dual_add_f32 v30, v30, v36 :: v_dual_add_f32 v40, v40, v37
	ds_load_b128 v[36:39], v31 offset:1040
	s_wait_dscnt 0x0
	v_dual_mul_f32 v42, v37, v33 :: v_dual_mul_f32 v33, v36, v33
	v_dual_fma_f32 v42, v36, v32, -v42 :: v_dual_fmac_f32 v33, v37, v32
	s_delay_alu instid0(VALU_DEP_1) | instskip(NEXT) | instid1(VALU_DEP_2)
	v_dual_mul_f32 v32, v37, v35 :: v_dual_add_f32 v26, v26, v42
	v_add_f32_e32 v28, v28, v33
	s_delay_alu instid0(VALU_DEP_2) | instskip(NEXT) | instid1(VALU_DEP_1)
	v_dual_mul_f32 v33, v36, v35 :: v_dual_fma_f32 v32, v36, v34, -v32
	v_dual_fmac_f32 v33, v37, v34 :: v_dual_add_f32 v6, v6, v32
	s_delay_alu instid0(VALU_DEP_1) | instskip(SKIP_3) | instid1(VALU_DEP_1)
	v_add_f32_e32 v24, v24, v33
	ds_load_2addr_b64 v[32:35], v29 offset0:96 offset1:112
	s_wait_dscnt 0x0
	v_dual_mul_f32 v36, v45, v33 :: v_dual_mul_f32 v37, v44, v33
	v_dual_mul_f32 v42, v44, v35 :: v_dual_fma_f32 v36, v44, v32, -v36
	s_delay_alu instid0(VALU_DEP_1) | instskip(NEXT) | instid1(VALU_DEP_1)
	v_dual_fmac_f32 v37, v45, v32 :: v_dual_fmac_f32 v42, v45, v34
	v_dual_add_f32 v36, v41, v36 :: v_dual_add_f32 v37, v50, v37
	s_delay_alu instid0(VALU_DEP_2) | instskip(NEXT) | instid1(VALU_DEP_1)
	v_dual_mul_f32 v41, v45, v35 :: v_dual_add_f32 v40, v40, v42
	v_fma_f32 v41, v44, v34, -v41
	s_delay_alu instid0(VALU_DEP_1) | instskip(SKIP_1) | instid1(VALU_DEP_1)
	v_add_f32_e32 v30, v30, v41
	v_dual_mul_f32 v41, v39, v33 :: v_dual_mul_f32 v33, v38, v33
	v_fmac_f32_e32 v33, v39, v32
	s_delay_alu instid0(VALU_DEP_2) | instskip(NEXT) | instid1(VALU_DEP_2)
	v_dual_fma_f32 v41, v38, v32, -v41 :: v_dual_mul_f32 v32, v39, v35
	v_dual_add_f32 v28, v28, v33 :: v_dual_mul_f32 v33, v38, v35
	s_delay_alu instid0(VALU_DEP_2) | instskip(NEXT) | instid1(VALU_DEP_2)
	v_fma_f32 v32, v38, v34, -v32
	v_dual_add_f32 v26, v26, v41 :: v_dual_fmac_f32 v33, v39, v34
	s_delay_alu instid0(VALU_DEP_1) | instskip(SKIP_3) | instid1(VALU_DEP_1)
	v_dual_add_f32 v6, v6, v32 :: v_dual_add_f32 v24, v24, v33
	ds_load_2addr_b64 v[32:35], v29 offset0:128 offset1:144
	s_wait_dscnt 0x0
	v_dual_mul_f32 v38, v47, v33 :: v_dual_mul_f32 v39, v46, v33
	v_dual_fma_f32 v38, v46, v32, -v38 :: v_dual_fmac_f32 v39, v47, v32
	s_delay_alu instid0(VALU_DEP_1) | instskip(SKIP_1) | instid1(VALU_DEP_1)
	v_dual_add_f32 v41, v36, v38 :: v_dual_add_f32 v42, v37, v39
	v_dual_mul_f32 v36, v47, v35 :: v_dual_mul_f32 v37, v46, v35
	v_dual_fma_f32 v36, v46, v34, -v36 :: v_dual_fmac_f32 v37, v47, v34
	s_delay_alu instid0(VALU_DEP_1) | instskip(SKIP_3) | instid1(VALU_DEP_1)
	v_dual_add_f32 v30, v30, v36 :: v_dual_add_f32 v40, v40, v37
	ds_load_b128 v[36:39], v31 offset:1056
	s_wait_dscnt 0x0
	v_dual_mul_f32 v43, v37, v33 :: v_dual_mul_f32 v33, v36, v33
	v_dual_fma_f32 v43, v36, v32, -v43 :: v_dual_fmac_f32 v33, v37, v32
	v_mul_f32_e32 v32, v37, v35
	s_delay_alu instid0(VALU_DEP_2) | instskip(NEXT) | instid1(VALU_DEP_2)
	v_dual_add_f32 v26, v26, v43 :: v_dual_add_f32 v28, v28, v33
	v_dual_mul_f32 v33, v36, v35 :: v_dual_fma_f32 v32, v36, v34, -v32
	s_delay_alu instid0(VALU_DEP_1) | instskip(NEXT) | instid1(VALU_DEP_1)
	v_dual_fmac_f32 v33, v37, v34 :: v_dual_add_f32 v6, v6, v32
	v_add_f32_e32 v24, v24, v33
	ds_load_2addr_b64 v[32:35], v29 offset0:160 offset1:176
	s_wait_dscnt 0x0
	v_dual_mul_f32 v36, v49, v33 :: v_dual_mul_f32 v37, v48, v33
	s_delay_alu instid0(VALU_DEP_1) | instskip(NEXT) | instid1(VALU_DEP_1)
	v_dual_fma_f32 v36, v48, v32, -v36 :: v_dual_fmac_f32 v37, v49, v32
	v_dual_add_f32 v36, v41, v36 :: v_dual_add_f32 v37, v42, v37
	v_dual_mul_f32 v41, v49, v35 :: v_dual_mul_f32 v42, v48, v35
	s_delay_alu instid0(VALU_DEP_1) | instskip(NEXT) | instid1(VALU_DEP_1)
	v_dual_fma_f32 v41, v48, v34, -v41 :: v_dual_fmac_f32 v42, v49, v34
	v_dual_add_f32 v30, v30, v41 :: v_dual_add_f32 v40, v40, v42
	v_dual_mul_f32 v41, v39, v33 :: v_dual_mul_f32 v33, v38, v33
	s_delay_alu instid0(VALU_DEP_1) | instskip(NEXT) | instid1(VALU_DEP_2)
	v_fmac_f32_e32 v33, v39, v32
	v_dual_fma_f32 v41, v38, v32, -v41 :: v_dual_mul_f32 v32, v39, v35
	s_delay_alu instid0(VALU_DEP_2) | instskip(NEXT) | instid1(VALU_DEP_2)
	v_dual_add_f32 v28, v28, v33 :: v_dual_mul_f32 v33, v38, v35
	v_fma_f32 v32, v38, v34, -v32
	s_delay_alu instid0(VALU_DEP_2) | instskip(NEXT) | instid1(VALU_DEP_1)
	v_dual_add_f32 v26, v26, v41 :: v_dual_fmac_f32 v33, v39, v34
	v_dual_add_f32 v6, v6, v32 :: v_dual_add_f32 v24, v24, v33
	ds_load_2addr_b64 v[32:35], v29 offset0:192 offset1:208
	s_wait_dscnt 0x0
	v_dual_mul_f32 v38, v1, v33 :: v_dual_mul_f32 v39, v0, v33
	s_delay_alu instid0(VALU_DEP_1) | instskip(NEXT) | instid1(VALU_DEP_1)
	v_dual_fma_f32 v38, v0, v32, -v38 :: v_dual_fmac_f32 v39, v1, v32
	v_dual_add_f32 v44, v36, v38 :: v_dual_add_f32 v45, v37, v39
	v_mul_f32_e32 v36, v1, v35
	s_delay_alu instid0(VALU_DEP_1) | instskip(NEXT) | instid1(VALU_DEP_1)
	v_dual_fma_f32 v36, v0, v34, -v36 :: v_dual_mul_f32 v0, v0, v35
	v_dual_fmac_f32 v0, v1, v34 :: v_dual_add_f32 v1, v30, v36
	ds_load_b128 v[36:39], v31 offset:1072
	s_wait_dscnt 0x0
	v_dual_mul_f32 v30, v37, v33 :: v_dual_mul_f32 v33, v36, v33
	s_delay_alu instid0(VALU_DEP_1)
	v_fma_f32 v30, v36, v32, -v30
	v_add_f32_e32 v0, v40, v0
	ds_load_2addr_b64 v[40:43], v29 offset0:224 offset1:240
	v_dual_fmac_f32 v33, v37, v32 :: v_dual_mul_f32 v32, v36, v35
	v_dual_add_f32 v26, v26, v30 :: v_dual_mul_f32 v30, v37, v35
	s_wait_dscnt 0x0
	s_delay_alu instid0(VALU_DEP_2) | instskip(SKIP_1) | instid1(VALU_DEP_2)
	v_dual_add_f32 v28, v28, v33 :: v_dual_fmac_f32 v32, v37, v34
	s_barrier_signal -1
	v_fma_f32 v30, v36, v34, -v30
	s_barrier_wait -1
	s_delay_alu instid0(VALU_DEP_1) | instskip(SKIP_1) | instid1(VALU_DEP_1)
	v_dual_add_f32 v24, v24, v32 :: v_dual_add_f32 v6, v6, v30
	v_dual_mul_f32 v30, v3, v41 :: v_dual_mul_f32 v32, v2, v41
	v_dual_fma_f32 v30, v2, v40, -v30 :: v_dual_fmac_f32 v32, v3, v40
	s_delay_alu instid0(VALU_DEP_1) | instskip(SKIP_1) | instid1(VALU_DEP_1)
	v_dual_add_f32 v34, v44, v30 :: v_dual_add_f32 v36, v45, v32
	v_mul_f32_e32 v30, v3, v43
	v_dual_fma_f32 v30, v2, v42, -v30 :: v_dual_mul_f32 v2, v2, v43
	s_delay_alu instid0(VALU_DEP_1) | instskip(NEXT) | instid1(VALU_DEP_1)
	v_fmac_f32_e32 v2, v3, v42
	v_dual_add_f32 v32, v0, v2 :: v_dual_mul_f32 v0, v39, v41
	s_delay_alu instid0(VALU_DEP_3) | instskip(NEXT) | instid1(VALU_DEP_1)
	v_dual_add_f32 v30, v1, v30 :: v_dual_mul_f32 v1, v38, v41
	v_dual_fma_f32 v0, v38, v40, -v0 :: v_dual_fmac_f32 v1, v39, v40
	s_delay_alu instid0(VALU_DEP_1) | instskip(NEXT) | instid1(VALU_DEP_2)
	v_dual_add_f32 v26, v26, v0 :: v_dual_mul_f32 v0, v39, v43
	v_dual_add_f32 v28, v28, v1 :: v_dual_mul_f32 v1, v38, v43
	s_delay_alu instid0(VALU_DEP_1) | instskip(NEXT) | instid1(VALU_DEP_1)
	v_dual_fma_f32 v0, v38, v42, -v0 :: v_dual_fmac_f32 v1, v39, v42
	v_dual_add_f32 v6, v6, v0 :: v_dual_add_f32 v24, v24, v1
	s_cbranch_scc0 .LBB89_17
.LBB89_9:                               ;   Parent Loop BB89_6 Depth=1
                                        ; =>  This Inner Loop Header: Depth=2
	v_add_nc_u32_e32 v0, s0, v25
	s_delay_alu instid0(VALU_DEP_1) | instskip(SKIP_1) | instid1(SALU_CYCLE_1)
	v_cmp_le_i32_e32 vcc_lo, s23, v0
	s_or_b32 s1, s15, vcc_lo
	s_and_saveexec_b32 s29, s1
	s_delay_alu instid0(SALU_CYCLE_1)
	s_xor_b32 s1, exec_lo, s29
; %bb.10:                               ;   in Loop: Header=BB89_9 Depth=2
	ds_store_b32 v5, v7
; %bb.11:                               ;   in Loop: Header=BB89_9 Depth=2
	s_or_saveexec_b32 s1, s1
	v_mov_b32_e32 v0, 0
	s_xor_b32 exec_lo, exec_lo, s1
	s_cbranch_execz .LBB89_13
; %bb.12:                               ;   in Loop: Header=BB89_9 Depth=2
	global_load_b64 v[2:3], v[20:21], off
	s_wait_loadcnt 0x0
	v_xor_b32_e32 v0, 0x80000000, v3
	ds_store_b32 v5, v2
.LBB89_13:                              ;   in Loop: Header=BB89_9 Depth=2
	s_wait_xcnt 0x0
	s_or_b32 exec_lo, exec_lo, s1
	v_add_nc_u32_e32 v1, s0, v4
	ds_store_b32 v5, v0 offset:4
	v_cmp_le_i32_e32 vcc_lo, s23, v1
	s_or_b32 s1, vcc_lo, s28
	s_delay_alu instid0(SALU_CYCLE_1) | instskip(NEXT) | instid1(SALU_CYCLE_1)
	s_and_saveexec_b32 s29, s1
	s_xor_b32 s1, exec_lo, s29
; %bb.14:                               ;   in Loop: Header=BB89_9 Depth=2
	ds_store_b32 v27, v7
; %bb.15:                               ;   in Loop: Header=BB89_9 Depth=2
	s_or_saveexec_b32 s1, s1
	v_mov_b32_e32 v0, 0
	s_xor_b32 exec_lo, exec_lo, s1
	s_cbranch_execz .LBB89_8
; %bb.16:                               ;   in Loop: Header=BB89_9 Depth=2
	global_load_b64 v[2:3], v[22:23], off offset:-4
	s_wait_loadcnt 0x0
	v_xor_b32_e32 v0, 0x80000000, v3
	ds_store_b32 v27, v2
	s_branch .LBB89_8
.LBB89_17:                              ;   in Loop: Header=BB89_6 Depth=1
	s_mul_u64 s[0:1], s[26:27], s[24:25]
	s_delay_alu instid0(SALU_CYCLE_1) | instskip(NEXT) | instid1(SALU_CYCLE_1)
	s_lshl_b64 s[0:1], s[0:1], 3
	s_add_nc_u64 s[0:1], s[16:17], s[0:1]
	s_delay_alu instid0(SALU_CYCLE_1)
	v_lshl_add_u64 v[0:1], v[12:13], 3, s[0:1]
	s_and_saveexec_b32 s29, s22
	s_cbranch_execz .LBB89_22
; %bb.18:                               ;   in Loop: Header=BB89_6 Depth=1
	v_mov_b64_e32 v[2:3], s[4:5]
	v_mov_b64_e32 v[20:21], s[10:11]
	s_and_b32 vcc_lo, exec_lo, s18
	s_mov_b32 s34, -1
	s_delay_alu instid0(VALU_DEP_2) | instskip(NEXT) | instid1(VALU_DEP_1)
	v_pk_mul_f32 v[2:3], v[36:37], v[2:3] op_sel_hi:[0,1]
	v_pk_fma_f32 v[22:23], v[34:35], v[20:21], v[2:3] op_sel_hi:[0,1,1]
	v_pk_fma_f32 v[2:3], v[34:35], v[20:21], v[2:3] neg_lo:[0,0,1] neg_hi:[0,0,1]
	v_lshl_add_u64 v[20:21], v[8:9], 3, v[0:1]
	s_delay_alu instid0(VALU_DEP_3)
	v_mov_b32_e32 v3, v23
	s_cbranch_vccz .LBB89_20
; %bb.19:                               ;   in Loop: Header=BB89_6 Depth=1
	global_load_b64 v[22:23], v[20:21], off
	v_mov_b64_e32 v[34:35], s[20:21]
	v_mov_b64_e32 v[36:37], s[2:3]
	s_mov_b32 s34, 0
	s_wait_loadcnt 0x0
	s_delay_alu instid0(VALU_DEP_2) | instskip(NEXT) | instid1(VALU_DEP_1)
	v_pk_mul_f32 v[34:35], v[22:23], v[34:35]
	v_pk_fma_f32 v[38:39], v[22:23], v[36:37], v[34:35] op_sel:[0,0,1] op_sel_hi:[1,1,0]
	v_pk_fma_f32 v[22:23], v[22:23], v[36:37], v[34:35] op_sel:[0,0,1] op_sel_hi:[1,1,0] neg_lo:[0,0,1] neg_hi:[0,0,1]
	s_delay_alu instid0(VALU_DEP_2) | instskip(NEXT) | instid1(VALU_DEP_1)
	v_mov_b32_e32 v23, v39
	v_pk_add_f32 v[22:23], v[2:3], v[22:23]
	global_store_b64 v[20:21], v[22:23], off
.LBB89_20:                              ;   in Loop: Header=BB89_6 Depth=1
	s_and_not1_b32 vcc_lo, exec_lo, s34
	s_cbranch_vccnz .LBB89_22
; %bb.21:                               ;   in Loop: Header=BB89_6 Depth=1
	global_store_b64 v[20:21], v[2:3], off
.LBB89_22:                              ;   in Loop: Header=BB89_6 Depth=1
	s_wait_xcnt 0x0
	s_or_b32 exec_lo, exec_lo, s29
	s_and_saveexec_b32 s29, s30
	s_cbranch_execz .LBB89_27
; %bb.23:                               ;   in Loop: Header=BB89_6 Depth=1
	v_mov_b64_e32 v[2:3], s[4:5]
	v_mov_b64_e32 v[20:21], s[10:11]
	v_lshl_add_u64 v[0:1], v[10:11], 3, v[0:1]
	s_and_not1_b32 vcc_lo, exec_lo, s18
	s_mov_b32 s34, -1
	s_delay_alu instid0(VALU_DEP_3) | instskip(NEXT) | instid1(VALU_DEP_1)
	v_pk_mul_f32 v[2:3], v[32:33], v[2:3] op_sel_hi:[0,1]
	v_pk_fma_f32 v[22:23], v[30:31], v[20:21], v[2:3] op_sel_hi:[0,1,1]
	v_pk_fma_f32 v[2:3], v[30:31], v[20:21], v[2:3] neg_lo:[0,0,1] neg_hi:[0,0,1]
	s_delay_alu instid0(VALU_DEP_2)
	v_mov_b32_e32 v3, v23
	s_cbranch_vccnz .LBB89_25
; %bb.24:                               ;   in Loop: Header=BB89_6 Depth=1
	global_load_b64 v[20:21], v[0:1], off
	v_mov_b64_e32 v[22:23], s[20:21]
	v_mov_b64_e32 v[32:33], s[2:3]
	s_mov_b32 s34, 0
	s_wait_loadcnt 0x0
	s_delay_alu instid0(VALU_DEP_2) | instskip(NEXT) | instid1(VALU_DEP_1)
	v_pk_mul_f32 v[22:23], v[20:21], v[22:23]
	v_pk_fma_f32 v[34:35], v[20:21], v[32:33], v[22:23] op_sel:[0,0,1] op_sel_hi:[1,1,0]
	v_pk_fma_f32 v[20:21], v[20:21], v[32:33], v[22:23] op_sel:[0,0,1] op_sel_hi:[1,1,0] neg_lo:[0,0,1] neg_hi:[0,0,1]
	s_delay_alu instid0(VALU_DEP_2) | instskip(NEXT) | instid1(VALU_DEP_1)
	v_mov_b32_e32 v21, v35
	v_pk_add_f32 v[20:21], v[2:3], v[20:21]
	global_store_b64 v[0:1], v[20:21], off
.LBB89_25:                              ;   in Loop: Header=BB89_6 Depth=1
	s_and_not1_b32 vcc_lo, exec_lo, s34
	s_cbranch_vccnz .LBB89_27
; %bb.26:                               ;   in Loop: Header=BB89_6 Depth=1
	global_store_b64 v[0:1], v[2:3], off
.LBB89_27:                              ;   in Loop: Header=BB89_6 Depth=1
	s_wait_xcnt 0x0
	s_or_b32 exec_lo, exec_lo, s29
	v_lshl_add_u64 v[0:1], v[14:15], 3, s[0:1]
	s_and_saveexec_b32 s0, s31
	s_cbranch_execz .LBB89_32
; %bb.28:                               ;   in Loop: Header=BB89_6 Depth=1
	v_mov_b64_e32 v[2:3], s[4:5]
	v_mov_b64_e32 v[20:21], s[10:11]
	s_and_not1_b32 vcc_lo, exec_lo, s18
	s_mov_b32 s1, -1
	s_delay_alu instid0(VALU_DEP_2) | instskip(NEXT) | instid1(VALU_DEP_1)
	v_pk_mul_f32 v[2:3], v[28:29], v[2:3] op_sel_hi:[0,1]
	v_pk_fma_f32 v[22:23], v[26:27], v[20:21], v[2:3] op_sel_hi:[0,1,1]
	v_pk_fma_f32 v[2:3], v[26:27], v[20:21], v[2:3] neg_lo:[0,0,1] neg_hi:[0,0,1]
	v_lshl_add_u64 v[20:21], v[8:9], 3, v[0:1]
	s_delay_alu instid0(VALU_DEP_3)
	v_mov_b32_e32 v3, v23
	s_cbranch_vccnz .LBB89_30
; %bb.29:                               ;   in Loop: Header=BB89_6 Depth=1
	global_load_b64 v[22:23], v[20:21], off
	v_mov_b64_e32 v[32:33], s[20:21]
	v_mov_b64_e32 v[34:35], s[2:3]
	s_mov_b32 s1, 0
	s_wait_loadcnt 0x0
	s_delay_alu instid0(VALU_DEP_2) | instskip(NEXT) | instid1(VALU_DEP_1)
	v_pk_mul_f32 v[32:33], v[22:23], v[32:33]
	v_pk_fma_f32 v[36:37], v[22:23], v[34:35], v[32:33] op_sel:[0,0,1] op_sel_hi:[1,1,0]
	v_pk_fma_f32 v[22:23], v[22:23], v[34:35], v[32:33] op_sel:[0,0,1] op_sel_hi:[1,1,0] neg_lo:[0,0,1] neg_hi:[0,0,1]
	s_delay_alu instid0(VALU_DEP_2) | instskip(NEXT) | instid1(VALU_DEP_1)
	v_mov_b32_e32 v23, v37
	v_pk_add_f32 v[22:23], v[2:3], v[22:23]
	global_store_b64 v[20:21], v[22:23], off
.LBB89_30:                              ;   in Loop: Header=BB89_6 Depth=1
	s_and_not1_b32 vcc_lo, exec_lo, s1
	s_cbranch_vccnz .LBB89_32
; %bb.31:                               ;   in Loop: Header=BB89_6 Depth=1
	global_store_b64 v[20:21], v[2:3], off
.LBB89_32:                              ;   in Loop: Header=BB89_6 Depth=1
	s_wait_xcnt 0x0
	s_or_b32 exec_lo, exec_lo, s0
	s_and_saveexec_b32 s0, s33
	s_cbranch_execz .LBB89_5
; %bb.33:                               ;   in Loop: Header=BB89_6 Depth=1
	v_mov_b64_e32 v[2:3], s[4:5]
	v_mov_b64_e32 v[20:21], s[10:11]
	v_lshl_add_u64 v[0:1], v[10:11], 3, v[0:1]
	s_and_not1_b32 vcc_lo, exec_lo, s18
	s_mov_b32 s1, -1
	s_delay_alu instid0(VALU_DEP_3) | instskip(NEXT) | instid1(VALU_DEP_1)
	v_pk_mul_f32 v[2:3], v[24:25], v[2:3] op_sel_hi:[0,1]
	v_pk_fma_f32 v[22:23], v[6:7], v[20:21], v[2:3] op_sel_hi:[0,1,1]
	v_pk_fma_f32 v[2:3], v[6:7], v[20:21], v[2:3] neg_lo:[0,0,1] neg_hi:[0,0,1]
	s_delay_alu instid0(VALU_DEP_2)
	v_mov_b32_e32 v3, v23
	s_cbranch_vccnz .LBB89_35
; %bb.34:                               ;   in Loop: Header=BB89_6 Depth=1
	global_load_b64 v[20:21], v[0:1], off
	v_mov_b64_e32 v[22:23], s[20:21]
	v_mov_b64_e32 v[32:33], s[2:3]
	s_mov_b32 s1, 0
	s_wait_loadcnt 0x0
	s_delay_alu instid0(VALU_DEP_2) | instskip(NEXT) | instid1(VALU_DEP_1)
	v_pk_mul_f32 v[22:23], v[20:21], v[22:23]
	v_pk_fma_f32 v[34:35], v[20:21], v[32:33], v[22:23] op_sel:[0,0,1] op_sel_hi:[1,1,0]
	v_pk_fma_f32 v[20:21], v[20:21], v[32:33], v[22:23] op_sel:[0,0,1] op_sel_hi:[1,1,0] neg_lo:[0,0,1] neg_hi:[0,0,1]
	s_delay_alu instid0(VALU_DEP_2) | instskip(NEXT) | instid1(VALU_DEP_1)
	v_mov_b32_e32 v21, v35
	v_pk_add_f32 v[20:21], v[2:3], v[20:21]
	global_store_b64 v[0:1], v[20:21], off
.LBB89_35:                              ;   in Loop: Header=BB89_6 Depth=1
	s_and_not1_b32 vcc_lo, exec_lo, s1
	s_cbranch_vccnz .LBB89_5
; %bb.36:                               ;   in Loop: Header=BB89_6 Depth=1
	global_store_b64 v[0:1], v[2:3], off
	s_branch .LBB89_5
.LBB89_37:
	s_endpgm
	.section	.rodata,"a",@progbits
	.p2align	6, 0x0
	.amdhsa_kernel _ZL29rocblas_internal_gemmt_kernelIiLi16ELi32ELi8ELc67ELc67ELc76ELb1ELb1E19rocblas_complex_numIfEPKS1_S3_PS1_EviT_T9_T10_S5_lS7_S5_lS6_T11_S5_li
		.amdhsa_group_segment_fixed_size 4096
		.amdhsa_private_segment_fixed_size 0
		.amdhsa_kernarg_size 100
		.amdhsa_user_sgpr_count 2
		.amdhsa_user_sgpr_dispatch_ptr 0
		.amdhsa_user_sgpr_queue_ptr 0
		.amdhsa_user_sgpr_kernarg_segment_ptr 1
		.amdhsa_user_sgpr_dispatch_id 0
		.amdhsa_user_sgpr_kernarg_preload_length 0
		.amdhsa_user_sgpr_kernarg_preload_offset 0
		.amdhsa_user_sgpr_private_segment_size 0
		.amdhsa_wavefront_size32 1
		.amdhsa_uses_dynamic_stack 0
		.amdhsa_enable_private_segment 0
		.amdhsa_system_sgpr_workgroup_id_x 1
		.amdhsa_system_sgpr_workgroup_id_y 1
		.amdhsa_system_sgpr_workgroup_id_z 1
		.amdhsa_system_sgpr_workgroup_info 0
		.amdhsa_system_vgpr_workitem_id 1
		.amdhsa_next_free_vgpr 57
		.amdhsa_next_free_sgpr 36
		.amdhsa_named_barrier_count 0
		.amdhsa_reserve_vcc 1
		.amdhsa_float_round_mode_32 0
		.amdhsa_float_round_mode_16_64 0
		.amdhsa_float_denorm_mode_32 3
		.amdhsa_float_denorm_mode_16_64 3
		.amdhsa_fp16_overflow 0
		.amdhsa_memory_ordered 1
		.amdhsa_forward_progress 1
		.amdhsa_inst_pref_size 26
		.amdhsa_round_robin_scheduling 0
		.amdhsa_exception_fp_ieee_invalid_op 0
		.amdhsa_exception_fp_denorm_src 0
		.amdhsa_exception_fp_ieee_div_zero 0
		.amdhsa_exception_fp_ieee_overflow 0
		.amdhsa_exception_fp_ieee_underflow 0
		.amdhsa_exception_fp_ieee_inexact 0
		.amdhsa_exception_int_div_zero 0
	.end_amdhsa_kernel
	.section	.text._ZL29rocblas_internal_gemmt_kernelIiLi16ELi32ELi8ELc67ELc67ELc76ELb1ELb1E19rocblas_complex_numIfEPKS1_S3_PS1_EviT_T9_T10_S5_lS7_S5_lS6_T11_S5_li,"axG",@progbits,_ZL29rocblas_internal_gemmt_kernelIiLi16ELi32ELi8ELc67ELc67ELc76ELb1ELb1E19rocblas_complex_numIfEPKS1_S3_PS1_EviT_T9_T10_S5_lS7_S5_lS6_T11_S5_li,comdat
.Lfunc_end89:
	.size	_ZL29rocblas_internal_gemmt_kernelIiLi16ELi32ELi8ELc67ELc67ELc76ELb1ELb1E19rocblas_complex_numIfEPKS1_S3_PS1_EviT_T9_T10_S5_lS7_S5_lS6_T11_S5_li, .Lfunc_end89-_ZL29rocblas_internal_gemmt_kernelIiLi16ELi32ELi8ELc67ELc67ELc76ELb1ELb1E19rocblas_complex_numIfEPKS1_S3_PS1_EviT_T9_T10_S5_lS7_S5_lS6_T11_S5_li
                                        ; -- End function
	.set _ZL29rocblas_internal_gemmt_kernelIiLi16ELi32ELi8ELc67ELc67ELc76ELb1ELb1E19rocblas_complex_numIfEPKS1_S3_PS1_EviT_T9_T10_S5_lS7_S5_lS6_T11_S5_li.num_vgpr, 57
	.set _ZL29rocblas_internal_gemmt_kernelIiLi16ELi32ELi8ELc67ELc67ELc76ELb1ELb1E19rocblas_complex_numIfEPKS1_S3_PS1_EviT_T9_T10_S5_lS7_S5_lS6_T11_S5_li.num_agpr, 0
	.set _ZL29rocblas_internal_gemmt_kernelIiLi16ELi32ELi8ELc67ELc67ELc76ELb1ELb1E19rocblas_complex_numIfEPKS1_S3_PS1_EviT_T9_T10_S5_lS7_S5_lS6_T11_S5_li.numbered_sgpr, 36
	.set _ZL29rocblas_internal_gemmt_kernelIiLi16ELi32ELi8ELc67ELc67ELc76ELb1ELb1E19rocblas_complex_numIfEPKS1_S3_PS1_EviT_T9_T10_S5_lS7_S5_lS6_T11_S5_li.num_named_barrier, 0
	.set _ZL29rocblas_internal_gemmt_kernelIiLi16ELi32ELi8ELc67ELc67ELc76ELb1ELb1E19rocblas_complex_numIfEPKS1_S3_PS1_EviT_T9_T10_S5_lS7_S5_lS6_T11_S5_li.private_seg_size, 0
	.set _ZL29rocblas_internal_gemmt_kernelIiLi16ELi32ELi8ELc67ELc67ELc76ELb1ELb1E19rocblas_complex_numIfEPKS1_S3_PS1_EviT_T9_T10_S5_lS7_S5_lS6_T11_S5_li.uses_vcc, 1
	.set _ZL29rocblas_internal_gemmt_kernelIiLi16ELi32ELi8ELc67ELc67ELc76ELb1ELb1E19rocblas_complex_numIfEPKS1_S3_PS1_EviT_T9_T10_S5_lS7_S5_lS6_T11_S5_li.uses_flat_scratch, 0
	.set _ZL29rocblas_internal_gemmt_kernelIiLi16ELi32ELi8ELc67ELc67ELc76ELb1ELb1E19rocblas_complex_numIfEPKS1_S3_PS1_EviT_T9_T10_S5_lS7_S5_lS6_T11_S5_li.has_dyn_sized_stack, 0
	.set _ZL29rocblas_internal_gemmt_kernelIiLi16ELi32ELi8ELc67ELc67ELc76ELb1ELb1E19rocblas_complex_numIfEPKS1_S3_PS1_EviT_T9_T10_S5_lS7_S5_lS6_T11_S5_li.has_recursion, 0
	.set _ZL29rocblas_internal_gemmt_kernelIiLi16ELi32ELi8ELc67ELc67ELc76ELb1ELb1E19rocblas_complex_numIfEPKS1_S3_PS1_EviT_T9_T10_S5_lS7_S5_lS6_T11_S5_li.has_indirect_call, 0
	.section	.AMDGPU.csdata,"",@progbits
; Kernel info:
; codeLenInByte = 3296
; TotalNumSgprs: 38
; NumVgprs: 57
; ScratchSize: 0
; MemoryBound: 0
; FloatMode: 240
; IeeeMode: 1
; LDSByteSize: 4096 bytes/workgroup (compile time only)
; SGPRBlocks: 0
; VGPRBlocks: 3
; NumSGPRsForWavesPerEU: 38
; NumVGPRsForWavesPerEU: 57
; NamedBarCnt: 0
; Occupancy: 16
; WaveLimiterHint : 0
; COMPUTE_PGM_RSRC2:SCRATCH_EN: 0
; COMPUTE_PGM_RSRC2:USER_SGPR: 2
; COMPUTE_PGM_RSRC2:TRAP_HANDLER: 0
; COMPUTE_PGM_RSRC2:TGID_X_EN: 1
; COMPUTE_PGM_RSRC2:TGID_Y_EN: 1
; COMPUTE_PGM_RSRC2:TGID_Z_EN: 1
; COMPUTE_PGM_RSRC2:TIDIG_COMP_CNT: 1
	.section	.text._ZL29rocblas_internal_gemmt_kernelIiLi16ELi32ELi8ELc78ELc78ELc85ELb0ELb0E19rocblas_complex_numIfES1_PKS1_PS1_EviT_T9_T10_S5_lS7_S5_lS6_T11_S5_li,"axG",@progbits,_ZL29rocblas_internal_gemmt_kernelIiLi16ELi32ELi8ELc78ELc78ELc85ELb0ELb0E19rocblas_complex_numIfES1_PKS1_PS1_EviT_T9_T10_S5_lS7_S5_lS6_T11_S5_li,comdat
	.globl	_ZL29rocblas_internal_gemmt_kernelIiLi16ELi32ELi8ELc78ELc78ELc85ELb0ELb0E19rocblas_complex_numIfES1_PKS1_PS1_EviT_T9_T10_S5_lS7_S5_lS6_T11_S5_li ; -- Begin function _ZL29rocblas_internal_gemmt_kernelIiLi16ELi32ELi8ELc78ELc78ELc85ELb0ELb0E19rocblas_complex_numIfES1_PKS1_PS1_EviT_T9_T10_S5_lS7_S5_lS6_T11_S5_li
	.p2align	8
	.type	_ZL29rocblas_internal_gemmt_kernelIiLi16ELi32ELi8ELc78ELc78ELc85ELb0ELb0E19rocblas_complex_numIfES1_PKS1_PS1_EviT_T9_T10_S5_lS7_S5_lS6_T11_S5_li,@function
_ZL29rocblas_internal_gemmt_kernelIiLi16ELi32ELi8ELc78ELc78ELc85ELb0ELb0E19rocblas_complex_numIfES1_PKS1_PS1_EviT_T9_T10_S5_lS7_S5_lS6_T11_S5_li: ; @_ZL29rocblas_internal_gemmt_kernelIiLi16ELi32ELi8ELc78ELc78ELc85ELb0ELb0E19rocblas_complex_numIfES1_PKS1_PS1_EviT_T9_T10_S5_lS7_S5_lS6_T11_S5_li
; %bb.0:
	s_clause 0x1
	s_load_b64 s[20:21], s[0:1], 0x40
	s_load_b128 s[4:7], s[0:1], 0x0
	s_wait_kmcnt 0x0
	s_cmp_neq_f32 s20, 1.0
	s_cselect_b32 s2, -1, 0
	s_and_b32 s3, s21, 0x7fffffff
	s_delay_alu instid0(SALU_CYCLE_1) | instskip(SKIP_3) | instid1(SALU_CYCLE_1)
	s_cmp_eq_u32 s3, 0
	s_cselect_b32 s29, -1, 0
	s_cmp_lg_u32 s3, 0
	s_cselect_b32 s3, -1, 0
	s_or_b32 s2, s2, s3
	s_delay_alu instid0(SALU_CYCLE_1)
	s_and_b32 vcc_lo, exec_lo, s2
	s_cbranch_vccnz .LBB90_2
; %bb.1:
	s_cmp_lg_u32 s5, 0
	s_cselect_b32 s2, -1, 0
	s_cmp_neq_f32 s6, 0
	s_cselect_b32 s3, -1, 0
	s_cmp_neq_f32 s7, 0
	s_cselect_b32 s8, -1, 0
	s_delay_alu instid0(SALU_CYCLE_1) | instskip(NEXT) | instid1(SALU_CYCLE_1)
	s_or_b32 s3, s3, s8
	s_and_b32 s2, s2, s3
.LBB90_2:
	s_delay_alu instid0(SALU_CYCLE_1)
	s_and_not1_b32 vcc_lo, exec_lo, s2
	s_cbranch_vccnz .LBB90_33
; %bb.3:
	s_load_b32 s28, s[0:1], 0x60
	s_bfe_u32 s2, ttmp6, 0x40014
	s_lshr_b32 s3, ttmp7, 16
	s_add_co_i32 s2, s2, 1
	s_bfe_u32 s8, ttmp6, 0x40008
	s_mul_i32 s2, s3, s2
	s_getreg_b32 s30, hwreg(HW_REG_IB_STS2, 6, 4)
	s_add_co_i32 s8, s8, s2
	s_cmp_eq_u32 s30, 0
	s_mov_b32 s23, 0
	s_cselect_b32 s22, s3, s8
	s_wait_kmcnt 0x0
	s_cmp_ge_u32 s22, s28
	s_cbranch_scc1 .LBB90_33
; %bb.4:
	s_clause 0x2
	s_load_b96 s[16:18], s[0:1], 0x10
	s_load_b32 s2, s[0:1], 0x30
	s_load_b96 s[12:14], s[0:1], 0x48
	v_and_b32_e32 v1, 0x3ff, v0
	v_bfe_u32 v3, v0, 10, 10
	s_clause 0x2
	s_load_b128 s[8:11], s[0:1], 0x20
	s_load_b64 s[26:27], s[0:1], 0x38
	s_load_b64 s[24:25], s[0:1], 0x58
	s_wait_xcnt 0x0
	s_bfe_u32 s1, ttmp6, 0x4000c
	s_bfe_u32 s3, ttmp6, 0x40010
	s_and_b32 s31, ttmp7, 0xffff
	s_add_co_i32 s1, s1, 1
	s_add_co_i32 s3, s3, 1
	v_lshl_add_u32 v2, v3, 4, v1
	s_and_b32 s0, ttmp6, 15
	s_bfe_u32 s33, ttmp6, 0x40004
	s_mul_i32 s1, ttmp9, s1
	s_mul_i32 s34, s31, s3
	s_add_co_i32 s0, s0, s1
	s_add_co_i32 s33, s33, s34
	v_dual_lshrrev_b32 v4, 5, v2 :: v_dual_bitop2_b32 v23, 7, v0 bitop3:0x40
	s_wait_kmcnt 0x0
	s_ashr_i32 s19, s18, 31
	s_ashr_i32 s3, s2, 31
	;; [unrolled: 1-line block ×3, first 2 shown]
	s_cmp_eq_u32 s30, 0
	v_dual_lshrrev_b32 v7, 3, v2 :: v_dual_bitop2_b32 v5, 31, v2 bitop3:0x40
	s_cselect_b32 s0, ttmp9, s0
	s_cselect_b32 s1, s31, s33
	s_lshl_b32 s30, s0, 5
	s_lshl_b32 s31, s1, 5
	v_dual_lshlrev_b32 v5, 3, v5 :: v_dual_bitop2_b32 v0, s30, v5 bitop3:0x54
	v_lshlrev_b32_e32 v2, 3, v23
	v_add_nc_u32_e32 v14, s31, v3
	v_add_nc_u32_e32 v6, s31, v7
	s_cmp_neq_f32 s6, 0
	v_lshl_or_b32 v25, v4, 8, v5
	v_mov_b32_e32 v5, 0
	v_lshl_or_b32 v8, v7, 6, v2
	v_add_nc_u32_e32 v20, 16, v14
	v_dual_ashrrev_i32 v7, 31, v6 :: v_dual_lshlrev_b32 v29, 3, v1
	s_delay_alu instid0(VALU_DEP_4) | instskip(SKIP_2) | instid1(VALU_DEP_2)
	v_mul_u64_e32 v[16:17], s[18:19], v[4:5]
	s_cselect_b32 s0, -1, 0
	s_cmp_neq_f32 s7, 0
	v_mul_u64_e32 v[18:19], s[2:3], v[6:7]
	v_ashrrev_i32_e32 v21, 31, v20
	v_add_nc_u32_e32 v27, 0x800, v8
	s_cselect_b32 s1, -1, 0
	v_lshl_add_u32 v31, v3, 6, 0x800
	s_or_b32 s34, s0, s1
	v_cmp_gt_i32_e64 s1, s4, v6
	v_dual_add_nc_u32 v6, s30, v1 :: v_dual_ashrrev_i32 v15, 31, v14
	v_mul_u64_e32 v[12:13], s[14:15], v[20:21]
	v_cmp_gt_i32_e64 s0, s4, v0
	s_cmp_gt_i32 s5, 0
	v_dual_add_nc_u32 v10, 16, v6 :: v_dual_ashrrev_i32 v7, 31, v6
	v_mul_u64_e32 v[8:9], s[14:15], v[14:15]
	v_ashrrev_i32_e32 v1, 31, v0
	v_cmp_gt_i32_e32 vcc_lo, s4, v14
	s_delay_alu instid0(VALU_DEP_4)
	v_ashrrev_i32_e32 v11, 31, v10
	v_cmp_le_i32_e64 s2, v6, v14
	v_mov_b32_e32 v3, v5
	v_lshlrev_b64_e32 v[0:1], 3, v[0:1]
	s_cselect_b32 s35, -1, 0
	s_cmp_neq_f32 s20, 0
	s_mov_b32 s15, s6
	s_cselect_b32 s3, -1, 0
	s_and_b32 s30, vcc_lo, s2
	v_cmp_le_i32_e64 s2, v10, v14
	v_lshl_add_u64 v[0:1], v[16:17], 3, v[0:1]
	s_xor_b32 s14, s29, -1
	s_and_b32 s34, s34, s35
	v_lshl_add_u64 v[2:3], v[18:19], 3, v[2:3]
	s_or_b32 s29, s3, s14
	v_cmp_gt_i32_e64 s3, s4, v20
	v_cmp_le_i32_e64 s4, v6, v20
	s_and_b32 s31, vcc_lo, s2
	v_cmp_le_i32_e32 vcc_lo, v10, v20
	v_add_nc_u64_e32 v[14:15], s[16:17], v[0:1]
	v_add_nc_u64_e32 v[16:17], s[10:11], v[2:3]
	s_and_b32 s4, s3, s4
	s_mov_b32 s2, s20
	s_and_b32 s33, s3, vcc_lo
	s_mov_b32 s3, s20
	s_mov_b32 s20, s21
	;; [unrolled: 1-line block ×3, first 2 shown]
	s_lshl_b64 s[8:9], s[8:9], 3
	s_lshl_b64 s[10:11], s[18:19], 6
	s_lshl_b64 s[16:17], s[26:27], 3
	s_branch .LBB90_6
.LBB90_5:                               ;   in Loop: Header=BB90_6 Depth=1
	s_wait_xcnt 0x0
	s_or_b32 exec_lo, exec_lo, s18
	s_add_co_i32 s22, s22, 0x10000
	s_delay_alu instid0(SALU_CYCLE_1)
	s_cmp_lt_u32 s22, s28
	s_cbranch_scc0 .LBB90_33
.LBB90_6:                               ; =>This Loop Header: Depth=1
                                        ;     Child Loop BB90_9 Depth 2
	v_dual_mov_b32 v34, 0 :: v_dual_mov_b32 v36, 0
	v_dual_mov_b32 v30, 0 :: v_dual_mov_b32 v32, 0
	;; [unrolled: 1-line block ×4, first 2 shown]
	s_and_not1_b32 vcc_lo, exec_lo, s34
	s_cbranch_vccnz .LBB90_13
; %bb.7:                                ;   in Loop: Header=BB90_6 Depth=1
	v_mad_nc_u64_u32 v[18:19], s8, s22, v[14:15]
	v_mad_nc_u64_u32 v[20:21], s16, s22, v[16:17]
	v_dual_mov_b32 v24, 0 :: v_dual_mov_b32 v22, 0
	v_dual_mov_b32 v28, 0 :: v_dual_mov_b32 v26, 0
	;; [unrolled: 1-line block ×4, first 2 shown]
	s_mov_b32 s18, 0
	v_mad_u32 v19, s9, s22, v19
	v_mad_u32 v21, s17, s22, v21
	s_branch .LBB90_9
.LBB90_8:                               ;   in Loop: Header=BB90_9 Depth=2
	s_wait_xcnt 0x0
	s_or_b32 exec_lo, exec_lo, s19
	s_wait_loadcnt 0x0
	ds_store_b64 v27, v[2:3]
	s_wait_dscnt 0x0
	s_barrier_signal -1
	s_barrier_wait -1
	ds_load_b128 v[38:41], v31
	ds_load_b128 v[42:45], v31 offset:16
	ds_load_b128 v[46:49], v31 offset:32
	;; [unrolled: 1-line block ×3, first 2 shown]
	ds_load_2addr_b64 v[50:53], v29 offset1:16
	v_add_nc_u64_e32 v[18:19], s[10:11], v[18:19]
	v_add_nc_u64_e32 v[20:21], 64, v[20:21]
	s_add_co_i32 s18, s18, 8
	s_delay_alu instid0(SALU_CYCLE_1) | instskip(SKIP_2) | instid1(VALU_DEP_1)
	s_cmp_lt_i32 s18, s5
	s_wait_dscnt 0x0
	v_dual_mul_f32 v5, v39, v51 :: v_dual_mul_f32 v33, v38, v51
	v_fmac_f32_e32 v33, v39, v50
	s_delay_alu instid0(VALU_DEP_1) | instskip(NEXT) | instid1(VALU_DEP_1)
	v_dual_fma_f32 v5, v38, v50, -v5 :: v_dual_add_f32 v54, v36, v33
	v_add_f32_e32 v5, v34, v5
	v_dual_mul_f32 v33, v39, v53 :: v_dual_mul_f32 v34, v38, v53
	s_delay_alu instid0(VALU_DEP_1) | instskip(NEXT) | instid1(VALU_DEP_1)
	v_dual_fma_f32 v33, v38, v52, -v33 :: v_dual_fmac_f32 v34, v39, v52
	v_dual_add_f32 v30, v30, v33 :: v_dual_add_f32 v55, v32, v34
	ds_load_b128 v[32:35], v31 offset:1024
	s_wait_dscnt 0x0
	v_dual_mul_f32 v36, v33, v51 :: v_dual_mul_f32 v37, v32, v51
	s_delay_alu instid0(VALU_DEP_1) | instskip(NEXT) | instid1(VALU_DEP_1)
	v_dual_fma_f32 v36, v32, v50, -v36 :: v_dual_fmac_f32 v37, v33, v50
	v_dual_add_f32 v26, v26, v36 :: v_dual_add_f32 v28, v28, v37
	v_mul_f32_e32 v36, v33, v53
	s_delay_alu instid0(VALU_DEP_1) | instskip(NEXT) | instid1(VALU_DEP_1)
	v_dual_fma_f32 v36, v32, v52, -v36 :: v_dual_mul_f32 v32, v32, v53
	v_add_f32_e32 v22, v22, v36
	ds_load_2addr_b64 v[36:39], v29 offset0:32 offset1:48
	s_wait_dscnt 0x0
	v_dual_fmac_f32 v32, v33, v52 :: v_dual_mul_f32 v33, v40, v37
	s_delay_alu instid0(VALU_DEP_1) | instskip(NEXT) | instid1(VALU_DEP_1)
	v_dual_add_f32 v24, v24, v32 :: v_dual_mul_f32 v32, v41, v37
	v_dual_fmac_f32 v33, v41, v36 :: v_dual_fma_f32 v32, v40, v36, -v32
	s_delay_alu instid0(VALU_DEP_1) | instskip(NEXT) | instid1(VALU_DEP_2)
	v_add_f32_e32 v5, v5, v32
	v_dual_mul_f32 v32, v41, v39 :: v_dual_add_f32 v50, v54, v33
	s_delay_alu instid0(VALU_DEP_1) | instskip(NEXT) | instid1(VALU_DEP_1)
	v_dual_fma_f32 v32, v40, v38, -v32 :: v_dual_mul_f32 v33, v40, v39
	v_dual_add_f32 v30, v30, v32 :: v_dual_fmac_f32 v33, v41, v38
	v_mul_f32_e32 v32, v35, v37
	s_delay_alu instid0(VALU_DEP_1) | instskip(SKIP_1) | instid1(VALU_DEP_2)
	v_dual_add_f32 v40, v55, v33 :: v_dual_fma_f32 v32, v34, v36, -v32
	v_mul_f32_e32 v33, v34, v37
	v_dual_add_f32 v26, v26, v32 :: v_dual_mul_f32 v32, v35, v39
	s_delay_alu instid0(VALU_DEP_1) | instskip(NEXT) | instid1(VALU_DEP_1)
	v_dual_fmac_f32 v33, v35, v36 :: v_dual_fma_f32 v32, v34, v38, -v32
	v_dual_add_f32 v28, v28, v33 :: v_dual_mul_f32 v33, v34, v39
	s_delay_alu instid0(VALU_DEP_1) | instskip(NEXT) | instid1(VALU_DEP_1)
	v_dual_add_f32 v22, v22, v32 :: v_dual_fmac_f32 v33, v35, v38
	v_add_f32_e32 v24, v24, v33
	ds_load_2addr_b64 v[32:35], v29 offset0:64 offset1:80
	s_wait_dscnt 0x0
	v_dual_mul_f32 v36, v43, v33 :: v_dual_mul_f32 v37, v42, v33
	s_delay_alu instid0(VALU_DEP_1) | instskip(NEXT) | instid1(VALU_DEP_1)
	v_dual_fma_f32 v36, v42, v32, -v36 :: v_dual_fmac_f32 v37, v43, v32
	v_dual_add_f32 v5, v5, v36 :: v_dual_add_f32 v41, v50, v37
	v_dual_mul_f32 v36, v43, v35 :: v_dual_mul_f32 v37, v42, v35
	s_delay_alu instid0(VALU_DEP_1) | instskip(NEXT) | instid1(VALU_DEP_1)
	v_dual_fma_f32 v36, v42, v34, -v36 :: v_dual_fmac_f32 v37, v43, v34
	v_dual_add_f32 v30, v30, v36 :: v_dual_add_f32 v40, v40, v37
	ds_load_b128 v[36:39], v31 offset:1040
	s_wait_dscnt 0x0
	v_dual_mul_f32 v42, v37, v33 :: v_dual_mul_f32 v33, v36, v33
	s_delay_alu instid0(VALU_DEP_1) | instskip(NEXT) | instid1(VALU_DEP_1)
	v_dual_fma_f32 v42, v36, v32, -v42 :: v_dual_fmac_f32 v33, v37, v32
	v_dual_mul_f32 v32, v37, v35 :: v_dual_add_f32 v26, v26, v42
	s_delay_alu instid0(VALU_DEP_2) | instskip(NEXT) | instid1(VALU_DEP_2)
	v_add_f32_e32 v28, v28, v33
	v_dual_mul_f32 v33, v36, v35 :: v_dual_fma_f32 v32, v36, v34, -v32
	s_delay_alu instid0(VALU_DEP_1) | instskip(NEXT) | instid1(VALU_DEP_1)
	v_dual_fmac_f32 v33, v37, v34 :: v_dual_add_f32 v22, v22, v32
	v_add_f32_e32 v24, v24, v33
	ds_load_2addr_b64 v[32:35], v29 offset0:96 offset1:112
	s_wait_dscnt 0x0
	v_dual_mul_f32 v36, v45, v33 :: v_dual_mul_f32 v37, v44, v33
	s_delay_alu instid0(VALU_DEP_1) | instskip(NEXT) | instid1(VALU_DEP_1)
	v_dual_fma_f32 v36, v44, v32, -v36 :: v_dual_fmac_f32 v37, v45, v32
	v_add_f32_e32 v5, v5, v36
	s_delay_alu instid0(VALU_DEP_2) | instskip(NEXT) | instid1(VALU_DEP_1)
	v_dual_add_f32 v36, v41, v37 :: v_dual_mul_f32 v41, v44, v35
	v_dual_mul_f32 v37, v45, v35 :: v_dual_fmac_f32 v41, v45, v34
	s_delay_alu instid0(VALU_DEP_1) | instskip(NEXT) | instid1(VALU_DEP_1)
	v_fma_f32 v37, v44, v34, -v37
	v_add_f32_e32 v30, v30, v37
	s_delay_alu instid0(VALU_DEP_3) | instskip(SKIP_1) | instid1(VALU_DEP_1)
	v_add_f32_e32 v37, v40, v41
	v_dual_mul_f32 v40, v39, v33 :: v_dual_mul_f32 v33, v38, v33
	v_dual_fma_f32 v40, v38, v32, -v40 :: v_dual_fmac_f32 v33, v39, v32
	s_delay_alu instid0(VALU_DEP_1) | instskip(NEXT) | instid1(VALU_DEP_2)
	v_dual_mul_f32 v32, v39, v35 :: v_dual_add_f32 v26, v26, v40
	v_dual_add_f32 v28, v28, v33 :: v_dual_mul_f32 v33, v38, v35
	s_delay_alu instid0(VALU_DEP_1) | instskip(NEXT) | instid1(VALU_DEP_1)
	v_dual_fma_f32 v32, v38, v34, -v32 :: v_dual_fmac_f32 v33, v39, v34
	v_dual_add_f32 v22, v22, v32 :: v_dual_add_f32 v24, v24, v33
	ds_load_2addr_b64 v[32:35], v29 offset0:128 offset1:144
	s_wait_dscnt 0x0
	v_dual_mul_f32 v38, v47, v33 :: v_dual_mul_f32 v39, v46, v33
	s_delay_alu instid0(VALU_DEP_1) | instskip(NEXT) | instid1(VALU_DEP_1)
	v_dual_fma_f32 v38, v46, v32, -v38 :: v_dual_fmac_f32 v39, v47, v32
	v_dual_add_f32 v5, v5, v38 :: v_dual_add_f32 v40, v36, v39
	v_dual_mul_f32 v36, v47, v35 :: v_dual_mul_f32 v38, v46, v35
	s_delay_alu instid0(VALU_DEP_1) | instskip(NEXT) | instid1(VALU_DEP_1)
	v_dual_fma_f32 v36, v46, v34, -v36 :: v_dual_fmac_f32 v38, v47, v34
	v_dual_add_f32 v30, v30, v36 :: v_dual_add_f32 v41, v37, v38
	ds_load_b128 v[36:39], v31 offset:1056
	s_wait_dscnt 0x0
	v_dual_mul_f32 v42, v37, v33 :: v_dual_mul_f32 v33, v36, v33
	s_delay_alu instid0(VALU_DEP_1) | instskip(NEXT) | instid1(VALU_DEP_1)
	v_dual_fma_f32 v42, v36, v32, -v42 :: v_dual_fmac_f32 v33, v37, v32
	v_dual_mul_f32 v32, v37, v35 :: v_dual_add_f32 v26, v26, v42
	s_delay_alu instid0(VALU_DEP_2) | instskip(NEXT) | instid1(VALU_DEP_2)
	v_add_f32_e32 v28, v28, v33
	v_dual_mul_f32 v33, v36, v35 :: v_dual_fma_f32 v32, v36, v34, -v32
	s_delay_alu instid0(VALU_DEP_1) | instskip(NEXT) | instid1(VALU_DEP_1)
	v_dual_fmac_f32 v33, v37, v34 :: v_dual_add_f32 v22, v22, v32
	v_add_f32_e32 v24, v24, v33
	ds_load_2addr_b64 v[32:35], v29 offset0:160 offset1:176
	s_wait_dscnt 0x0
	v_dual_mul_f32 v36, v49, v33 :: v_dual_mul_f32 v37, v48, v33
	s_delay_alu instid0(VALU_DEP_1) | instskip(NEXT) | instid1(VALU_DEP_1)
	v_dual_fma_f32 v36, v48, v32, -v36 :: v_dual_fmac_f32 v37, v49, v32
	v_dual_add_f32 v5, v5, v36 :: v_dual_add_f32 v36, v40, v37
	v_dual_mul_f32 v37, v49, v35 :: v_dual_mul_f32 v40, v48, v35
	s_delay_alu instid0(VALU_DEP_1) | instskip(NEXT) | instid1(VALU_DEP_1)
	v_dual_fma_f32 v37, v48, v34, -v37 :: v_dual_fmac_f32 v40, v49, v34
	v_dual_add_f32 v30, v30, v37 :: v_dual_add_f32 v37, v41, v40
	v_dual_mul_f32 v40, v39, v33 :: v_dual_mul_f32 v33, v38, v33
	s_delay_alu instid0(VALU_DEP_1) | instskip(NEXT) | instid1(VALU_DEP_1)
	v_dual_fma_f32 v40, v38, v32, -v40 :: v_dual_fmac_f32 v33, v39, v32
	v_dual_mul_f32 v32, v39, v35 :: v_dual_add_f32 v26, v26, v40
	s_delay_alu instid0(VALU_DEP_2) | instskip(NEXT) | instid1(VALU_DEP_2)
	v_dual_add_f32 v28, v28, v33 :: v_dual_mul_f32 v33, v38, v35
	v_fma_f32 v32, v38, v34, -v32
	ds_load_2addr_b64 v[40:43], v29 offset0:224 offset1:240
	v_dual_fmac_f32 v33, v39, v34 :: v_dual_add_f32 v22, v22, v32
	s_delay_alu instid0(VALU_DEP_1) | instskip(SKIP_3) | instid1(VALU_DEP_1)
	v_add_f32_e32 v24, v24, v33
	ds_load_2addr_b64 v[32:35], v29 offset0:192 offset1:208
	s_wait_dscnt 0x0
	v_dual_mul_f32 v38, v1, v33 :: v_dual_mul_f32 v39, v0, v33
	v_dual_fma_f32 v38, v0, v32, -v38 :: v_dual_fmac_f32 v39, v1, v32
	s_delay_alu instid0(VALU_DEP_1) | instskip(SKIP_1) | instid1(VALU_DEP_1)
	v_dual_add_f32 v5, v5, v38 :: v_dual_add_f32 v44, v36, v39
	v_mul_f32_e32 v36, v1, v35
	v_dual_fma_f32 v36, v0, v34, -v36 :: v_dual_mul_f32 v0, v0, v35
	s_delay_alu instid0(VALU_DEP_1) | instskip(NEXT) | instid1(VALU_DEP_1)
	v_fmac_f32_e32 v0, v1, v34
	v_add_f32_e32 v0, v37, v0
	s_delay_alu instid0(VALU_DEP_3)
	v_add_f32_e32 v1, v30, v36
	ds_load_b128 v[36:39], v31 offset:1072
	s_wait_dscnt 0x0
	s_barrier_signal -1
	s_barrier_wait -1
	v_dual_mul_f32 v30, v37, v33 :: v_dual_mul_f32 v33, v36, v33
	s_delay_alu instid0(VALU_DEP_1) | instskip(NEXT) | instid1(VALU_DEP_1)
	v_dual_fma_f32 v30, v36, v32, -v30 :: v_dual_fmac_f32 v33, v37, v32
	v_dual_mul_f32 v32, v36, v35 :: v_dual_add_f32 v26, v26, v30
	s_delay_alu instid0(VALU_DEP_2) | instskip(NEXT) | instid1(VALU_DEP_1)
	v_dual_add_f32 v28, v28, v33 :: v_dual_mul_f32 v30, v37, v35
	v_dual_fmac_f32 v32, v37, v34 :: v_dual_fma_f32 v30, v36, v34, -v30
	s_delay_alu instid0(VALU_DEP_1) | instskip(NEXT) | instid1(VALU_DEP_2)
	v_dual_add_f32 v24, v24, v32 :: v_dual_mul_f32 v32, v2, v41
	v_dual_add_f32 v22, v22, v30 :: v_dual_mul_f32 v30, v3, v41
	s_delay_alu instid0(VALU_DEP_1) | instskip(NEXT) | instid1(VALU_DEP_1)
	v_dual_fmac_f32 v32, v3, v40 :: v_dual_fma_f32 v30, v2, v40, -v30
	v_dual_add_f32 v36, v44, v32 :: v_dual_add_f32 v34, v5, v30
	v_mul_f32_e32 v5, v3, v43
	s_delay_alu instid0(VALU_DEP_1) | instskip(NEXT) | instid1(VALU_DEP_1)
	v_dual_fma_f32 v5, v2, v42, -v5 :: v_dual_mul_f32 v2, v2, v43
	v_dual_fmac_f32 v2, v3, v42 :: v_dual_add_f32 v30, v1, v5
	s_delay_alu instid0(VALU_DEP_1) | instskip(NEXT) | instid1(VALU_DEP_1)
	v_dual_mul_f32 v1, v38, v41 :: v_dual_add_f32 v32, v0, v2
	v_dual_mul_f32 v0, v39, v41 :: v_dual_fmac_f32 v1, v39, v40
	s_delay_alu instid0(VALU_DEP_1) | instskip(SKIP_1) | instid1(VALU_DEP_2)
	v_dual_fma_f32 v0, v38, v40, -v0 :: v_dual_add_f32 v28, v28, v1
	v_mul_f32_e32 v1, v38, v43
	v_dual_add_f32 v26, v26, v0 :: v_dual_mul_f32 v0, v39, v43
	s_delay_alu instid0(VALU_DEP_1) | instskip(NEXT) | instid1(VALU_DEP_1)
	v_dual_fmac_f32 v1, v39, v42 :: v_dual_fma_f32 v0, v38, v42, -v0
	v_dual_add_f32 v24, v24, v1 :: v_dual_add_f32 v22, v22, v0
	s_cbranch_scc0 .LBB90_13
.LBB90_9:                               ;   Parent Loop BB90_6 Depth=1
                                        ; =>  This Inner Loop Header: Depth=2
	v_dual_mov_b32 v1, 0 :: v_dual_add_nc_u32 v0, s18, v4
	s_delay_alu instid0(VALU_DEP_1) | instskip(SKIP_2) | instid1(SALU_CYCLE_1)
	v_cmp_gt_i32_e32 vcc_lo, s5, v0
	v_mov_b32_e32 v0, 0
	s_and_b32 s26, s0, vcc_lo
	s_and_saveexec_b32 s19, s26
	s_cbranch_execz .LBB90_11
; %bb.10:                               ;   in Loop: Header=BB90_9 Depth=2
	global_load_b64 v[0:1], v[18:19], off
.LBB90_11:                              ;   in Loop: Header=BB90_9 Depth=2
	s_wait_xcnt 0x0
	s_or_b32 exec_lo, exec_lo, s19
	v_dual_mov_b32 v3, 0 :: v_dual_add_nc_u32 v2, s18, v23
	s_wait_loadcnt 0x0
	ds_store_b64 v25, v[0:1]
	v_cmp_gt_i32_e32 vcc_lo, s5, v2
	v_mov_b32_e32 v2, 0
	s_and_b32 s26, vcc_lo, s1
	s_delay_alu instid0(SALU_CYCLE_1)
	s_and_saveexec_b32 s19, s26
	s_cbranch_execz .LBB90_8
; %bb.12:                               ;   in Loop: Header=BB90_9 Depth=2
	global_load_b64 v[2:3], v[20:21], off
	s_branch .LBB90_8
.LBB90_13:                              ;   in Loop: Header=BB90_6 Depth=1
	s_mul_u64 s[18:19], s[24:25], s[22:23]
	s_delay_alu instid0(SALU_CYCLE_1) | instskip(NEXT) | instid1(SALU_CYCLE_1)
	s_lshl_b64 s[18:19], s[18:19], 3
	s_add_nc_u64 s[18:19], s[12:13], s[18:19]
	s_delay_alu instid0(SALU_CYCLE_1)
	v_lshl_add_u64 v[0:1], v[8:9], 3, s[18:19]
	s_and_saveexec_b32 s26, s30
	s_cbranch_execz .LBB90_18
; %bb.14:                               ;   in Loop: Header=BB90_6 Depth=1
	v_mov_b64_e32 v[2:3], s[14:15]
	v_mov_b64_e32 v[18:19], s[6:7]
	s_and_b32 vcc_lo, exec_lo, s29
	s_mov_b32 s27, -1
	s_delay_alu instid0(VALU_DEP_2) | instskip(NEXT) | instid1(VALU_DEP_1)
	v_pk_mul_f32 v[2:3], v[36:37], v[2:3] op_sel_hi:[0,1]
	v_pk_fma_f32 v[20:21], v[34:35], v[18:19], v[2:3] op_sel_hi:[0,1,1]
	v_pk_fma_f32 v[2:3], v[34:35], v[18:19], v[2:3] neg_lo:[0,0,1] neg_hi:[0,0,1]
	v_lshl_add_u64 v[18:19], v[6:7], 3, v[0:1]
	s_delay_alu instid0(VALU_DEP_3)
	v_mov_b32_e32 v3, v21
	s_cbranch_vccz .LBB90_16
; %bb.15:                               ;   in Loop: Header=BB90_6 Depth=1
	global_load_b64 v[20:21], v[18:19], off
	v_mov_b64_e32 v[34:35], s[20:21]
	v_mov_b64_e32 v[36:37], s[2:3]
	s_mov_b32 s27, 0
	s_wait_loadcnt 0x0
	s_delay_alu instid0(VALU_DEP_2) | instskip(NEXT) | instid1(VALU_DEP_1)
	v_pk_mul_f32 v[34:35], v[20:21], v[34:35]
	v_pk_fma_f32 v[38:39], v[20:21], v[36:37], v[34:35] op_sel:[0,0,1] op_sel_hi:[1,1,0]
	v_pk_fma_f32 v[20:21], v[20:21], v[36:37], v[34:35] op_sel:[0,0,1] op_sel_hi:[1,1,0] neg_lo:[0,0,1] neg_hi:[0,0,1]
	s_delay_alu instid0(VALU_DEP_2) | instskip(NEXT) | instid1(VALU_DEP_1)
	v_mov_b32_e32 v21, v39
	v_pk_add_f32 v[20:21], v[2:3], v[20:21]
	global_store_b64 v[18:19], v[20:21], off
.LBB90_16:                              ;   in Loop: Header=BB90_6 Depth=1
	s_and_not1_b32 vcc_lo, exec_lo, s27
	s_cbranch_vccnz .LBB90_18
; %bb.17:                               ;   in Loop: Header=BB90_6 Depth=1
	global_store_b64 v[18:19], v[2:3], off
.LBB90_18:                              ;   in Loop: Header=BB90_6 Depth=1
	s_wait_xcnt 0x0
	s_or_b32 exec_lo, exec_lo, s26
	s_and_saveexec_b32 s26, s31
	s_cbranch_execz .LBB90_23
; %bb.19:                               ;   in Loop: Header=BB90_6 Depth=1
	v_mov_b64_e32 v[2:3], s[14:15]
	v_mov_b64_e32 v[18:19], s[6:7]
	v_lshl_add_u64 v[0:1], v[10:11], 3, v[0:1]
	s_and_not1_b32 vcc_lo, exec_lo, s29
	s_mov_b32 s27, -1
	s_delay_alu instid0(VALU_DEP_3) | instskip(NEXT) | instid1(VALU_DEP_1)
	v_pk_mul_f32 v[2:3], v[32:33], v[2:3] op_sel_hi:[0,1]
	v_pk_fma_f32 v[20:21], v[30:31], v[18:19], v[2:3] op_sel_hi:[0,1,1]
	v_pk_fma_f32 v[2:3], v[30:31], v[18:19], v[2:3] neg_lo:[0,0,1] neg_hi:[0,0,1]
	s_delay_alu instid0(VALU_DEP_2)
	v_mov_b32_e32 v3, v21
	s_cbranch_vccnz .LBB90_21
; %bb.20:                               ;   in Loop: Header=BB90_6 Depth=1
	global_load_b64 v[18:19], v[0:1], off
	v_mov_b64_e32 v[20:21], s[20:21]
	v_mov_b64_e32 v[32:33], s[2:3]
	s_mov_b32 s27, 0
	s_wait_loadcnt 0x0
	s_delay_alu instid0(VALU_DEP_2) | instskip(NEXT) | instid1(VALU_DEP_1)
	v_pk_mul_f32 v[20:21], v[18:19], v[20:21]
	v_pk_fma_f32 v[34:35], v[18:19], v[32:33], v[20:21] op_sel:[0,0,1] op_sel_hi:[1,1,0]
	v_pk_fma_f32 v[18:19], v[18:19], v[32:33], v[20:21] op_sel:[0,0,1] op_sel_hi:[1,1,0] neg_lo:[0,0,1] neg_hi:[0,0,1]
	s_delay_alu instid0(VALU_DEP_2) | instskip(NEXT) | instid1(VALU_DEP_1)
	v_mov_b32_e32 v19, v35
	v_pk_add_f32 v[18:19], v[2:3], v[18:19]
	global_store_b64 v[0:1], v[18:19], off
.LBB90_21:                              ;   in Loop: Header=BB90_6 Depth=1
	s_and_not1_b32 vcc_lo, exec_lo, s27
	s_cbranch_vccnz .LBB90_23
; %bb.22:                               ;   in Loop: Header=BB90_6 Depth=1
	global_store_b64 v[0:1], v[2:3], off
.LBB90_23:                              ;   in Loop: Header=BB90_6 Depth=1
	s_wait_xcnt 0x0
	s_or_b32 exec_lo, exec_lo, s26
	v_lshl_add_u64 v[0:1], v[12:13], 3, s[18:19]
	s_and_saveexec_b32 s18, s4
	s_cbranch_execz .LBB90_28
; %bb.24:                               ;   in Loop: Header=BB90_6 Depth=1
	v_mov_b64_e32 v[2:3], s[14:15]
	v_mov_b64_e32 v[18:19], s[6:7]
	s_and_not1_b32 vcc_lo, exec_lo, s29
	s_mov_b32 s19, -1
	s_delay_alu instid0(VALU_DEP_2) | instskip(NEXT) | instid1(VALU_DEP_1)
	v_pk_mul_f32 v[2:3], v[28:29], v[2:3] op_sel_hi:[0,1]
	v_pk_fma_f32 v[20:21], v[26:27], v[18:19], v[2:3] op_sel_hi:[0,1,1]
	v_pk_fma_f32 v[2:3], v[26:27], v[18:19], v[2:3] neg_lo:[0,0,1] neg_hi:[0,0,1]
	v_lshl_add_u64 v[18:19], v[6:7], 3, v[0:1]
	s_delay_alu instid0(VALU_DEP_3)
	v_mov_b32_e32 v3, v21
	s_cbranch_vccnz .LBB90_26
; %bb.25:                               ;   in Loop: Header=BB90_6 Depth=1
	global_load_b64 v[20:21], v[18:19], off
	v_mov_b64_e32 v[32:33], s[20:21]
	v_mov_b64_e32 v[34:35], s[2:3]
	s_mov_b32 s19, 0
	s_wait_loadcnt 0x0
	s_delay_alu instid0(VALU_DEP_2) | instskip(NEXT) | instid1(VALU_DEP_1)
	v_pk_mul_f32 v[32:33], v[20:21], v[32:33]
	v_pk_fma_f32 v[36:37], v[20:21], v[34:35], v[32:33] op_sel:[0,0,1] op_sel_hi:[1,1,0]
	v_pk_fma_f32 v[20:21], v[20:21], v[34:35], v[32:33] op_sel:[0,0,1] op_sel_hi:[1,1,0] neg_lo:[0,0,1] neg_hi:[0,0,1]
	s_delay_alu instid0(VALU_DEP_2) | instskip(NEXT) | instid1(VALU_DEP_1)
	v_mov_b32_e32 v21, v37
	v_pk_add_f32 v[20:21], v[2:3], v[20:21]
	global_store_b64 v[18:19], v[20:21], off
.LBB90_26:                              ;   in Loop: Header=BB90_6 Depth=1
	s_and_not1_b32 vcc_lo, exec_lo, s19
	s_cbranch_vccnz .LBB90_28
; %bb.27:                               ;   in Loop: Header=BB90_6 Depth=1
	global_store_b64 v[18:19], v[2:3], off
.LBB90_28:                              ;   in Loop: Header=BB90_6 Depth=1
	s_wait_xcnt 0x0
	s_or_b32 exec_lo, exec_lo, s18
	s_and_saveexec_b32 s18, s33
	s_cbranch_execz .LBB90_5
; %bb.29:                               ;   in Loop: Header=BB90_6 Depth=1
	v_mov_b64_e32 v[2:3], s[14:15]
	v_mov_b64_e32 v[18:19], s[6:7]
	v_lshl_add_u64 v[0:1], v[10:11], 3, v[0:1]
	s_and_not1_b32 vcc_lo, exec_lo, s29
	s_mov_b32 s19, -1
	s_delay_alu instid0(VALU_DEP_3) | instskip(NEXT) | instid1(VALU_DEP_1)
	v_pk_mul_f32 v[2:3], v[24:25], v[2:3] op_sel_hi:[0,1]
	v_pk_fma_f32 v[20:21], v[22:23], v[18:19], v[2:3] op_sel_hi:[0,1,1]
	v_pk_fma_f32 v[2:3], v[22:23], v[18:19], v[2:3] neg_lo:[0,0,1] neg_hi:[0,0,1]
	s_delay_alu instid0(VALU_DEP_2)
	v_mov_b32_e32 v3, v21
	s_cbranch_vccnz .LBB90_31
; %bb.30:                               ;   in Loop: Header=BB90_6 Depth=1
	global_load_b64 v[18:19], v[0:1], off
	v_mov_b64_e32 v[20:21], s[20:21]
	v_mov_b64_e32 v[32:33], s[2:3]
	s_mov_b32 s19, 0
	s_wait_loadcnt 0x0
	s_delay_alu instid0(VALU_DEP_2) | instskip(NEXT) | instid1(VALU_DEP_1)
	v_pk_mul_f32 v[20:21], v[18:19], v[20:21]
	v_pk_fma_f32 v[34:35], v[18:19], v[32:33], v[20:21] op_sel:[0,0,1] op_sel_hi:[1,1,0]
	v_pk_fma_f32 v[18:19], v[18:19], v[32:33], v[20:21] op_sel:[0,0,1] op_sel_hi:[1,1,0] neg_lo:[0,0,1] neg_hi:[0,0,1]
	s_delay_alu instid0(VALU_DEP_2) | instskip(NEXT) | instid1(VALU_DEP_1)
	v_mov_b32_e32 v19, v35
	v_pk_add_f32 v[18:19], v[2:3], v[18:19]
	global_store_b64 v[0:1], v[18:19], off
.LBB90_31:                              ;   in Loop: Header=BB90_6 Depth=1
	s_and_not1_b32 vcc_lo, exec_lo, s19
	s_cbranch_vccnz .LBB90_5
; %bb.32:                               ;   in Loop: Header=BB90_6 Depth=1
	global_store_b64 v[0:1], v[2:3], off
	s_branch .LBB90_5
.LBB90_33:
	s_endpgm
	.section	.rodata,"a",@progbits
	.p2align	6, 0x0
	.amdhsa_kernel _ZL29rocblas_internal_gemmt_kernelIiLi16ELi32ELi8ELc78ELc78ELc85ELb0ELb0E19rocblas_complex_numIfES1_PKS1_PS1_EviT_T9_T10_S5_lS7_S5_lS6_T11_S5_li
		.amdhsa_group_segment_fixed_size 4096
		.amdhsa_private_segment_fixed_size 0
		.amdhsa_kernarg_size 100
		.amdhsa_user_sgpr_count 2
		.amdhsa_user_sgpr_dispatch_ptr 0
		.amdhsa_user_sgpr_queue_ptr 0
		.amdhsa_user_sgpr_kernarg_segment_ptr 1
		.amdhsa_user_sgpr_dispatch_id 0
		.amdhsa_user_sgpr_kernarg_preload_length 0
		.amdhsa_user_sgpr_kernarg_preload_offset 0
		.amdhsa_user_sgpr_private_segment_size 0
		.amdhsa_wavefront_size32 1
		.amdhsa_uses_dynamic_stack 0
		.amdhsa_enable_private_segment 0
		.amdhsa_system_sgpr_workgroup_id_x 1
		.amdhsa_system_sgpr_workgroup_id_y 1
		.amdhsa_system_sgpr_workgroup_id_z 1
		.amdhsa_system_sgpr_workgroup_info 0
		.amdhsa_system_vgpr_workitem_id 1
		.amdhsa_next_free_vgpr 56
		.amdhsa_next_free_sgpr 36
		.amdhsa_named_barrier_count 0
		.amdhsa_reserve_vcc 1
		.amdhsa_float_round_mode_32 0
		.amdhsa_float_round_mode_16_64 0
		.amdhsa_float_denorm_mode_32 3
		.amdhsa_float_denorm_mode_16_64 3
		.amdhsa_fp16_overflow 0
		.amdhsa_memory_ordered 1
		.amdhsa_forward_progress 1
		.amdhsa_inst_pref_size 25
		.amdhsa_round_robin_scheduling 0
		.amdhsa_exception_fp_ieee_invalid_op 0
		.amdhsa_exception_fp_denorm_src 0
		.amdhsa_exception_fp_ieee_div_zero 0
		.amdhsa_exception_fp_ieee_overflow 0
		.amdhsa_exception_fp_ieee_underflow 0
		.amdhsa_exception_fp_ieee_inexact 0
		.amdhsa_exception_int_div_zero 0
	.end_amdhsa_kernel
	.section	.text._ZL29rocblas_internal_gemmt_kernelIiLi16ELi32ELi8ELc78ELc78ELc85ELb0ELb0E19rocblas_complex_numIfES1_PKS1_PS1_EviT_T9_T10_S5_lS7_S5_lS6_T11_S5_li,"axG",@progbits,_ZL29rocblas_internal_gemmt_kernelIiLi16ELi32ELi8ELc78ELc78ELc85ELb0ELb0E19rocblas_complex_numIfES1_PKS1_PS1_EviT_T9_T10_S5_lS7_S5_lS6_T11_S5_li,comdat
.Lfunc_end90:
	.size	_ZL29rocblas_internal_gemmt_kernelIiLi16ELi32ELi8ELc78ELc78ELc85ELb0ELb0E19rocblas_complex_numIfES1_PKS1_PS1_EviT_T9_T10_S5_lS7_S5_lS6_T11_S5_li, .Lfunc_end90-_ZL29rocblas_internal_gemmt_kernelIiLi16ELi32ELi8ELc78ELc78ELc85ELb0ELb0E19rocblas_complex_numIfES1_PKS1_PS1_EviT_T9_T10_S5_lS7_S5_lS6_T11_S5_li
                                        ; -- End function
	.set _ZL29rocblas_internal_gemmt_kernelIiLi16ELi32ELi8ELc78ELc78ELc85ELb0ELb0E19rocblas_complex_numIfES1_PKS1_PS1_EviT_T9_T10_S5_lS7_S5_lS6_T11_S5_li.num_vgpr, 56
	.set _ZL29rocblas_internal_gemmt_kernelIiLi16ELi32ELi8ELc78ELc78ELc85ELb0ELb0E19rocblas_complex_numIfES1_PKS1_PS1_EviT_T9_T10_S5_lS7_S5_lS6_T11_S5_li.num_agpr, 0
	.set _ZL29rocblas_internal_gemmt_kernelIiLi16ELi32ELi8ELc78ELc78ELc85ELb0ELb0E19rocblas_complex_numIfES1_PKS1_PS1_EviT_T9_T10_S5_lS7_S5_lS6_T11_S5_li.numbered_sgpr, 36
	.set _ZL29rocblas_internal_gemmt_kernelIiLi16ELi32ELi8ELc78ELc78ELc85ELb0ELb0E19rocblas_complex_numIfES1_PKS1_PS1_EviT_T9_T10_S5_lS7_S5_lS6_T11_S5_li.num_named_barrier, 0
	.set _ZL29rocblas_internal_gemmt_kernelIiLi16ELi32ELi8ELc78ELc78ELc85ELb0ELb0E19rocblas_complex_numIfES1_PKS1_PS1_EviT_T9_T10_S5_lS7_S5_lS6_T11_S5_li.private_seg_size, 0
	.set _ZL29rocblas_internal_gemmt_kernelIiLi16ELi32ELi8ELc78ELc78ELc85ELb0ELb0E19rocblas_complex_numIfES1_PKS1_PS1_EviT_T9_T10_S5_lS7_S5_lS6_T11_S5_li.uses_vcc, 1
	.set _ZL29rocblas_internal_gemmt_kernelIiLi16ELi32ELi8ELc78ELc78ELc85ELb0ELb0E19rocblas_complex_numIfES1_PKS1_PS1_EviT_T9_T10_S5_lS7_S5_lS6_T11_S5_li.uses_flat_scratch, 0
	.set _ZL29rocblas_internal_gemmt_kernelIiLi16ELi32ELi8ELc78ELc78ELc85ELb0ELb0E19rocblas_complex_numIfES1_PKS1_PS1_EviT_T9_T10_S5_lS7_S5_lS6_T11_S5_li.has_dyn_sized_stack, 0
	.set _ZL29rocblas_internal_gemmt_kernelIiLi16ELi32ELi8ELc78ELc78ELc85ELb0ELb0E19rocblas_complex_numIfES1_PKS1_PS1_EviT_T9_T10_S5_lS7_S5_lS6_T11_S5_li.has_recursion, 0
	.set _ZL29rocblas_internal_gemmt_kernelIiLi16ELi32ELi8ELc78ELc78ELc85ELb0ELb0E19rocblas_complex_numIfES1_PKS1_PS1_EviT_T9_T10_S5_lS7_S5_lS6_T11_S5_li.has_indirect_call, 0
	.section	.AMDGPU.csdata,"",@progbits
; Kernel info:
; codeLenInByte = 3168
; TotalNumSgprs: 38
; NumVgprs: 56
; ScratchSize: 0
; MemoryBound: 0
; FloatMode: 240
; IeeeMode: 1
; LDSByteSize: 4096 bytes/workgroup (compile time only)
; SGPRBlocks: 0
; VGPRBlocks: 3
; NumSGPRsForWavesPerEU: 38
; NumVGPRsForWavesPerEU: 56
; NamedBarCnt: 0
; Occupancy: 16
; WaveLimiterHint : 0
; COMPUTE_PGM_RSRC2:SCRATCH_EN: 0
; COMPUTE_PGM_RSRC2:USER_SGPR: 2
; COMPUTE_PGM_RSRC2:TRAP_HANDLER: 0
; COMPUTE_PGM_RSRC2:TGID_X_EN: 1
; COMPUTE_PGM_RSRC2:TGID_Y_EN: 1
; COMPUTE_PGM_RSRC2:TGID_Z_EN: 1
; COMPUTE_PGM_RSRC2:TIDIG_COMP_CNT: 1
	.section	.text._ZL29rocblas_internal_gemmt_kernelIiLi16ELi32ELi8ELc78ELc84ELc85ELb0ELb0E19rocblas_complex_numIfES1_PKS1_PS1_EviT_T9_T10_S5_lS7_S5_lS6_T11_S5_li,"axG",@progbits,_ZL29rocblas_internal_gemmt_kernelIiLi16ELi32ELi8ELc78ELc84ELc85ELb0ELb0E19rocblas_complex_numIfES1_PKS1_PS1_EviT_T9_T10_S5_lS7_S5_lS6_T11_S5_li,comdat
	.globl	_ZL29rocblas_internal_gemmt_kernelIiLi16ELi32ELi8ELc78ELc84ELc85ELb0ELb0E19rocblas_complex_numIfES1_PKS1_PS1_EviT_T9_T10_S5_lS7_S5_lS6_T11_S5_li ; -- Begin function _ZL29rocblas_internal_gemmt_kernelIiLi16ELi32ELi8ELc78ELc84ELc85ELb0ELb0E19rocblas_complex_numIfES1_PKS1_PS1_EviT_T9_T10_S5_lS7_S5_lS6_T11_S5_li
	.p2align	8
	.type	_ZL29rocblas_internal_gemmt_kernelIiLi16ELi32ELi8ELc78ELc84ELc85ELb0ELb0E19rocblas_complex_numIfES1_PKS1_PS1_EviT_T9_T10_S5_lS7_S5_lS6_T11_S5_li,@function
_ZL29rocblas_internal_gemmt_kernelIiLi16ELi32ELi8ELc78ELc84ELc85ELb0ELb0E19rocblas_complex_numIfES1_PKS1_PS1_EviT_T9_T10_S5_lS7_S5_lS6_T11_S5_li: ; @_ZL29rocblas_internal_gemmt_kernelIiLi16ELi32ELi8ELc78ELc84ELc85ELb0ELb0E19rocblas_complex_numIfES1_PKS1_PS1_EviT_T9_T10_S5_lS7_S5_lS6_T11_S5_li
; %bb.0:
	s_clause 0x1
	s_load_b64 s[20:21], s[0:1], 0x40
	s_load_b128 s[4:7], s[0:1], 0x0
	s_wait_kmcnt 0x0
	s_cmp_neq_f32 s20, 1.0
	s_cselect_b32 s2, -1, 0
	s_and_b32 s8, s21, 0x7fffffff
	s_delay_alu instid0(SALU_CYCLE_1) | instskip(SKIP_3) | instid1(SALU_CYCLE_1)
	s_cmp_eq_u32 s8, 0
	s_cselect_b32 s3, -1, 0
	s_cmp_lg_u32 s8, 0
	s_cselect_b32 s8, -1, 0
	s_or_b32 s2, s2, s8
	s_delay_alu instid0(SALU_CYCLE_1)
	s_and_b32 vcc_lo, exec_lo, s2
	s_cbranch_vccnz .LBB91_2
; %bb.1:
	s_cmp_lg_u32 s5, 0
	s_cselect_b32 s2, -1, 0
	s_cmp_neq_f32 s6, 0
	s_cselect_b32 s8, -1, 0
	s_cmp_neq_f32 s7, 0
	s_cselect_b32 s9, -1, 0
	s_delay_alu instid0(SALU_CYCLE_1) | instskip(NEXT) | instid1(SALU_CYCLE_1)
	s_or_b32 s8, s8, s9
	s_and_b32 s2, s2, s8
.LBB91_2:
	s_delay_alu instid0(SALU_CYCLE_1)
	s_and_not1_b32 vcc_lo, exec_lo, s2
	s_cbranch_vccnz .LBB91_33
; %bb.3:
	s_load_b32 s30, s[0:1], 0x60
	s_bfe_u32 s2, ttmp6, 0x40014
	s_lshr_b32 s8, ttmp7, 16
	s_add_co_i32 s2, s2, 1
	s_bfe_u32 s10, ttmp6, 0x40008
	s_mul_i32 s9, s8, s2
	s_getreg_b32 s2, hwreg(HW_REG_IB_STS2, 6, 4)
	s_add_co_i32 s10, s10, s9
	s_cmp_eq_u32 s2, 0
	s_mov_b32 s23, 0
	s_cselect_b32 s22, s8, s10
	s_wait_kmcnt 0x0
	s_cmp_ge_u32 s22, s30
	s_cbranch_scc1 .LBB91_33
; %bb.4:
	s_clause 0x2
	s_load_b96 s[16:18], s[0:1], 0x10
	s_load_b32 s26, s[0:1], 0x30
	s_load_b96 s[12:14], s[0:1], 0x48
	v_and_b32_e32 v1, 0x3ff, v0
	v_bfe_u32 v8, v0, 10, 10
	s_clause 0x2
	s_load_b128 s[8:11], s[0:1], 0x20
	s_load_b64 s[28:29], s[0:1], 0x38
	s_load_b64 s[24:25], s[0:1], 0x58
	s_wait_xcnt 0x0
	s_bfe_u32 s1, ttmp6, 0x4000c
	s_bfe_u32 s15, ttmp6, 0x40010
	s_and_b32 s31, ttmp7, 0xffff
	v_lshl_add_u32 v2, v8, 4, v1
	s_add_co_i32 s1, s1, 1
	s_add_co_i32 s15, s15, 1
	v_and_b32_e32 v6, 7, v0
	s_and_b32 s0, ttmp6, 15
	v_lshrrev_b32_e32 v4, 5, v2
	s_mul_i32 s1, ttmp9, s1
	s_mul_i32 s33, s31, s15
	s_bfe_u32 s34, ttmp6, 0x40004
	s_add_co_i32 s0, s0, s1
	s_add_co_i32 s34, s34, s33
	s_wait_kmcnt 0x0
	s_ashr_i32 s19, s18, 31
	s_ashr_i32 s27, s26, 31
	;; [unrolled: 1-line block ×3, first 2 shown]
	s_cmp_eq_u32 s2, 0
	v_dual_lshrrev_b32 v5, 3, v2 :: v_dual_bitop2_b32 v3, 31, v2 bitop3:0x40
	v_lshlrev_b32_e32 v7, 3, v6
	s_cselect_b32 s0, ttmp9, s0
	s_cselect_b32 s1, s31, s34
	s_lshl_b32 s2, s0, 5
	s_lshl_b32 s31, s1, 5
	s_delay_alu instid0(SALU_CYCLE_1) | instskip(SKIP_4) | instid1(VALU_DEP_3)
	v_dual_add_nc_u32 v2, s31, v5 :: v_dual_bitop2_b32 v0, s2, v3 bitop3:0x54
	v_lshlrev_b32_e32 v3, 3, v3
	v_lshl_or_b32 v7, v5, 6, v7
	v_dual_mov_b32 v5, 0 :: v_dual_add_nc_u32 v16, s31, v8
	s_cmp_neq_f32 s6, 0
	v_lshl_or_b32 v25, v4, 8, v3
	s_delay_alu instid0(VALU_DEP_3) | instskip(NEXT) | instid1(VALU_DEP_3)
	v_add_nc_u32_e32 v27, 0x800, v7
	v_dual_ashrrev_i32 v3, 31, v2 :: v_dual_mov_b32 v7, v5
	v_mul_u64_e32 v[18:19], s[18:19], v[4:5]
	v_dual_lshlrev_b32 v5, 3, v1 :: v_dual_add_nc_u32 v22, 16, v16
	v_ashrrev_i32_e32 v17, 31, v16
	s_delay_alu instid0(VALU_DEP_4) | instskip(SKIP_1) | instid1(VALU_DEP_4)
	v_mul_u64_e32 v[20:21], s[26:27], v[6:7]
	v_lshl_add_u32 v7, v8, 6, 0x800
	v_dual_add_nc_u32 v8, s2, v1 :: v_dual_ashrrev_i32 v23, 31, v22
	s_delay_alu instid0(VALU_DEP_4) | instskip(SKIP_2) | instid1(VALU_DEP_2)
	v_mul_u64_e32 v[12:13], s[14:15], v[16:17]
	s_cselect_b32 s0, -1, 0
	s_cmp_neq_f32 s7, 0
	v_add_nc_u32_e32 v10, 16, v8
	v_mul_u64_e32 v[14:15], s[14:15], v[22:23]
	v_ashrrev_i32_e32 v1, 31, v0
	s_cselect_b32 s1, -1, 0
	v_cmp_gt_i32_e32 vcc_lo, s4, v16
	s_or_b32 s36, s0, s1
	v_cmp_gt_i32_e64 s0, s4, v0
	v_cmp_gt_i32_e64 s1, s4, v2
	v_lshlrev_b64_e32 v[0:1], 3, v[0:1]
	v_lshlrev_b64_e32 v[2:3], 3, v[2:3]
	s_cmp_gt_i32 s5, 0
	v_cmp_le_i32_e64 s2, v8, v16
	s_cselect_b32 s37, -1, 0
	s_cmp_neq_f32 s20, 0
	v_dual_ashrrev_i32 v9, 31, v8 :: v_dual_ashrrev_i32 v11, 31, v10
	s_mov_b32 s15, s6
	s_cselect_b32 s31, -1, 0
	s_xor_b32 s14, s3, -1
	v_cmp_le_i32_e64 s3, v10, v16
	s_and_b32 s33, vcc_lo, s2
	v_lshl_add_u64 v[0:1], v[18:19], 3, v[0:1]
	v_cmp_le_i32_e64 s2, v8, v22
	s_or_b32 s31, s31, s14
	s_and_b32 s34, vcc_lo, s3
	v_lshl_add_u64 v[2:3], v[20:21], 3, v[2:3]
	v_cmp_gt_i32_e32 vcc_lo, s4, v22
	v_cmp_le_i32_e64 s3, v10, v22
	v_add_nc_u64_e32 v[16:17], s[16:17], v[0:1]
	s_mov_b32 s14, s7
	v_add_nc_u64_e32 v[18:19], s[10:11], v[2:3]
	s_and_b32 s4, vcc_lo, s2
	s_and_b32 s35, vcc_lo, s3
	s_mov_b32 s2, s20
	s_mov_b32 s3, s20
	;; [unrolled: 1-line block ×3, first 2 shown]
	s_lshl_b64 s[8:9], s[8:9], 3
	s_and_b32 s36, s36, s37
	s_lshl_b64 s[10:11], s[18:19], 6
	s_lshl_b64 s[16:17], s[28:29], 3
	;; [unrolled: 1-line block ×3, first 2 shown]
	s_branch .LBB91_6
.LBB91_5:                               ;   in Loop: Header=BB91_6 Depth=1
	s_wait_xcnt 0x0
	s_or_b32 exec_lo, exec_lo, s26
	s_add_co_i32 s22, s22, 0x10000
	s_delay_alu instid0(SALU_CYCLE_1)
	s_cmp_lt_u32 s22, s30
	s_cbranch_scc0 .LBB91_33
.LBB91_6:                               ; =>This Loop Header: Depth=1
                                        ;     Child Loop BB91_9 Depth 2
	v_dual_mov_b32 v36, 0 :: v_dual_mov_b32 v38, 0
	v_dual_mov_b32 v32, 0 :: v_dual_mov_b32 v34, 0
	;; [unrolled: 1-line block ×4, first 2 shown]
	s_and_not1_b32 vcc_lo, exec_lo, s36
	s_cbranch_vccnz .LBB91_13
; %bb.7:                                ;   in Loop: Header=BB91_6 Depth=1
	v_mad_nc_u64_u32 v[20:21], s8, s22, v[16:17]
	v_mad_nc_u64_u32 v[22:23], s16, s22, v[18:19]
	v_dual_mov_b32 v26, 0 :: v_dual_mov_b32 v24, 0
	v_dual_mov_b32 v30, 0 :: v_dual_mov_b32 v28, 0
	;; [unrolled: 1-line block ×4, first 2 shown]
	s_mov_b32 s26, 0
	v_mad_u32 v21, s9, s22, v21
	v_mad_u32 v23, s17, s22, v23
	s_branch .LBB91_9
.LBB91_8:                               ;   in Loop: Header=BB91_9 Depth=2
	s_wait_xcnt 0x0
	s_or_b32 exec_lo, exec_lo, s27
	s_wait_loadcnt 0x0
	ds_store_b64 v27, v[2:3]
	s_wait_dscnt 0x0
	s_barrier_signal -1
	s_barrier_wait -1
	ds_load_b128 v[40:43], v7
	ds_load_b128 v[44:47], v7 offset:16
	ds_load_b128 v[48:51], v7 offset:32
	;; [unrolled: 1-line block ×3, first 2 shown]
	ds_load_2addr_b64 v[52:55], v5 offset1:16
	v_add_nc_u64_e32 v[20:21], s[10:11], v[20:21]
	v_add_nc_u64_e32 v[22:23], s[18:19], v[22:23]
	s_add_co_i32 s26, s26, 8
	s_delay_alu instid0(SALU_CYCLE_1) | instskip(SKIP_2) | instid1(VALU_DEP_1)
	s_cmp_lt_i32 s26, s5
	s_wait_dscnt 0x0
	v_dual_mul_f32 v29, v41, v53 :: v_dual_mul_f32 v31, v40, v53
	v_dual_fma_f32 v29, v40, v52, -v29 :: v_dual_fmac_f32 v31, v41, v52
	s_delay_alu instid0(VALU_DEP_1) | instskip(SKIP_1) | instid1(VALU_DEP_1)
	v_dual_add_f32 v36, v36, v29 :: v_dual_add_f32 v37, v38, v31
	v_dual_mul_f32 v29, v41, v55 :: v_dual_mul_f32 v31, v40, v55
	v_dual_fma_f32 v29, v40, v54, -v29 :: v_dual_fmac_f32 v31, v41, v54
	s_delay_alu instid0(VALU_DEP_1) | instskip(SKIP_3) | instid1(VALU_DEP_1)
	v_dual_add_f32 v38, v32, v29 :: v_dual_add_f32 v39, v34, v31
	ds_load_b128 v[32:35], v7 offset:1024
	s_wait_dscnt 0x0
	v_dual_mul_f32 v29, v33, v53 :: v_dual_mul_f32 v31, v32, v53
	v_dual_fma_f32 v29, v32, v52, -v29 :: v_dual_fmac_f32 v31, v33, v52
	s_delay_alu instid0(VALU_DEP_1) | instskip(SKIP_1) | instid1(VALU_DEP_1)
	v_dual_add_f32 v40, v28, v29 :: v_dual_add_f32 v41, v30, v31
	v_dual_mul_f32 v28, v33, v55 :: v_dual_mul_f32 v29, v32, v55
	v_dual_fma_f32 v28, v32, v54, -v28 :: v_dual_fmac_f32 v29, v33, v54
	s_delay_alu instid0(VALU_DEP_1) | instskip(SKIP_3) | instid1(VALU_DEP_1)
	v_dual_add_f32 v24, v24, v28 :: v_dual_add_f32 v26, v26, v29
	ds_load_2addr_b64 v[28:31], v5 offset0:32 offset1:48
	s_wait_dscnt 0x0
	v_dual_mul_f32 v32, v43, v29 :: v_dual_mul_f32 v33, v42, v29
	v_dual_fma_f32 v32, v42, v28, -v32 :: v_dual_fmac_f32 v33, v43, v28
	s_delay_alu instid0(VALU_DEP_1) | instskip(SKIP_1) | instid1(VALU_DEP_1)
	v_dual_add_f32 v32, v36, v32 :: v_dual_add_f32 v33, v37, v33
	v_dual_mul_f32 v36, v43, v31 :: v_dual_mul_f32 v37, v42, v31
	v_dual_fma_f32 v36, v42, v30, -v36 :: v_dual_fmac_f32 v37, v43, v30
	s_delay_alu instid0(VALU_DEP_1) | instskip(SKIP_1) | instid1(VALU_DEP_1)
	v_dual_add_f32 v36, v38, v36 :: v_dual_add_f32 v37, v39, v37
	v_dual_mul_f32 v38, v35, v29 :: v_dual_mul_f32 v29, v34, v29
	v_dual_fma_f32 v38, v34, v28, -v38 :: v_dual_fmac_f32 v29, v35, v28
	s_delay_alu instid0(VALU_DEP_1) | instskip(NEXT) | instid1(VALU_DEP_2)
	v_dual_mul_f32 v28, v35, v31 :: v_dual_add_f32 v38, v40, v38
	v_dual_add_f32 v39, v41, v29 :: v_dual_mul_f32 v29, v34, v31
	s_delay_alu instid0(VALU_DEP_1) | instskip(NEXT) | instid1(VALU_DEP_1)
	v_dual_fma_f32 v28, v34, v30, -v28 :: v_dual_fmac_f32 v29, v35, v30
	v_dual_add_f32 v24, v24, v28 :: v_dual_add_f32 v26, v26, v29
	ds_load_2addr_b64 v[28:31], v5 offset0:64 offset1:80
	s_wait_dscnt 0x0
	v_dual_mul_f32 v34, v45, v29 :: v_dual_mul_f32 v35, v44, v29
	s_delay_alu instid0(VALU_DEP_1) | instskip(NEXT) | instid1(VALU_DEP_1)
	v_dual_fma_f32 v34, v44, v28, -v34 :: v_dual_fmac_f32 v35, v45, v28
	v_dual_add_f32 v40, v32, v34 :: v_dual_add_f32 v41, v33, v35
	v_dual_mul_f32 v32, v45, v31 :: v_dual_mul_f32 v33, v44, v31
	s_delay_alu instid0(VALU_DEP_1) | instskip(NEXT) | instid1(VALU_DEP_1)
	v_dual_fma_f32 v32, v44, v30, -v32 :: v_dual_fmac_f32 v33, v45, v30
	v_dual_add_f32 v36, v36, v32 :: v_dual_add_f32 v37, v37, v33
	ds_load_b128 v[32:35], v7 offset:1040
	s_wait_dscnt 0x0
	v_dual_mul_f32 v42, v33, v29 :: v_dual_mul_f32 v29, v32, v29
	s_delay_alu instid0(VALU_DEP_1) | instskip(NEXT) | instid1(VALU_DEP_1)
	v_dual_fma_f32 v42, v32, v28, -v42 :: v_dual_fmac_f32 v29, v33, v28
	v_dual_mul_f32 v28, v33, v31 :: v_dual_add_f32 v38, v38, v42
	s_delay_alu instid0(VALU_DEP_2) | instskip(NEXT) | instid1(VALU_DEP_1)
	v_dual_add_f32 v39, v39, v29 :: v_dual_mul_f32 v29, v32, v31
	v_dual_fma_f32 v28, v32, v30, -v28 :: v_dual_fmac_f32 v29, v33, v30
	s_delay_alu instid0(VALU_DEP_1) | instskip(SKIP_3) | instid1(VALU_DEP_1)
	v_dual_add_f32 v24, v24, v28 :: v_dual_add_f32 v26, v26, v29
	ds_load_2addr_b64 v[28:31], v5 offset0:96 offset1:112
	s_wait_dscnt 0x0
	v_dual_mul_f32 v32, v47, v29 :: v_dual_mul_f32 v33, v46, v29
	v_dual_fma_f32 v32, v46, v28, -v32 :: v_dual_fmac_f32 v33, v47, v28
	s_delay_alu instid0(VALU_DEP_1) | instskip(SKIP_1) | instid1(VALU_DEP_1)
	v_dual_add_f32 v32, v40, v32 :: v_dual_add_f32 v33, v41, v33
	v_dual_mul_f32 v40, v47, v31 :: v_dual_mul_f32 v41, v46, v31
	v_dual_fma_f32 v40, v46, v30, -v40 :: v_dual_fmac_f32 v41, v47, v30
	s_delay_alu instid0(VALU_DEP_1) | instskip(SKIP_1) | instid1(VALU_DEP_1)
	v_dual_add_f32 v36, v36, v40 :: v_dual_add_f32 v37, v37, v41
	v_dual_mul_f32 v40, v35, v29 :: v_dual_mul_f32 v29, v34, v29
	v_dual_fma_f32 v40, v34, v28, -v40 :: v_dual_fmac_f32 v29, v35, v28
	s_delay_alu instid0(VALU_DEP_1) | instskip(NEXT) | instid1(VALU_DEP_2)
	v_dual_mul_f32 v28, v35, v31 :: v_dual_add_f32 v38, v38, v40
	v_dual_add_f32 v39, v39, v29 :: v_dual_mul_f32 v29, v34, v31
	s_delay_alu instid0(VALU_DEP_1) | instskip(NEXT) | instid1(VALU_DEP_1)
	v_dual_fma_f32 v28, v34, v30, -v28 :: v_dual_fmac_f32 v29, v35, v30
	v_dual_add_f32 v24, v24, v28 :: v_dual_add_f32 v26, v26, v29
	ds_load_2addr_b64 v[28:31], v5 offset0:128 offset1:144
	s_wait_dscnt 0x0
	v_dual_mul_f32 v34, v49, v29 :: v_dual_mul_f32 v35, v48, v29
	s_delay_alu instid0(VALU_DEP_1) | instskip(NEXT) | instid1(VALU_DEP_1)
	v_dual_fma_f32 v34, v48, v28, -v34 :: v_dual_fmac_f32 v35, v49, v28
	v_dual_add_f32 v40, v32, v34 :: v_dual_add_f32 v41, v33, v35
	v_dual_mul_f32 v32, v49, v31 :: v_dual_mul_f32 v33, v48, v31
	s_delay_alu instid0(VALU_DEP_1) | instskip(NEXT) | instid1(VALU_DEP_1)
	v_dual_fma_f32 v32, v48, v30, -v32 :: v_dual_fmac_f32 v33, v49, v30
	v_dual_add_f32 v36, v36, v32 :: v_dual_add_f32 v37, v37, v33
	ds_load_b128 v[32:35], v7 offset:1056
	s_wait_dscnt 0x0
	v_dual_mul_f32 v42, v33, v29 :: v_dual_mul_f32 v29, v32, v29
	s_delay_alu instid0(VALU_DEP_1) | instskip(NEXT) | instid1(VALU_DEP_1)
	v_dual_fma_f32 v42, v32, v28, -v42 :: v_dual_fmac_f32 v29, v33, v28
	v_dual_mul_f32 v28, v33, v31 :: v_dual_add_f32 v38, v38, v42
	s_delay_alu instid0(VALU_DEP_2) | instskip(NEXT) | instid1(VALU_DEP_1)
	v_dual_add_f32 v39, v39, v29 :: v_dual_mul_f32 v29, v32, v31
	v_dual_fma_f32 v28, v32, v30, -v28 :: v_dual_fmac_f32 v29, v33, v30
	s_delay_alu instid0(VALU_DEP_1) | instskip(SKIP_3) | instid1(VALU_DEP_1)
	v_dual_add_f32 v24, v24, v28 :: v_dual_add_f32 v26, v26, v29
	ds_load_2addr_b64 v[28:31], v5 offset0:160 offset1:176
	s_wait_dscnt 0x0
	v_dual_mul_f32 v32, v51, v29 :: v_dual_mul_f32 v33, v50, v29
	v_dual_fma_f32 v32, v50, v28, -v32 :: v_dual_fmac_f32 v33, v51, v28
	s_delay_alu instid0(VALU_DEP_1) | instskip(SKIP_1) | instid1(VALU_DEP_1)
	v_dual_add_f32 v32, v40, v32 :: v_dual_add_f32 v33, v41, v33
	v_dual_mul_f32 v40, v51, v31 :: v_dual_mul_f32 v41, v50, v31
	v_dual_fma_f32 v40, v50, v30, -v40 :: v_dual_fmac_f32 v41, v51, v30
	s_delay_alu instid0(VALU_DEP_1) | instskip(SKIP_1) | instid1(VALU_DEP_1)
	v_dual_add_f32 v36, v36, v40 :: v_dual_add_f32 v37, v37, v41
	v_dual_mul_f32 v40, v35, v29 :: v_dual_mul_f32 v29, v34, v29
	v_dual_fma_f32 v40, v34, v28, -v40 :: v_dual_fmac_f32 v29, v35, v28
	s_delay_alu instid0(VALU_DEP_1) | instskip(NEXT) | instid1(VALU_DEP_2)
	v_dual_mul_f32 v28, v35, v31 :: v_dual_add_f32 v42, v38, v40
	v_dual_add_f32 v43, v39, v29 :: v_dual_mul_f32 v29, v34, v31
	s_delay_alu instid0(VALU_DEP_2) | instskip(SKIP_2) | instid1(VALU_DEP_1)
	v_fma_f32 v28, v34, v30, -v28
	ds_load_b128 v[38:41], v7 offset:1072
	v_dual_fmac_f32 v29, v35, v30 :: v_dual_add_f32 v24, v24, v28
	v_add_f32_e32 v26, v26, v29
	ds_load_2addr_b64 v[28:31], v5 offset0:192 offset1:208
	s_wait_dscnt 0x0
	v_dual_mul_f32 v34, v1, v29 :: v_dual_mul_f32 v35, v0, v29
	s_delay_alu instid0(VALU_DEP_1) | instskip(NEXT) | instid1(VALU_DEP_1)
	v_dual_fma_f32 v34, v0, v28, -v34 :: v_dual_fmac_f32 v35, v1, v28
	v_dual_add_f32 v32, v32, v34 :: v_dual_add_f32 v33, v33, v35
	v_mul_f32_e32 v34, v1, v31
	s_delay_alu instid0(VALU_DEP_1) | instskip(NEXT) | instid1(VALU_DEP_1)
	v_dual_fma_f32 v34, v0, v30, -v34 :: v_dual_mul_f32 v0, v0, v31
	v_fmac_f32_e32 v0, v1, v30
	s_delay_alu instid0(VALU_DEP_2) | instskip(NEXT) | instid1(VALU_DEP_2)
	v_dual_add_f32 v1, v36, v34 :: v_dual_mul_f32 v34, v39, v29
	v_dual_mul_f32 v29, v38, v29 :: v_dual_add_f32 v0, v37, v0
	s_delay_alu instid0(VALU_DEP_1) | instskip(NEXT) | instid1(VALU_DEP_1)
	v_dual_fma_f32 v34, v38, v28, -v34 :: v_dual_fmac_f32 v29, v39, v28
	v_dual_add_f32 v28, v42, v34 :: v_dual_add_f32 v29, v43, v29
	ds_load_2addr_b64 v[42:45], v5 offset0:224 offset1:240
	v_dual_mul_f32 v34, v39, v31 :: v_dual_mul_f32 v31, v38, v31
	s_wait_dscnt 0x0
	s_barrier_signal -1
	s_barrier_wait -1
	s_delay_alu instid0(VALU_DEP_1) | instskip(NEXT) | instid1(VALU_DEP_1)
	v_dual_fma_f32 v34, v38, v30, -v34 :: v_dual_fmac_f32 v31, v39, v30
	v_dual_add_f32 v24, v24, v34 :: v_dual_add_f32 v26, v26, v31
	v_dual_mul_f32 v30, v3, v43 :: v_dual_mul_f32 v31, v2, v43
	s_delay_alu instid0(VALU_DEP_1) | instskip(NEXT) | instid1(VALU_DEP_1)
	v_dual_fma_f32 v30, v2, v42, -v30 :: v_dual_fmac_f32 v31, v3, v42
	v_dual_add_f32 v36, v32, v30 :: v_dual_add_f32 v38, v33, v31
	v_mul_f32_e32 v30, v3, v45
	s_delay_alu instid0(VALU_DEP_1) | instskip(NEXT) | instid1(VALU_DEP_1)
	v_dual_fma_f32 v30, v2, v44, -v30 :: v_dual_mul_f32 v2, v2, v45
	v_fmac_f32_e32 v2, v3, v44
	s_delay_alu instid0(VALU_DEP_1) | instskip(NEXT) | instid1(VALU_DEP_3)
	v_add_f32_e32 v34, v0, v2
	v_add_f32_e32 v32, v1, v30
	v_dual_mul_f32 v0, v41, v43 :: v_dual_mul_f32 v1, v40, v43
	s_delay_alu instid0(VALU_DEP_1) | instskip(NEXT) | instid1(VALU_DEP_1)
	v_dual_fma_f32 v0, v40, v42, -v0 :: v_dual_fmac_f32 v1, v41, v42
	v_dual_add_f32 v28, v28, v0 :: v_dual_add_f32 v30, v29, v1
	v_dual_mul_f32 v0, v41, v45 :: v_dual_mul_f32 v1, v40, v45
	s_delay_alu instid0(VALU_DEP_1) | instskip(NEXT) | instid1(VALU_DEP_1)
	v_dual_fma_f32 v0, v40, v44, -v0 :: v_dual_fmac_f32 v1, v41, v44
	v_dual_add_f32 v24, v24, v0 :: v_dual_add_f32 v26, v26, v1
	s_cbranch_scc0 .LBB91_13
.LBB91_9:                               ;   Parent Loop BB91_6 Depth=1
                                        ; =>  This Inner Loop Header: Depth=2
	v_dual_mov_b32 v1, 0 :: v_dual_add_nc_u32 v0, s26, v4
	s_delay_alu instid0(VALU_DEP_1) | instskip(SKIP_2) | instid1(SALU_CYCLE_1)
	v_cmp_gt_i32_e32 vcc_lo, s5, v0
	v_mov_b32_e32 v0, 0
	s_and_b32 s28, s0, vcc_lo
	s_and_saveexec_b32 s27, s28
	s_cbranch_execz .LBB91_11
; %bb.10:                               ;   in Loop: Header=BB91_9 Depth=2
	global_load_b64 v[0:1], v[20:21], off
.LBB91_11:                              ;   in Loop: Header=BB91_9 Depth=2
	s_wait_xcnt 0x0
	s_or_b32 exec_lo, exec_lo, s27
	v_dual_mov_b32 v3, 0 :: v_dual_add_nc_u32 v2, s26, v6
	s_wait_loadcnt 0x0
	ds_store_b64 v25, v[0:1]
	v_cmp_gt_i32_e32 vcc_lo, s5, v2
	v_mov_b32_e32 v2, 0
	s_and_b32 s28, vcc_lo, s1
	s_delay_alu instid0(SALU_CYCLE_1)
	s_and_saveexec_b32 s27, s28
	s_cbranch_execz .LBB91_8
; %bb.12:                               ;   in Loop: Header=BB91_9 Depth=2
	global_load_b64 v[2:3], v[22:23], off
	s_branch .LBB91_8
.LBB91_13:                              ;   in Loop: Header=BB91_6 Depth=1
	s_mul_u64 s[26:27], s[24:25], s[22:23]
	s_delay_alu instid0(SALU_CYCLE_1) | instskip(NEXT) | instid1(SALU_CYCLE_1)
	s_lshl_b64 s[26:27], s[26:27], 3
	s_add_nc_u64 s[26:27], s[12:13], s[26:27]
	s_delay_alu instid0(SALU_CYCLE_1)
	v_lshl_add_u64 v[0:1], v[12:13], 3, s[26:27]
	s_and_saveexec_b32 s28, s33
	s_cbranch_execz .LBB91_18
; %bb.14:                               ;   in Loop: Header=BB91_6 Depth=1
	v_mov_b64_e32 v[2:3], s[14:15]
	v_mov_b64_e32 v[20:21], s[6:7]
	s_and_b32 vcc_lo, exec_lo, s31
	s_mov_b32 s29, -1
	s_delay_alu instid0(VALU_DEP_2) | instskip(NEXT) | instid1(VALU_DEP_1)
	v_pk_mul_f32 v[2:3], v[38:39], v[2:3] op_sel_hi:[0,1]
	v_pk_fma_f32 v[22:23], v[36:37], v[20:21], v[2:3] op_sel_hi:[0,1,1]
	v_pk_fma_f32 v[2:3], v[36:37], v[20:21], v[2:3] neg_lo:[0,0,1] neg_hi:[0,0,1]
	v_lshl_add_u64 v[20:21], v[8:9], 3, v[0:1]
	s_delay_alu instid0(VALU_DEP_3)
	v_mov_b32_e32 v3, v23
	s_cbranch_vccz .LBB91_16
; %bb.15:                               ;   in Loop: Header=BB91_6 Depth=1
	global_load_b64 v[22:23], v[20:21], off
	v_mov_b64_e32 v[36:37], s[20:21]
	v_mov_b64_e32 v[38:39], s[2:3]
	s_mov_b32 s29, 0
	s_wait_loadcnt 0x0
	s_delay_alu instid0(VALU_DEP_2) | instskip(NEXT) | instid1(VALU_DEP_1)
	v_pk_mul_f32 v[36:37], v[22:23], v[36:37]
	v_pk_fma_f32 v[40:41], v[22:23], v[38:39], v[36:37] op_sel:[0,0,1] op_sel_hi:[1,1,0]
	v_pk_fma_f32 v[22:23], v[22:23], v[38:39], v[36:37] op_sel:[0,0,1] op_sel_hi:[1,1,0] neg_lo:[0,0,1] neg_hi:[0,0,1]
	s_delay_alu instid0(VALU_DEP_2) | instskip(NEXT) | instid1(VALU_DEP_1)
	v_mov_b32_e32 v23, v41
	v_pk_add_f32 v[22:23], v[2:3], v[22:23]
	global_store_b64 v[20:21], v[22:23], off
.LBB91_16:                              ;   in Loop: Header=BB91_6 Depth=1
	s_and_not1_b32 vcc_lo, exec_lo, s29
	s_cbranch_vccnz .LBB91_18
; %bb.17:                               ;   in Loop: Header=BB91_6 Depth=1
	global_store_b64 v[20:21], v[2:3], off
.LBB91_18:                              ;   in Loop: Header=BB91_6 Depth=1
	s_wait_xcnt 0x0
	s_or_b32 exec_lo, exec_lo, s28
	s_and_saveexec_b32 s28, s34
	s_cbranch_execz .LBB91_23
; %bb.19:                               ;   in Loop: Header=BB91_6 Depth=1
	v_mov_b64_e32 v[2:3], s[14:15]
	v_mov_b64_e32 v[20:21], s[6:7]
	v_lshl_add_u64 v[0:1], v[10:11], 3, v[0:1]
	s_and_not1_b32 vcc_lo, exec_lo, s31
	s_mov_b32 s29, -1
	s_delay_alu instid0(VALU_DEP_3) | instskip(NEXT) | instid1(VALU_DEP_1)
	v_pk_mul_f32 v[2:3], v[34:35], v[2:3] op_sel_hi:[0,1]
	v_pk_fma_f32 v[22:23], v[32:33], v[20:21], v[2:3] op_sel_hi:[0,1,1]
	v_pk_fma_f32 v[2:3], v[32:33], v[20:21], v[2:3] neg_lo:[0,0,1] neg_hi:[0,0,1]
	s_delay_alu instid0(VALU_DEP_2)
	v_mov_b32_e32 v3, v23
	s_cbranch_vccnz .LBB91_21
; %bb.20:                               ;   in Loop: Header=BB91_6 Depth=1
	global_load_b64 v[20:21], v[0:1], off
	v_mov_b64_e32 v[22:23], s[20:21]
	v_mov_b64_e32 v[32:33], s[2:3]
	s_mov_b32 s29, 0
	s_wait_loadcnt 0x0
	s_delay_alu instid0(VALU_DEP_2) | instskip(NEXT) | instid1(VALU_DEP_1)
	v_pk_mul_f32 v[22:23], v[20:21], v[22:23]
	v_pk_fma_f32 v[34:35], v[20:21], v[32:33], v[22:23] op_sel:[0,0,1] op_sel_hi:[1,1,0]
	v_pk_fma_f32 v[20:21], v[20:21], v[32:33], v[22:23] op_sel:[0,0,1] op_sel_hi:[1,1,0] neg_lo:[0,0,1] neg_hi:[0,0,1]
	s_delay_alu instid0(VALU_DEP_2) | instskip(NEXT) | instid1(VALU_DEP_1)
	v_mov_b32_e32 v21, v35
	v_pk_add_f32 v[20:21], v[2:3], v[20:21]
	global_store_b64 v[0:1], v[20:21], off
.LBB91_21:                              ;   in Loop: Header=BB91_6 Depth=1
	s_and_not1_b32 vcc_lo, exec_lo, s29
	s_cbranch_vccnz .LBB91_23
; %bb.22:                               ;   in Loop: Header=BB91_6 Depth=1
	global_store_b64 v[0:1], v[2:3], off
.LBB91_23:                              ;   in Loop: Header=BB91_6 Depth=1
	s_wait_xcnt 0x0
	s_or_b32 exec_lo, exec_lo, s28
	v_lshl_add_u64 v[0:1], v[14:15], 3, s[26:27]
	s_and_saveexec_b32 s26, s4
	s_cbranch_execz .LBB91_28
; %bb.24:                               ;   in Loop: Header=BB91_6 Depth=1
	v_mov_b64_e32 v[2:3], s[14:15]
	v_mov_b64_e32 v[20:21], s[6:7]
	s_and_not1_b32 vcc_lo, exec_lo, s31
	s_mov_b32 s27, -1
	s_delay_alu instid0(VALU_DEP_2) | instskip(NEXT) | instid1(VALU_DEP_1)
	v_pk_mul_f32 v[2:3], v[30:31], v[2:3] op_sel_hi:[0,1]
	v_pk_fma_f32 v[22:23], v[28:29], v[20:21], v[2:3] op_sel_hi:[0,1,1]
	v_pk_fma_f32 v[2:3], v[28:29], v[20:21], v[2:3] neg_lo:[0,0,1] neg_hi:[0,0,1]
	v_lshl_add_u64 v[20:21], v[8:9], 3, v[0:1]
	s_delay_alu instid0(VALU_DEP_3)
	v_mov_b32_e32 v3, v23
	s_cbranch_vccnz .LBB91_26
; %bb.25:                               ;   in Loop: Header=BB91_6 Depth=1
	global_load_b64 v[22:23], v[20:21], off
	v_mov_b64_e32 v[28:29], s[20:21]
	v_mov_b64_e32 v[30:31], s[2:3]
	s_mov_b32 s27, 0
	s_wait_loadcnt 0x0
	s_delay_alu instid0(VALU_DEP_2) | instskip(NEXT) | instid1(VALU_DEP_1)
	v_pk_mul_f32 v[28:29], v[22:23], v[28:29]
	v_pk_fma_f32 v[32:33], v[22:23], v[30:31], v[28:29] op_sel:[0,0,1] op_sel_hi:[1,1,0]
	v_pk_fma_f32 v[22:23], v[22:23], v[30:31], v[28:29] op_sel:[0,0,1] op_sel_hi:[1,1,0] neg_lo:[0,0,1] neg_hi:[0,0,1]
	s_delay_alu instid0(VALU_DEP_2) | instskip(NEXT) | instid1(VALU_DEP_1)
	v_mov_b32_e32 v23, v33
	v_pk_add_f32 v[22:23], v[2:3], v[22:23]
	global_store_b64 v[20:21], v[22:23], off
.LBB91_26:                              ;   in Loop: Header=BB91_6 Depth=1
	s_and_not1_b32 vcc_lo, exec_lo, s27
	s_cbranch_vccnz .LBB91_28
; %bb.27:                               ;   in Loop: Header=BB91_6 Depth=1
	global_store_b64 v[20:21], v[2:3], off
.LBB91_28:                              ;   in Loop: Header=BB91_6 Depth=1
	s_wait_xcnt 0x0
	s_or_b32 exec_lo, exec_lo, s26
	s_and_saveexec_b32 s26, s35
	s_cbranch_execz .LBB91_5
; %bb.29:                               ;   in Loop: Header=BB91_6 Depth=1
	v_mov_b64_e32 v[2:3], s[14:15]
	v_mov_b64_e32 v[20:21], s[6:7]
	v_lshl_add_u64 v[0:1], v[10:11], 3, v[0:1]
	s_and_not1_b32 vcc_lo, exec_lo, s31
	s_mov_b32 s27, -1
	s_delay_alu instid0(VALU_DEP_3) | instskip(NEXT) | instid1(VALU_DEP_1)
	v_pk_mul_f32 v[2:3], v[26:27], v[2:3] op_sel_hi:[0,1]
	v_pk_fma_f32 v[22:23], v[24:25], v[20:21], v[2:3] op_sel_hi:[0,1,1]
	v_pk_fma_f32 v[2:3], v[24:25], v[20:21], v[2:3] neg_lo:[0,0,1] neg_hi:[0,0,1]
	s_delay_alu instid0(VALU_DEP_2)
	v_mov_b32_e32 v3, v23
	s_cbranch_vccnz .LBB91_31
; %bb.30:                               ;   in Loop: Header=BB91_6 Depth=1
	global_load_b64 v[20:21], v[0:1], off
	v_mov_b64_e32 v[22:23], s[20:21]
	v_mov_b64_e32 v[28:29], s[2:3]
	s_mov_b32 s27, 0
	s_wait_loadcnt 0x0
	s_delay_alu instid0(VALU_DEP_2) | instskip(NEXT) | instid1(VALU_DEP_1)
	v_pk_mul_f32 v[22:23], v[20:21], v[22:23]
	v_pk_fma_f32 v[30:31], v[20:21], v[28:29], v[22:23] op_sel:[0,0,1] op_sel_hi:[1,1,0]
	v_pk_fma_f32 v[20:21], v[20:21], v[28:29], v[22:23] op_sel:[0,0,1] op_sel_hi:[1,1,0] neg_lo:[0,0,1] neg_hi:[0,0,1]
	s_delay_alu instid0(VALU_DEP_2) | instskip(NEXT) | instid1(VALU_DEP_1)
	v_mov_b32_e32 v21, v31
	v_pk_add_f32 v[20:21], v[2:3], v[20:21]
	global_store_b64 v[0:1], v[20:21], off
.LBB91_31:                              ;   in Loop: Header=BB91_6 Depth=1
	s_and_not1_b32 vcc_lo, exec_lo, s27
	s_cbranch_vccnz .LBB91_5
; %bb.32:                               ;   in Loop: Header=BB91_6 Depth=1
	global_store_b64 v[0:1], v[2:3], off
	s_branch .LBB91_5
.LBB91_33:
	s_endpgm
	.section	.rodata,"a",@progbits
	.p2align	6, 0x0
	.amdhsa_kernel _ZL29rocblas_internal_gemmt_kernelIiLi16ELi32ELi8ELc78ELc84ELc85ELb0ELb0E19rocblas_complex_numIfES1_PKS1_PS1_EviT_T9_T10_S5_lS7_S5_lS6_T11_S5_li
		.amdhsa_group_segment_fixed_size 4096
		.amdhsa_private_segment_fixed_size 0
		.amdhsa_kernarg_size 100
		.amdhsa_user_sgpr_count 2
		.amdhsa_user_sgpr_dispatch_ptr 0
		.amdhsa_user_sgpr_queue_ptr 0
		.amdhsa_user_sgpr_kernarg_segment_ptr 1
		.amdhsa_user_sgpr_dispatch_id 0
		.amdhsa_user_sgpr_kernarg_preload_length 0
		.amdhsa_user_sgpr_kernarg_preload_offset 0
		.amdhsa_user_sgpr_private_segment_size 0
		.amdhsa_wavefront_size32 1
		.amdhsa_uses_dynamic_stack 0
		.amdhsa_enable_private_segment 0
		.amdhsa_system_sgpr_workgroup_id_x 1
		.amdhsa_system_sgpr_workgroup_id_y 1
		.amdhsa_system_sgpr_workgroup_id_z 1
		.amdhsa_system_sgpr_workgroup_info 0
		.amdhsa_system_vgpr_workitem_id 1
		.amdhsa_next_free_vgpr 56
		.amdhsa_next_free_sgpr 38
		.amdhsa_named_barrier_count 0
		.amdhsa_reserve_vcc 1
		.amdhsa_float_round_mode_32 0
		.amdhsa_float_round_mode_16_64 0
		.amdhsa_float_denorm_mode_32 3
		.amdhsa_float_denorm_mode_16_64 3
		.amdhsa_fp16_overflow 0
		.amdhsa_memory_ordered 1
		.amdhsa_forward_progress 1
		.amdhsa_inst_pref_size 25
		.amdhsa_round_robin_scheduling 0
		.amdhsa_exception_fp_ieee_invalid_op 0
		.amdhsa_exception_fp_denorm_src 0
		.amdhsa_exception_fp_ieee_div_zero 0
		.amdhsa_exception_fp_ieee_overflow 0
		.amdhsa_exception_fp_ieee_underflow 0
		.amdhsa_exception_fp_ieee_inexact 0
		.amdhsa_exception_int_div_zero 0
	.end_amdhsa_kernel
	.section	.text._ZL29rocblas_internal_gemmt_kernelIiLi16ELi32ELi8ELc78ELc84ELc85ELb0ELb0E19rocblas_complex_numIfES1_PKS1_PS1_EviT_T9_T10_S5_lS7_S5_lS6_T11_S5_li,"axG",@progbits,_ZL29rocblas_internal_gemmt_kernelIiLi16ELi32ELi8ELc78ELc84ELc85ELb0ELb0E19rocblas_complex_numIfES1_PKS1_PS1_EviT_T9_T10_S5_lS7_S5_lS6_T11_S5_li,comdat
.Lfunc_end91:
	.size	_ZL29rocblas_internal_gemmt_kernelIiLi16ELi32ELi8ELc78ELc84ELc85ELb0ELb0E19rocblas_complex_numIfES1_PKS1_PS1_EviT_T9_T10_S5_lS7_S5_lS6_T11_S5_li, .Lfunc_end91-_ZL29rocblas_internal_gemmt_kernelIiLi16ELi32ELi8ELc78ELc84ELc85ELb0ELb0E19rocblas_complex_numIfES1_PKS1_PS1_EviT_T9_T10_S5_lS7_S5_lS6_T11_S5_li
                                        ; -- End function
	.set _ZL29rocblas_internal_gemmt_kernelIiLi16ELi32ELi8ELc78ELc84ELc85ELb0ELb0E19rocblas_complex_numIfES1_PKS1_PS1_EviT_T9_T10_S5_lS7_S5_lS6_T11_S5_li.num_vgpr, 56
	.set _ZL29rocblas_internal_gemmt_kernelIiLi16ELi32ELi8ELc78ELc84ELc85ELb0ELb0E19rocblas_complex_numIfES1_PKS1_PS1_EviT_T9_T10_S5_lS7_S5_lS6_T11_S5_li.num_agpr, 0
	.set _ZL29rocblas_internal_gemmt_kernelIiLi16ELi32ELi8ELc78ELc84ELc85ELb0ELb0E19rocblas_complex_numIfES1_PKS1_PS1_EviT_T9_T10_S5_lS7_S5_lS6_T11_S5_li.numbered_sgpr, 38
	.set _ZL29rocblas_internal_gemmt_kernelIiLi16ELi32ELi8ELc78ELc84ELc85ELb0ELb0E19rocblas_complex_numIfES1_PKS1_PS1_EviT_T9_T10_S5_lS7_S5_lS6_T11_S5_li.num_named_barrier, 0
	.set _ZL29rocblas_internal_gemmt_kernelIiLi16ELi32ELi8ELc78ELc84ELc85ELb0ELb0E19rocblas_complex_numIfES1_PKS1_PS1_EviT_T9_T10_S5_lS7_S5_lS6_T11_S5_li.private_seg_size, 0
	.set _ZL29rocblas_internal_gemmt_kernelIiLi16ELi32ELi8ELc78ELc84ELc85ELb0ELb0E19rocblas_complex_numIfES1_PKS1_PS1_EviT_T9_T10_S5_lS7_S5_lS6_T11_S5_li.uses_vcc, 1
	.set _ZL29rocblas_internal_gemmt_kernelIiLi16ELi32ELi8ELc78ELc84ELc85ELb0ELb0E19rocblas_complex_numIfES1_PKS1_PS1_EviT_T9_T10_S5_lS7_S5_lS6_T11_S5_li.uses_flat_scratch, 0
	.set _ZL29rocblas_internal_gemmt_kernelIiLi16ELi32ELi8ELc78ELc84ELc85ELb0ELb0E19rocblas_complex_numIfES1_PKS1_PS1_EviT_T9_T10_S5_lS7_S5_lS6_T11_S5_li.has_dyn_sized_stack, 0
	.set _ZL29rocblas_internal_gemmt_kernelIiLi16ELi32ELi8ELc78ELc84ELc85ELb0ELb0E19rocblas_complex_numIfES1_PKS1_PS1_EviT_T9_T10_S5_lS7_S5_lS6_T11_S5_li.has_recursion, 0
	.set _ZL29rocblas_internal_gemmt_kernelIiLi16ELi32ELi8ELc78ELc84ELc85ELb0ELb0E19rocblas_complex_numIfES1_PKS1_PS1_EviT_T9_T10_S5_lS7_S5_lS6_T11_S5_li.has_indirect_call, 0
	.section	.AMDGPU.csdata,"",@progbits
; Kernel info:
; codeLenInByte = 3160
; TotalNumSgprs: 40
; NumVgprs: 56
; ScratchSize: 0
; MemoryBound: 0
; FloatMode: 240
; IeeeMode: 1
; LDSByteSize: 4096 bytes/workgroup (compile time only)
; SGPRBlocks: 0
; VGPRBlocks: 3
; NumSGPRsForWavesPerEU: 40
; NumVGPRsForWavesPerEU: 56
; NamedBarCnt: 0
; Occupancy: 16
; WaveLimiterHint : 0
; COMPUTE_PGM_RSRC2:SCRATCH_EN: 0
; COMPUTE_PGM_RSRC2:USER_SGPR: 2
; COMPUTE_PGM_RSRC2:TRAP_HANDLER: 0
; COMPUTE_PGM_RSRC2:TGID_X_EN: 1
; COMPUTE_PGM_RSRC2:TGID_Y_EN: 1
; COMPUTE_PGM_RSRC2:TGID_Z_EN: 1
; COMPUTE_PGM_RSRC2:TIDIG_COMP_CNT: 1
	.section	.text._ZL29rocblas_internal_gemmt_kernelIiLi16ELi32ELi8ELc78ELc67ELc85ELb0ELb1E19rocblas_complex_numIfES1_PKS1_PS1_EviT_T9_T10_S5_lS7_S5_lS6_T11_S5_li,"axG",@progbits,_ZL29rocblas_internal_gemmt_kernelIiLi16ELi32ELi8ELc78ELc67ELc85ELb0ELb1E19rocblas_complex_numIfES1_PKS1_PS1_EviT_T9_T10_S5_lS7_S5_lS6_T11_S5_li,comdat
	.globl	_ZL29rocblas_internal_gemmt_kernelIiLi16ELi32ELi8ELc78ELc67ELc85ELb0ELb1E19rocblas_complex_numIfES1_PKS1_PS1_EviT_T9_T10_S5_lS7_S5_lS6_T11_S5_li ; -- Begin function _ZL29rocblas_internal_gemmt_kernelIiLi16ELi32ELi8ELc78ELc67ELc85ELb0ELb1E19rocblas_complex_numIfES1_PKS1_PS1_EviT_T9_T10_S5_lS7_S5_lS6_T11_S5_li
	.p2align	8
	.type	_ZL29rocblas_internal_gemmt_kernelIiLi16ELi32ELi8ELc78ELc67ELc85ELb0ELb1E19rocblas_complex_numIfES1_PKS1_PS1_EviT_T9_T10_S5_lS7_S5_lS6_T11_S5_li,@function
_ZL29rocblas_internal_gemmt_kernelIiLi16ELi32ELi8ELc78ELc67ELc85ELb0ELb1E19rocblas_complex_numIfES1_PKS1_PS1_EviT_T9_T10_S5_lS7_S5_lS6_T11_S5_li: ; @_ZL29rocblas_internal_gemmt_kernelIiLi16ELi32ELi8ELc78ELc67ELc85ELb0ELb1E19rocblas_complex_numIfES1_PKS1_PS1_EviT_T9_T10_S5_lS7_S5_lS6_T11_S5_li
; %bb.0:
	s_clause 0x1
	s_load_b64 s[20:21], s[0:1], 0x40
	s_load_b128 s[4:7], s[0:1], 0x0
	s_wait_kmcnt 0x0
	s_cmp_neq_f32 s20, 1.0
	s_cselect_b32 s3, -1, 0
	s_and_b32 s8, s21, 0x7fffffff
	s_delay_alu instid0(SALU_CYCLE_1) | instskip(SKIP_3) | instid1(SALU_CYCLE_1)
	s_cmp_eq_u32 s8, 0
	s_cselect_b32 s2, -1, 0
	s_cmp_lg_u32 s8, 0
	s_cselect_b32 s8, -1, 0
	s_or_b32 s3, s3, s8
	s_delay_alu instid0(SALU_CYCLE_1)
	s_and_b32 vcc_lo, exec_lo, s3
	s_cbranch_vccnz .LBB92_2
; %bb.1:
	s_cmp_lg_u32 s5, 0
	s_cselect_b32 s3, -1, 0
	s_cmp_neq_f32 s6, 0
	s_cselect_b32 s8, -1, 0
	s_cmp_neq_f32 s7, 0
	s_cselect_b32 s9, -1, 0
	s_delay_alu instid0(SALU_CYCLE_1) | instskip(NEXT) | instid1(SALU_CYCLE_1)
	s_or_b32 s8, s8, s9
	s_and_b32 s3, s3, s8
.LBB92_2:
	s_delay_alu instid0(SALU_CYCLE_1)
	s_and_not1_b32 vcc_lo, exec_lo, s3
	s_cbranch_vccnz .LBB92_35
; %bb.3:
	s_load_b32 s30, s[0:1], 0x60
	s_bfe_u32 s3, ttmp6, 0x40014
	s_lshr_b32 s8, ttmp7, 16
	s_add_co_i32 s3, s3, 1
	s_bfe_u32 s10, ttmp6, 0x40008
	s_mul_i32 s9, s8, s3
	s_getreg_b32 s3, hwreg(HW_REG_IB_STS2, 6, 4)
	s_add_co_i32 s10, s10, s9
	s_cmp_eq_u32 s3, 0
	s_mov_b32 s23, 0
	s_cselect_b32 s22, s8, s10
	s_wait_kmcnt 0x0
	s_cmp_ge_u32 s22, s30
	s_cbranch_scc1 .LBB92_35
; %bb.4:
	s_clause 0x2
	s_load_b96 s[16:18], s[0:1], 0x10
	s_load_b32 s26, s[0:1], 0x30
	s_load_b96 s[12:14], s[0:1], 0x48
	v_and_b32_e32 v1, 0x3ff, v0
	v_bfe_u32 v8, v0, 10, 10
	s_clause 0x2
	s_load_b128 s[8:11], s[0:1], 0x20
	s_load_b64 s[28:29], s[0:1], 0x38
	s_load_b64 s[24:25], s[0:1], 0x58
	s_wait_xcnt 0x0
	s_bfe_u32 s1, ttmp6, 0x4000c
	s_bfe_u32 s15, ttmp6, 0x40010
	s_and_b32 s31, ttmp7, 0xffff
	s_add_co_i32 s1, s1, 1
	s_add_co_i32 s15, s15, 1
	v_lshl_add_u32 v2, v8, 4, v1
	s_and_b32 s0, ttmp6, 15
	s_bfe_u32 s33, ttmp6, 0x40004
	s_mul_i32 s1, ttmp9, s1
	s_mul_i32 s34, s31, s15
	s_add_co_i32 s0, s0, s1
	s_add_co_i32 s33, s33, s34
	v_dual_lshrrev_b32 v3, 3, v2 :: v_dual_bitop2_b32 v7, 31, v2 bitop3:0x40
	s_wait_kmcnt 0x0
	s_ashr_i32 s19, s18, 31
	s_ashr_i32 s27, s26, 31
	;; [unrolled: 1-line block ×3, first 2 shown]
	s_cmp_eq_u32 s3, 0
	v_dual_lshrrev_b32 v4, 5, v2 :: v_dual_bitop2_b32 v6, 7, v0 bitop3:0x40
	s_cselect_b32 s0, ttmp9, s0
	s_cselect_b32 s1, s31, s33
	s_lshl_b32 s3, s0, 5
	s_delay_alu instid0(SALU_CYCLE_1) | instskip(SKIP_1) | instid1(SALU_CYCLE_1)
	v_dual_mov_b32 v5, 0 :: v_dual_bitop2_b32 v0, s3, v7 bitop3:0x54
	s_lshl_b32 s1, s1, 5
	v_dual_lshlrev_b32 v9, 3, v6 :: v_dual_add_nc_u32 v2, s1, v3
	s_delay_alu instid0(VALU_DEP_2) | instskip(SKIP_1) | instid1(VALU_DEP_3)
	v_dual_mov_b32 v7, v5 :: v_dual_lshlrev_b32 v10, 3, v7
	v_mul_u64_e32 v[20:21], s[18:19], v[4:5]
	v_lshl_or_b32 v3, v3, 6, v9
	v_dual_lshlrev_b32 v27, 3, v1 :: v_dual_add_nc_u32 v18, s1, v8
	s_delay_alu instid0(VALU_DEP_4) | instskip(SKIP_1) | instid1(VALU_DEP_4)
	v_mul_u64_e32 v[16:17], s[26:27], v[6:7]
	v_lshl_add_u32 v29, v8, 6, 0x800
	v_add_nc_u32_e32 v7, 0x800, v3
	v_ashrrev_i32_e32 v3, 31, v2
	v_dual_add_nc_u32 v22, 16, v18 :: v_dual_ashrrev_i32 v19, 31, v18
	v_add_nc_u32_e32 v8, s3, v1
	s_cmp_neq_f32 s6, 0
	v_lshl_or_b32 v25, v4, 8, v10
	s_delay_alu instid0(VALU_DEP_3)
	v_ashrrev_i32_e32 v23, 31, v22
	v_mul_u64_e32 v[12:13], s[14:15], v[18:19]
	v_add_nc_u32_e32 v10, 16, v8
	s_cselect_b32 s0, -1, 0
	s_cmp_neq_f32 s7, 0
	v_mul_u64_e32 v[14:15], s[14:15], v[22:23]
	v_cmp_gt_i32_e32 vcc_lo, s4, v2
	v_lshlrev_b64_e32 v[2:3], 3, v[2:3]
	s_cselect_b32 s31, -1, 0
	v_ashrrev_i32_e32 v1, 31, v0
	s_or_b32 s35, s0, s31
	s_cmp_gt_i32 s5, 0
	v_cmp_gt_i32_e64 s0, s4, v0
	s_cselect_b32 s36, -1, 0
	s_cmp_neq_f32 s20, 0
	v_lshlrev_b64_e32 v[0:1], 3, v[0:1]
	v_cmp_gt_i32_e64 s1, s4, v18
	v_dual_ashrrev_i32 v9, 31, v8 :: v_dual_ashrrev_i32 v11, 31, v10
	s_cselect_b32 s3, -1, 0
	s_xor_b32 s31, s2, -1
	v_cmp_le_i32_e64 s2, v8, v18
	v_lshl_add_u64 v[0:1], v[20:21], 3, v[0:1]
	v_lshl_add_u64 v[2:3], v[16:17], 3, v[2:3]
	s_or_b32 s31, s3, s31
	v_cmp_gt_i32_e64 s3, s4, v22
	s_and_b32 s33, s1, s2
	v_cmp_le_i32_e64 s2, v10, v18
	v_add_nc_u64_e32 v[2:3], s[10:11], v[2:3]
	v_cmp_le_i32_e64 s4, v8, v22
	v_add_nc_u64_e32 v[16:17], s[16:17], v[0:1]
	s_mov_b32 s10, s7
	s_and_b32 s34, s1, s2
	v_cmp_le_i32_e64 s1, v10, v22
	s_and_b32 s4, s3, s4
	v_add_nc_u64_e32 v[18:19], 4, v[2:3]
	s_mov_b32 s2, s20
	s_mov_b32 s11, s6
	s_and_b32 s1, s3, s1
	s_mov_b32 s3, s20
	s_mov_b32 s20, s21
	s_lshl_b64 s[8:9], s[8:9], 3
	s_lshl_b64 s[14:15], s[18:19], 6
	s_and_b32 s35, s35, s36
	s_lshl_b64 s[16:17], s[28:29], 3
	s_lshl_b64 s[18:19], s[26:27], 6
	s_xor_b32 s28, vcc_lo, -1
	s_branch .LBB92_6
.LBB92_5:                               ;   in Loop: Header=BB92_6 Depth=1
	s_wait_xcnt 0x0
	s_or_b32 exec_lo, exec_lo, s26
	s_add_co_i32 s22, s22, 0x10000
	s_delay_alu instid0(SALU_CYCLE_1)
	s_cmp_lt_u32 s22, s30
	s_cbranch_scc0 .LBB92_35
.LBB92_6:                               ; =>This Loop Header: Depth=1
                                        ;     Child Loop BB92_9 Depth 2
	v_dual_mov_b32 v36, 0 :: v_dual_mov_b32 v38, 0
	v_dual_mov_b32 v32, 0 :: v_dual_mov_b32 v34, 0
	;; [unrolled: 1-line block ×4, first 2 shown]
	s_and_not1_b32 vcc_lo, exec_lo, s35
	s_cbranch_vccnz .LBB92_15
; %bb.7:                                ;   in Loop: Header=BB92_6 Depth=1
	v_mad_nc_u64_u32 v[20:21], s8, s22, v[16:17]
	v_mad_nc_u64_u32 v[22:23], s16, s22, v[18:19]
	v_dual_mov_b32 v26, 0 :: v_dual_mov_b32 v24, 0
	v_dual_mov_b32 v30, 0 :: v_dual_mov_b32 v28, 0
	;; [unrolled: 1-line block ×4, first 2 shown]
	s_mov_b32 s26, 0
	v_mad_u32 v21, s9, s22, v21
	v_mad_u32 v23, s17, s22, v23
	s_branch .LBB92_9
.LBB92_8:                               ;   in Loop: Header=BB92_9 Depth=2
	s_wait_xcnt 0x0
	s_or_b32 exec_lo, exec_lo, s27
	ds_store_b32 v7, v0 offset:4
	s_wait_dscnt 0x0
	s_barrier_signal -1
	s_barrier_wait -1
	ds_load_b128 v[40:43], v29
	ds_load_b128 v[44:47], v29 offset:16
	ds_load_b128 v[48:51], v29 offset:32
	;; [unrolled: 1-line block ×3, first 2 shown]
	ds_load_2addr_b64 v[52:55], v27 offset1:16
	v_add_nc_u64_e32 v[20:21], s[14:15], v[20:21]
	v_add_nc_u64_e32 v[22:23], s[18:19], v[22:23]
	s_add_co_i32 s26, s26, 8
	s_delay_alu instid0(SALU_CYCLE_1) | instskip(SKIP_2) | instid1(VALU_DEP_1)
	s_cmp_lt_i32 s26, s5
	s_wait_dscnt 0x0
	v_dual_mul_f32 v31, v41, v53 :: v_dual_mul_f32 v33, v40, v53
	v_dual_fma_f32 v31, v40, v52, -v31 :: v_dual_fmac_f32 v33, v41, v52
	s_delay_alu instid0(VALU_DEP_1) | instskip(SKIP_1) | instid1(VALU_DEP_1)
	v_dual_add_f32 v36, v36, v31 :: v_dual_add_f32 v37, v38, v33
	v_dual_mul_f32 v31, v41, v55 :: v_dual_mul_f32 v33, v40, v55
	v_dual_fma_f32 v31, v40, v54, -v31 :: v_dual_fmac_f32 v33, v41, v54
	s_delay_alu instid0(VALU_DEP_1) | instskip(SKIP_3) | instid1(VALU_DEP_1)
	v_dual_add_f32 v38, v32, v31 :: v_dual_add_f32 v39, v34, v33
	ds_load_b128 v[32:35], v29 offset:1024
	s_wait_dscnt 0x0
	v_dual_mul_f32 v31, v33, v53 :: v_dual_mul_f32 v40, v32, v53
	v_dual_fma_f32 v31, v32, v52, -v31 :: v_dual_fmac_f32 v40, v33, v52
	s_delay_alu instid0(VALU_DEP_1) | instskip(SKIP_1) | instid1(VALU_DEP_1)
	v_dual_add_f32 v28, v28, v31 :: v_dual_add_f32 v40, v30, v40
	v_dual_mul_f32 v30, v33, v55 :: v_dual_mul_f32 v31, v32, v55
	v_dual_fma_f32 v30, v32, v54, -v30 :: v_dual_fmac_f32 v31, v33, v54
	s_delay_alu instid0(VALU_DEP_1) | instskip(SKIP_3) | instid1(VALU_DEP_1)
	v_dual_add_f32 v24, v24, v30 :: v_dual_add_f32 v26, v26, v31
	ds_load_2addr_b64 v[30:33], v27 offset0:32 offset1:48
	s_wait_dscnt 0x0
	v_dual_mul_f32 v41, v43, v31 :: v_dual_mul_f32 v52, v42, v31
	v_dual_fma_f32 v41, v42, v30, -v41 :: v_dual_fmac_f32 v52, v43, v30
	s_delay_alu instid0(VALU_DEP_1) | instskip(SKIP_1) | instid1(VALU_DEP_1)
	v_dual_add_f32 v36, v36, v41 :: v_dual_add_f32 v37, v37, v52
	v_mul_f32_e32 v41, v43, v33
	v_dual_fma_f32 v41, v42, v32, -v41 :: v_dual_mul_f32 v42, v42, v33
	s_delay_alu instid0(VALU_DEP_1) | instskip(SKIP_1) | instid1(VALU_DEP_2)
	v_dual_fmac_f32 v42, v43, v32 :: v_dual_add_f32 v38, v38, v41
	v_dual_mul_f32 v41, v35, v31 :: v_dual_mul_f32 v31, v34, v31
	v_add_f32_e32 v39, v39, v42
	s_delay_alu instid0(VALU_DEP_2) | instskip(SKIP_1) | instid1(VALU_DEP_2)
	v_dual_fma_f32 v41, v34, v30, -v41 :: v_dual_fmac_f32 v31, v35, v30
	v_mul_f32_e32 v30, v35, v33
	v_add_f32_e32 v28, v28, v41
	s_delay_alu instid0(VALU_DEP_2) | instskip(NEXT) | instid1(VALU_DEP_1)
	v_dual_add_f32 v40, v40, v31 :: v_dual_fma_f32 v30, v34, v32, -v30
	v_dual_mul_f32 v31, v34, v33 :: v_dual_add_f32 v24, v24, v30
	s_delay_alu instid0(VALU_DEP_1) | instskip(NEXT) | instid1(VALU_DEP_1)
	v_fmac_f32_e32 v31, v35, v32
	v_add_f32_e32 v26, v26, v31
	ds_load_2addr_b64 v[30:33], v27 offset0:64 offset1:80
	s_wait_dscnt 0x0
	v_dual_mul_f32 v34, v45, v31 :: v_dual_mul_f32 v35, v44, v31
	s_delay_alu instid0(VALU_DEP_1) | instskip(NEXT) | instid1(VALU_DEP_1)
	v_fma_f32 v34, v44, v30, -v34
	v_dual_add_f32 v41, v36, v34 :: v_dual_mul_f32 v34, v45, v33
	s_delay_alu instid0(VALU_DEP_1) | instskip(NEXT) | instid1(VALU_DEP_1)
	v_dual_fmac_f32 v35, v45, v30 :: v_dual_fma_f32 v34, v44, v32, -v34
	v_dual_add_f32 v42, v37, v35 :: v_dual_mul_f32 v35, v44, v33
	s_delay_alu instid0(VALU_DEP_1) | instskip(NEXT) | instid1(VALU_DEP_1)
	v_dual_add_f32 v38, v38, v34 :: v_dual_fmac_f32 v35, v45, v32
	v_add_f32_e32 v39, v39, v35
	ds_load_b128 v[34:37], v29 offset:1040
	s_wait_dscnt 0x0
	v_dual_mul_f32 v43, v35, v31 :: v_dual_mul_f32 v31, v34, v31
	s_delay_alu instid0(VALU_DEP_1) | instskip(NEXT) | instid1(VALU_DEP_2)
	v_fmac_f32_e32 v31, v35, v30
	v_dual_fma_f32 v43, v34, v30, -v43 :: v_dual_mul_f32 v30, v35, v33
	s_delay_alu instid0(VALU_DEP_2) | instskip(NEXT) | instid1(VALU_DEP_2)
	v_add_f32_e32 v40, v40, v31
	v_dual_add_f32 v28, v28, v43 :: v_dual_fma_f32 v30, v34, v32, -v30
	s_delay_alu instid0(VALU_DEP_1) | instskip(NEXT) | instid1(VALU_DEP_1)
	v_dual_mul_f32 v31, v34, v33 :: v_dual_add_f32 v24, v24, v30
	v_fmac_f32_e32 v31, v35, v32
	s_delay_alu instid0(VALU_DEP_1) | instskip(SKIP_3) | instid1(VALU_DEP_1)
	v_add_f32_e32 v26, v26, v31
	ds_load_2addr_b64 v[30:33], v27 offset0:96 offset1:112
	s_wait_dscnt 0x0
	v_mul_f32_e32 v34, v47, v31
	v_dual_fma_f32 v34, v46, v30, -v34 :: v_dual_mul_f32 v35, v46, v31
	s_delay_alu instid0(VALU_DEP_1) | instskip(NEXT) | instid1(VALU_DEP_2)
	v_add_f32_e32 v34, v41, v34
	v_dual_fmac_f32 v35, v47, v30 :: v_dual_mul_f32 v41, v47, v33
	s_delay_alu instid0(VALU_DEP_1) | instskip(NEXT) | instid1(VALU_DEP_2)
	v_add_f32_e32 v35, v42, v35
	v_dual_fma_f32 v41, v46, v32, -v41 :: v_dual_mul_f32 v42, v46, v33
	s_delay_alu instid0(VALU_DEP_1) | instskip(SKIP_1) | instid1(VALU_DEP_2)
	v_dual_fmac_f32 v42, v47, v32 :: v_dual_add_f32 v38, v38, v41
	v_dual_mul_f32 v41, v37, v31 :: v_dual_mul_f32 v31, v36, v31
	v_add_f32_e32 v39, v39, v42
	s_delay_alu instid0(VALU_DEP_2) | instskip(NEXT) | instid1(VALU_DEP_1)
	v_dual_fma_f32 v41, v36, v30, -v41 :: v_dual_fmac_f32 v31, v37, v30
	v_dual_mul_f32 v30, v37, v33 :: v_dual_add_f32 v40, v40, v31
	s_delay_alu instid0(VALU_DEP_1) | instskip(NEXT) | instid1(VALU_DEP_1)
	v_dual_fma_f32 v30, v36, v32, -v30 :: v_dual_mul_f32 v31, v36, v33
	v_dual_add_f32 v28, v28, v41 :: v_dual_fmac_f32 v31, v37, v32
	s_delay_alu instid0(VALU_DEP_1) | instskip(SKIP_3) | instid1(VALU_DEP_1)
	v_dual_add_f32 v24, v24, v30 :: v_dual_add_f32 v26, v26, v31
	ds_load_2addr_b64 v[30:33], v27 offset0:128 offset1:144
	s_wait_dscnt 0x0
	v_dual_mul_f32 v36, v49, v31 :: v_dual_mul_f32 v37, v48, v31
	v_dual_fma_f32 v36, v48, v30, -v36 :: v_dual_fmac_f32 v37, v49, v30
	s_delay_alu instid0(VALU_DEP_1) | instskip(SKIP_1) | instid1(VALU_DEP_1)
	v_dual_add_f32 v41, v34, v36 :: v_dual_add_f32 v42, v35, v37
	v_dual_mul_f32 v34, v49, v33 :: v_dual_mul_f32 v35, v48, v33
	v_dual_fma_f32 v34, v48, v32, -v34 :: v_dual_fmac_f32 v35, v49, v32
	s_delay_alu instid0(VALU_DEP_1) | instskip(SKIP_3) | instid1(VALU_DEP_1)
	v_dual_add_f32 v38, v38, v34 :: v_dual_add_f32 v39, v39, v35
	ds_load_b128 v[34:37], v29 offset:1056
	s_wait_dscnt 0x0
	v_dual_mul_f32 v43, v35, v31 :: v_dual_mul_f32 v31, v34, v31
	v_fmac_f32_e32 v31, v35, v30
	s_delay_alu instid0(VALU_DEP_2) | instskip(NEXT) | instid1(VALU_DEP_2)
	v_dual_fma_f32 v43, v34, v30, -v43 :: v_dual_mul_f32 v30, v35, v33
	v_dual_add_f32 v40, v40, v31 :: v_dual_mul_f32 v31, v34, v33
	s_delay_alu instid0(VALU_DEP_2) | instskip(NEXT) | instid1(VALU_DEP_1)
	v_dual_fma_f32 v30, v34, v32, -v30 :: v_dual_add_f32 v28, v28, v43
	v_dual_fmac_f32 v31, v35, v32 :: v_dual_add_f32 v24, v24, v30
	s_delay_alu instid0(VALU_DEP_1) | instskip(SKIP_3) | instid1(VALU_DEP_1)
	v_add_f32_e32 v26, v26, v31
	ds_load_2addr_b64 v[30:33], v27 offset0:160 offset1:176
	s_wait_dscnt 0x0
	v_dual_mul_f32 v34, v51, v31 :: v_dual_mul_f32 v35, v50, v31
	v_dual_fma_f32 v34, v50, v30, -v34 :: v_dual_fmac_f32 v35, v51, v30
	s_delay_alu instid0(VALU_DEP_1) | instskip(SKIP_1) | instid1(VALU_DEP_1)
	v_dual_add_f32 v34, v41, v34 :: v_dual_add_f32 v35, v42, v35
	v_dual_mul_f32 v41, v51, v33 :: v_dual_mul_f32 v42, v50, v33
	v_dual_fma_f32 v41, v50, v32, -v41 :: v_dual_fmac_f32 v42, v51, v32
	s_delay_alu instid0(VALU_DEP_1) | instskip(SKIP_1) | instid1(VALU_DEP_1)
	v_dual_add_f32 v38, v38, v41 :: v_dual_add_f32 v39, v39, v42
	v_dual_mul_f32 v41, v37, v31 :: v_dual_mul_f32 v31, v36, v31
	v_dual_fma_f32 v41, v36, v30, -v41 :: v_dual_fmac_f32 v31, v37, v30
	s_delay_alu instid0(VALU_DEP_1) | instskip(NEXT) | instid1(VALU_DEP_1)
	v_dual_mul_f32 v30, v37, v33 :: v_dual_add_f32 v42, v40, v31
	v_dual_fma_f32 v30, v36, v32, -v30 :: v_dual_mul_f32 v31, v36, v33
	s_delay_alu instid0(VALU_DEP_1) | instskip(NEXT) | instid1(VALU_DEP_1)
	v_dual_add_f32 v28, v28, v41 :: v_dual_fmac_f32 v31, v37, v32
	v_dual_add_f32 v24, v24, v30 :: v_dual_add_f32 v26, v26, v31
	ds_load_2addr_b64 v[30:33], v27 offset0:192 offset1:208
	s_wait_dscnt 0x0
	v_dual_mul_f32 v36, v1, v31 :: v_dual_mul_f32 v37, v0, v31
	s_delay_alu instid0(VALU_DEP_1) | instskip(NEXT) | instid1(VALU_DEP_1)
	v_dual_fma_f32 v36, v0, v30, -v36 :: v_dual_fmac_f32 v37, v1, v30
	v_dual_add_f32 v34, v34, v36 :: v_dual_add_f32 v35, v35, v37
	v_mul_f32_e32 v36, v1, v33
	s_delay_alu instid0(VALU_DEP_1) | instskip(NEXT) | instid1(VALU_DEP_1)
	v_dual_fma_f32 v36, v0, v32, -v36 :: v_dual_mul_f32 v0, v0, v33
	v_fmac_f32_e32 v0, v1, v32
	s_delay_alu instid0(VALU_DEP_2) | instskip(NEXT) | instid1(VALU_DEP_2)
	v_add_f32_e32 v1, v38, v36
	v_add_f32_e32 v0, v39, v0
	ds_load_b128 v[38:41], v29 offset:1072
	s_wait_dscnt 0x0
	v_dual_mul_f32 v36, v39, v31 :: v_dual_mul_f32 v31, v38, v31
	s_delay_alu instid0(VALU_DEP_1) | instskip(NEXT) | instid1(VALU_DEP_1)
	v_dual_fma_f32 v36, v38, v30, -v36 :: v_dual_fmac_f32 v31, v39, v30
	v_dual_add_f32 v28, v28, v36 :: v_dual_add_f32 v30, v42, v31
	ds_load_2addr_b64 v[42:45], v27 offset0:224 offset1:240
	v_dual_mul_f32 v31, v39, v33 :: v_dual_mul_f32 v33, v38, v33
	s_wait_dscnt 0x0
	s_barrier_signal -1
	s_barrier_wait -1
	s_delay_alu instid0(VALU_DEP_1) | instskip(NEXT) | instid1(VALU_DEP_1)
	v_dual_fma_f32 v31, v38, v32, -v31 :: v_dual_fmac_f32 v33, v39, v32
	v_dual_add_f32 v24, v24, v31 :: v_dual_add_f32 v26, v26, v33
	v_dual_mul_f32 v31, v3, v43 :: v_dual_mul_f32 v32, v2, v43
	s_delay_alu instid0(VALU_DEP_1) | instskip(NEXT) | instid1(VALU_DEP_1)
	v_dual_fma_f32 v31, v2, v42, -v31 :: v_dual_fmac_f32 v32, v3, v42
	v_dual_add_f32 v36, v34, v31 :: v_dual_add_f32 v38, v35, v32
	v_mul_f32_e32 v31, v3, v45
	s_delay_alu instid0(VALU_DEP_1) | instskip(NEXT) | instid1(VALU_DEP_1)
	v_dual_fma_f32 v31, v2, v44, -v31 :: v_dual_mul_f32 v2, v2, v45
	v_dual_fmac_f32 v2, v3, v44 :: v_dual_add_f32 v32, v1, v31
	v_mul_f32_e32 v1, v40, v43
	s_delay_alu instid0(VALU_DEP_2) | instskip(NEXT) | instid1(VALU_DEP_1)
	v_dual_add_f32 v34, v0, v2 :: v_dual_mul_f32 v0, v41, v43
	v_dual_fmac_f32 v1, v41, v42 :: v_dual_fma_f32 v0, v40, v42, -v0
	s_delay_alu instid0(VALU_DEP_1) | instskip(SKIP_1) | instid1(VALU_DEP_3)
	v_add_f32_e32 v30, v30, v1
	v_mul_f32_e32 v1, v40, v45
	v_dual_add_f32 v28, v28, v0 :: v_dual_mul_f32 v0, v41, v45
	s_delay_alu instid0(VALU_DEP_1) | instskip(NEXT) | instid1(VALU_DEP_1)
	v_dual_fmac_f32 v1, v41, v44 :: v_dual_fma_f32 v0, v40, v44, -v0
	v_dual_add_f32 v26, v26, v1 :: v_dual_add_f32 v24, v24, v0
	s_cbranch_scc0 .LBB92_15
.LBB92_9:                               ;   Parent Loop BB92_6 Depth=1
                                        ; =>  This Inner Loop Header: Depth=2
	v_dual_mov_b32 v1, 0 :: v_dual_add_nc_u32 v0, s26, v4
	s_delay_alu instid0(VALU_DEP_1) | instskip(SKIP_2) | instid1(SALU_CYCLE_1)
	v_cmp_gt_i32_e32 vcc_lo, s5, v0
	v_mov_b32_e32 v0, 0
	s_and_b32 s29, s0, vcc_lo
	s_and_saveexec_b32 s27, s29
	s_cbranch_execz .LBB92_11
; %bb.10:                               ;   in Loop: Header=BB92_9 Depth=2
	global_load_b64 v[0:1], v[20:21], off
.LBB92_11:                              ;   in Loop: Header=BB92_9 Depth=2
	s_wait_xcnt 0x0
	s_or_b32 exec_lo, exec_lo, s27
	v_add_nc_u32_e32 v2, s26, v6
	s_wait_loadcnt 0x0
	ds_store_b64 v25, v[0:1]
	v_cmp_le_i32_e32 vcc_lo, s5, v2
	s_or_b32 s27, vcc_lo, s28
	s_delay_alu instid0(SALU_CYCLE_1) | instskip(NEXT) | instid1(SALU_CYCLE_1)
	s_and_saveexec_b32 s29, s27
	s_xor_b32 s27, exec_lo, s29
; %bb.12:                               ;   in Loop: Header=BB92_9 Depth=2
	ds_store_b32 v7, v5
; %bb.13:                               ;   in Loop: Header=BB92_9 Depth=2
	s_or_saveexec_b32 s27, s27
	v_mov_b32_e32 v0, 0
	s_xor_b32 exec_lo, exec_lo, s27
	s_cbranch_execz .LBB92_8
; %bb.14:                               ;   in Loop: Header=BB92_9 Depth=2
	global_load_b64 v[2:3], v[22:23], off offset:-4
	s_wait_loadcnt 0x0
	v_xor_b32_e32 v0, 0x80000000, v3
	ds_store_b32 v7, v2
	s_branch .LBB92_8
.LBB92_15:                              ;   in Loop: Header=BB92_6 Depth=1
	s_mul_u64 s[26:27], s[24:25], s[22:23]
	s_delay_alu instid0(SALU_CYCLE_1) | instskip(NEXT) | instid1(SALU_CYCLE_1)
	s_lshl_b64 s[26:27], s[26:27], 3
	s_add_nc_u64 s[26:27], s[12:13], s[26:27]
	s_delay_alu instid0(SALU_CYCLE_1)
	v_lshl_add_u64 v[0:1], v[12:13], 3, s[26:27]
	s_and_saveexec_b32 s29, s33
	s_cbranch_execz .LBB92_20
; %bb.16:                               ;   in Loop: Header=BB92_6 Depth=1
	v_mov_b64_e32 v[2:3], s[10:11]
	v_mov_b64_e32 v[20:21], s[6:7]
	s_and_b32 vcc_lo, exec_lo, s31
	s_mov_b32 s36, -1
	s_delay_alu instid0(VALU_DEP_2) | instskip(NEXT) | instid1(VALU_DEP_1)
	v_pk_mul_f32 v[2:3], v[38:39], v[2:3] op_sel_hi:[0,1]
	v_pk_fma_f32 v[22:23], v[36:37], v[20:21], v[2:3] op_sel_hi:[0,1,1]
	v_pk_fma_f32 v[2:3], v[36:37], v[20:21], v[2:3] neg_lo:[0,0,1] neg_hi:[0,0,1]
	v_lshl_add_u64 v[20:21], v[8:9], 3, v[0:1]
	s_delay_alu instid0(VALU_DEP_3)
	v_mov_b32_e32 v3, v23
	s_cbranch_vccz .LBB92_18
; %bb.17:                               ;   in Loop: Header=BB92_6 Depth=1
	global_load_b64 v[22:23], v[20:21], off
	v_mov_b64_e32 v[36:37], s[20:21]
	v_mov_b64_e32 v[38:39], s[2:3]
	s_mov_b32 s36, 0
	s_wait_loadcnt 0x0
	s_delay_alu instid0(VALU_DEP_2) | instskip(NEXT) | instid1(VALU_DEP_1)
	v_pk_mul_f32 v[36:37], v[22:23], v[36:37]
	v_pk_fma_f32 v[40:41], v[22:23], v[38:39], v[36:37] op_sel:[0,0,1] op_sel_hi:[1,1,0]
	v_pk_fma_f32 v[22:23], v[22:23], v[38:39], v[36:37] op_sel:[0,0,1] op_sel_hi:[1,1,0] neg_lo:[0,0,1] neg_hi:[0,0,1]
	s_delay_alu instid0(VALU_DEP_2) | instskip(NEXT) | instid1(VALU_DEP_1)
	v_mov_b32_e32 v23, v41
	v_pk_add_f32 v[22:23], v[2:3], v[22:23]
	global_store_b64 v[20:21], v[22:23], off
.LBB92_18:                              ;   in Loop: Header=BB92_6 Depth=1
	s_and_not1_b32 vcc_lo, exec_lo, s36
	s_cbranch_vccnz .LBB92_20
; %bb.19:                               ;   in Loop: Header=BB92_6 Depth=1
	global_store_b64 v[20:21], v[2:3], off
.LBB92_20:                              ;   in Loop: Header=BB92_6 Depth=1
	s_wait_xcnt 0x0
	s_or_b32 exec_lo, exec_lo, s29
	s_and_saveexec_b32 s29, s34
	s_cbranch_execz .LBB92_25
; %bb.21:                               ;   in Loop: Header=BB92_6 Depth=1
	v_mov_b64_e32 v[2:3], s[10:11]
	v_mov_b64_e32 v[20:21], s[6:7]
	v_lshl_add_u64 v[0:1], v[10:11], 3, v[0:1]
	s_and_not1_b32 vcc_lo, exec_lo, s31
	s_mov_b32 s36, -1
	s_delay_alu instid0(VALU_DEP_3) | instskip(NEXT) | instid1(VALU_DEP_1)
	v_pk_mul_f32 v[2:3], v[34:35], v[2:3] op_sel_hi:[0,1]
	v_pk_fma_f32 v[22:23], v[32:33], v[20:21], v[2:3] op_sel_hi:[0,1,1]
	v_pk_fma_f32 v[2:3], v[32:33], v[20:21], v[2:3] neg_lo:[0,0,1] neg_hi:[0,0,1]
	s_delay_alu instid0(VALU_DEP_2)
	v_mov_b32_e32 v3, v23
	s_cbranch_vccnz .LBB92_23
; %bb.22:                               ;   in Loop: Header=BB92_6 Depth=1
	global_load_b64 v[20:21], v[0:1], off
	v_mov_b64_e32 v[22:23], s[20:21]
	v_mov_b64_e32 v[32:33], s[2:3]
	s_mov_b32 s36, 0
	s_wait_loadcnt 0x0
	s_delay_alu instid0(VALU_DEP_2) | instskip(NEXT) | instid1(VALU_DEP_1)
	v_pk_mul_f32 v[22:23], v[20:21], v[22:23]
	v_pk_fma_f32 v[34:35], v[20:21], v[32:33], v[22:23] op_sel:[0,0,1] op_sel_hi:[1,1,0]
	v_pk_fma_f32 v[20:21], v[20:21], v[32:33], v[22:23] op_sel:[0,0,1] op_sel_hi:[1,1,0] neg_lo:[0,0,1] neg_hi:[0,0,1]
	s_delay_alu instid0(VALU_DEP_2) | instskip(NEXT) | instid1(VALU_DEP_1)
	v_mov_b32_e32 v21, v35
	v_pk_add_f32 v[20:21], v[2:3], v[20:21]
	global_store_b64 v[0:1], v[20:21], off
.LBB92_23:                              ;   in Loop: Header=BB92_6 Depth=1
	s_and_not1_b32 vcc_lo, exec_lo, s36
	s_cbranch_vccnz .LBB92_25
; %bb.24:                               ;   in Loop: Header=BB92_6 Depth=1
	global_store_b64 v[0:1], v[2:3], off
.LBB92_25:                              ;   in Loop: Header=BB92_6 Depth=1
	s_wait_xcnt 0x0
	s_or_b32 exec_lo, exec_lo, s29
	v_lshl_add_u64 v[0:1], v[14:15], 3, s[26:27]
	s_and_saveexec_b32 s26, s4
	s_cbranch_execz .LBB92_30
; %bb.26:                               ;   in Loop: Header=BB92_6 Depth=1
	v_mov_b64_e32 v[2:3], s[10:11]
	v_mov_b64_e32 v[20:21], s[6:7]
	s_and_not1_b32 vcc_lo, exec_lo, s31
	s_mov_b32 s27, -1
	s_delay_alu instid0(VALU_DEP_2) | instskip(NEXT) | instid1(VALU_DEP_1)
	v_pk_mul_f32 v[2:3], v[30:31], v[2:3] op_sel_hi:[0,1]
	v_pk_fma_f32 v[22:23], v[28:29], v[20:21], v[2:3] op_sel_hi:[0,1,1]
	v_pk_fma_f32 v[2:3], v[28:29], v[20:21], v[2:3] neg_lo:[0,0,1] neg_hi:[0,0,1]
	v_lshl_add_u64 v[20:21], v[8:9], 3, v[0:1]
	s_delay_alu instid0(VALU_DEP_3)
	v_mov_b32_e32 v3, v23
	s_cbranch_vccnz .LBB92_28
; %bb.27:                               ;   in Loop: Header=BB92_6 Depth=1
	global_load_b64 v[22:23], v[20:21], off
	v_mov_b64_e32 v[30:31], s[20:21]
	v_mov_b64_e32 v[32:33], s[2:3]
	s_mov_b32 s27, 0
	s_wait_loadcnt 0x0
	s_delay_alu instid0(VALU_DEP_2) | instskip(NEXT) | instid1(VALU_DEP_1)
	v_pk_mul_f32 v[30:31], v[22:23], v[30:31]
	v_pk_fma_f32 v[34:35], v[22:23], v[32:33], v[30:31] op_sel:[0,0,1] op_sel_hi:[1,1,0]
	v_pk_fma_f32 v[22:23], v[22:23], v[32:33], v[30:31] op_sel:[0,0,1] op_sel_hi:[1,1,0] neg_lo:[0,0,1] neg_hi:[0,0,1]
	s_delay_alu instid0(VALU_DEP_2) | instskip(NEXT) | instid1(VALU_DEP_1)
	v_mov_b32_e32 v23, v35
	v_pk_add_f32 v[22:23], v[2:3], v[22:23]
	global_store_b64 v[20:21], v[22:23], off
.LBB92_28:                              ;   in Loop: Header=BB92_6 Depth=1
	s_and_not1_b32 vcc_lo, exec_lo, s27
	s_cbranch_vccnz .LBB92_30
; %bb.29:                               ;   in Loop: Header=BB92_6 Depth=1
	global_store_b64 v[20:21], v[2:3], off
.LBB92_30:                              ;   in Loop: Header=BB92_6 Depth=1
	s_wait_xcnt 0x0
	s_or_b32 exec_lo, exec_lo, s26
	s_and_saveexec_b32 s26, s1
	s_cbranch_execz .LBB92_5
; %bb.31:                               ;   in Loop: Header=BB92_6 Depth=1
	v_mov_b64_e32 v[2:3], s[10:11]
	v_mov_b64_e32 v[20:21], s[6:7]
	v_lshl_add_u64 v[0:1], v[10:11], 3, v[0:1]
	s_and_not1_b32 vcc_lo, exec_lo, s31
	s_mov_b32 s27, -1
	s_delay_alu instid0(VALU_DEP_3) | instskip(NEXT) | instid1(VALU_DEP_1)
	v_pk_mul_f32 v[2:3], v[26:27], v[2:3] op_sel_hi:[0,1]
	v_pk_fma_f32 v[22:23], v[24:25], v[20:21], v[2:3] op_sel_hi:[0,1,1]
	v_pk_fma_f32 v[2:3], v[24:25], v[20:21], v[2:3] neg_lo:[0,0,1] neg_hi:[0,0,1]
	s_delay_alu instid0(VALU_DEP_2)
	v_mov_b32_e32 v3, v23
	s_cbranch_vccnz .LBB92_33
; %bb.32:                               ;   in Loop: Header=BB92_6 Depth=1
	global_load_b64 v[20:21], v[0:1], off
	v_mov_b64_e32 v[22:23], s[20:21]
	v_mov_b64_e32 v[30:31], s[2:3]
	s_mov_b32 s27, 0
	s_wait_loadcnt 0x0
	s_delay_alu instid0(VALU_DEP_2) | instskip(NEXT) | instid1(VALU_DEP_1)
	v_pk_mul_f32 v[22:23], v[20:21], v[22:23]
	v_pk_fma_f32 v[32:33], v[20:21], v[30:31], v[22:23] op_sel:[0,0,1] op_sel_hi:[1,1,0]
	v_pk_fma_f32 v[20:21], v[20:21], v[30:31], v[22:23] op_sel:[0,0,1] op_sel_hi:[1,1,0] neg_lo:[0,0,1] neg_hi:[0,0,1]
	s_delay_alu instid0(VALU_DEP_2) | instskip(NEXT) | instid1(VALU_DEP_1)
	v_mov_b32_e32 v21, v33
	v_pk_add_f32 v[20:21], v[2:3], v[20:21]
	global_store_b64 v[0:1], v[20:21], off
.LBB92_33:                              ;   in Loop: Header=BB92_6 Depth=1
	s_and_not1_b32 vcc_lo, exec_lo, s27
	s_cbranch_vccnz .LBB92_5
; %bb.34:                               ;   in Loop: Header=BB92_6 Depth=1
	global_store_b64 v[0:1], v[2:3], off
	s_branch .LBB92_5
.LBB92_35:
	s_endpgm
	.section	.rodata,"a",@progbits
	.p2align	6, 0x0
	.amdhsa_kernel _ZL29rocblas_internal_gemmt_kernelIiLi16ELi32ELi8ELc78ELc67ELc85ELb0ELb1E19rocblas_complex_numIfES1_PKS1_PS1_EviT_T9_T10_S5_lS7_S5_lS6_T11_S5_li
		.amdhsa_group_segment_fixed_size 4096
		.amdhsa_private_segment_fixed_size 0
		.amdhsa_kernarg_size 100
		.amdhsa_user_sgpr_count 2
		.amdhsa_user_sgpr_dispatch_ptr 0
		.amdhsa_user_sgpr_queue_ptr 0
		.amdhsa_user_sgpr_kernarg_segment_ptr 1
		.amdhsa_user_sgpr_dispatch_id 0
		.amdhsa_user_sgpr_kernarg_preload_length 0
		.amdhsa_user_sgpr_kernarg_preload_offset 0
		.amdhsa_user_sgpr_private_segment_size 0
		.amdhsa_wavefront_size32 1
		.amdhsa_uses_dynamic_stack 0
		.amdhsa_enable_private_segment 0
		.amdhsa_system_sgpr_workgroup_id_x 1
		.amdhsa_system_sgpr_workgroup_id_y 1
		.amdhsa_system_sgpr_workgroup_id_z 1
		.amdhsa_system_sgpr_workgroup_info 0
		.amdhsa_system_vgpr_workitem_id 1
		.amdhsa_next_free_vgpr 56
		.amdhsa_next_free_sgpr 37
		.amdhsa_named_barrier_count 0
		.amdhsa_reserve_vcc 1
		.amdhsa_float_round_mode_32 0
		.amdhsa_float_round_mode_16_64 0
		.amdhsa_float_denorm_mode_32 3
		.amdhsa_float_denorm_mode_16_64 3
		.amdhsa_fp16_overflow 0
		.amdhsa_memory_ordered 1
		.amdhsa_forward_progress 1
		.amdhsa_inst_pref_size 26
		.amdhsa_round_robin_scheduling 0
		.amdhsa_exception_fp_ieee_invalid_op 0
		.amdhsa_exception_fp_denorm_src 0
		.amdhsa_exception_fp_ieee_div_zero 0
		.amdhsa_exception_fp_ieee_overflow 0
		.amdhsa_exception_fp_ieee_underflow 0
		.amdhsa_exception_fp_ieee_inexact 0
		.amdhsa_exception_int_div_zero 0
	.end_amdhsa_kernel
	.section	.text._ZL29rocblas_internal_gemmt_kernelIiLi16ELi32ELi8ELc78ELc67ELc85ELb0ELb1E19rocblas_complex_numIfES1_PKS1_PS1_EviT_T9_T10_S5_lS7_S5_lS6_T11_S5_li,"axG",@progbits,_ZL29rocblas_internal_gemmt_kernelIiLi16ELi32ELi8ELc78ELc67ELc85ELb0ELb1E19rocblas_complex_numIfES1_PKS1_PS1_EviT_T9_T10_S5_lS7_S5_lS6_T11_S5_li,comdat
.Lfunc_end92:
	.size	_ZL29rocblas_internal_gemmt_kernelIiLi16ELi32ELi8ELc78ELc67ELc85ELb0ELb1E19rocblas_complex_numIfES1_PKS1_PS1_EviT_T9_T10_S5_lS7_S5_lS6_T11_S5_li, .Lfunc_end92-_ZL29rocblas_internal_gemmt_kernelIiLi16ELi32ELi8ELc78ELc67ELc85ELb0ELb1E19rocblas_complex_numIfES1_PKS1_PS1_EviT_T9_T10_S5_lS7_S5_lS6_T11_S5_li
                                        ; -- End function
	.set _ZL29rocblas_internal_gemmt_kernelIiLi16ELi32ELi8ELc78ELc67ELc85ELb0ELb1E19rocblas_complex_numIfES1_PKS1_PS1_EviT_T9_T10_S5_lS7_S5_lS6_T11_S5_li.num_vgpr, 56
	.set _ZL29rocblas_internal_gemmt_kernelIiLi16ELi32ELi8ELc78ELc67ELc85ELb0ELb1E19rocblas_complex_numIfES1_PKS1_PS1_EviT_T9_T10_S5_lS7_S5_lS6_T11_S5_li.num_agpr, 0
	.set _ZL29rocblas_internal_gemmt_kernelIiLi16ELi32ELi8ELc78ELc67ELc85ELb0ELb1E19rocblas_complex_numIfES1_PKS1_PS1_EviT_T9_T10_S5_lS7_S5_lS6_T11_S5_li.numbered_sgpr, 37
	.set _ZL29rocblas_internal_gemmt_kernelIiLi16ELi32ELi8ELc78ELc67ELc85ELb0ELb1E19rocblas_complex_numIfES1_PKS1_PS1_EviT_T9_T10_S5_lS7_S5_lS6_T11_S5_li.num_named_barrier, 0
	.set _ZL29rocblas_internal_gemmt_kernelIiLi16ELi32ELi8ELc78ELc67ELc85ELb0ELb1E19rocblas_complex_numIfES1_PKS1_PS1_EviT_T9_T10_S5_lS7_S5_lS6_T11_S5_li.private_seg_size, 0
	.set _ZL29rocblas_internal_gemmt_kernelIiLi16ELi32ELi8ELc78ELc67ELc85ELb0ELb1E19rocblas_complex_numIfES1_PKS1_PS1_EviT_T9_T10_S5_lS7_S5_lS6_T11_S5_li.uses_vcc, 1
	.set _ZL29rocblas_internal_gemmt_kernelIiLi16ELi32ELi8ELc78ELc67ELc85ELb0ELb1E19rocblas_complex_numIfES1_PKS1_PS1_EviT_T9_T10_S5_lS7_S5_lS6_T11_S5_li.uses_flat_scratch, 0
	.set _ZL29rocblas_internal_gemmt_kernelIiLi16ELi32ELi8ELc78ELc67ELc85ELb0ELb1E19rocblas_complex_numIfES1_PKS1_PS1_EviT_T9_T10_S5_lS7_S5_lS6_T11_S5_li.has_dyn_sized_stack, 0
	.set _ZL29rocblas_internal_gemmt_kernelIiLi16ELi32ELi8ELc78ELc67ELc85ELb0ELb1E19rocblas_complex_numIfES1_PKS1_PS1_EviT_T9_T10_S5_lS7_S5_lS6_T11_S5_li.has_recursion, 0
	.set _ZL29rocblas_internal_gemmt_kernelIiLi16ELi32ELi8ELc78ELc67ELc85ELb0ELb1E19rocblas_complex_numIfES1_PKS1_PS1_EviT_T9_T10_S5_lS7_S5_lS6_T11_S5_li.has_indirect_call, 0
	.section	.AMDGPU.csdata,"",@progbits
; Kernel info:
; codeLenInByte = 3240
; TotalNumSgprs: 39
; NumVgprs: 56
; ScratchSize: 0
; MemoryBound: 0
; FloatMode: 240
; IeeeMode: 1
; LDSByteSize: 4096 bytes/workgroup (compile time only)
; SGPRBlocks: 0
; VGPRBlocks: 3
; NumSGPRsForWavesPerEU: 39
; NumVGPRsForWavesPerEU: 56
; NamedBarCnt: 0
; Occupancy: 16
; WaveLimiterHint : 0
; COMPUTE_PGM_RSRC2:SCRATCH_EN: 0
; COMPUTE_PGM_RSRC2:USER_SGPR: 2
; COMPUTE_PGM_RSRC2:TRAP_HANDLER: 0
; COMPUTE_PGM_RSRC2:TGID_X_EN: 1
; COMPUTE_PGM_RSRC2:TGID_Y_EN: 1
; COMPUTE_PGM_RSRC2:TGID_Z_EN: 1
; COMPUTE_PGM_RSRC2:TIDIG_COMP_CNT: 1
	.section	.text._ZL29rocblas_internal_gemmt_kernelIiLi16ELi32ELi8ELc84ELc78ELc85ELb0ELb0E19rocblas_complex_numIfES1_PKS1_PS1_EviT_T9_T10_S5_lS7_S5_lS6_T11_S5_li,"axG",@progbits,_ZL29rocblas_internal_gemmt_kernelIiLi16ELi32ELi8ELc84ELc78ELc85ELb0ELb0E19rocblas_complex_numIfES1_PKS1_PS1_EviT_T9_T10_S5_lS7_S5_lS6_T11_S5_li,comdat
	.globl	_ZL29rocblas_internal_gemmt_kernelIiLi16ELi32ELi8ELc84ELc78ELc85ELb0ELb0E19rocblas_complex_numIfES1_PKS1_PS1_EviT_T9_T10_S5_lS7_S5_lS6_T11_S5_li ; -- Begin function _ZL29rocblas_internal_gemmt_kernelIiLi16ELi32ELi8ELc84ELc78ELc85ELb0ELb0E19rocblas_complex_numIfES1_PKS1_PS1_EviT_T9_T10_S5_lS7_S5_lS6_T11_S5_li
	.p2align	8
	.type	_ZL29rocblas_internal_gemmt_kernelIiLi16ELi32ELi8ELc84ELc78ELc85ELb0ELb0E19rocblas_complex_numIfES1_PKS1_PS1_EviT_T9_T10_S5_lS7_S5_lS6_T11_S5_li,@function
_ZL29rocblas_internal_gemmt_kernelIiLi16ELi32ELi8ELc84ELc78ELc85ELb0ELb0E19rocblas_complex_numIfES1_PKS1_PS1_EviT_T9_T10_S5_lS7_S5_lS6_T11_S5_li: ; @_ZL29rocblas_internal_gemmt_kernelIiLi16ELi32ELi8ELc84ELc78ELc85ELb0ELb0E19rocblas_complex_numIfES1_PKS1_PS1_EviT_T9_T10_S5_lS7_S5_lS6_T11_S5_li
; %bb.0:
	s_clause 0x1
	s_load_b64 s[20:21], s[0:1], 0x40
	s_load_b128 s[4:7], s[0:1], 0x0
	s_wait_kmcnt 0x0
	s_cmp_neq_f32 s20, 1.0
	s_cselect_b32 s2, -1, 0
	s_and_b32 s3, s21, 0x7fffffff
	s_delay_alu instid0(SALU_CYCLE_1) | instskip(SKIP_3) | instid1(SALU_CYCLE_1)
	s_cmp_eq_u32 s3, 0
	s_cselect_b32 s28, -1, 0
	s_cmp_lg_u32 s3, 0
	s_cselect_b32 s3, -1, 0
	s_or_b32 s2, s2, s3
	s_delay_alu instid0(SALU_CYCLE_1)
	s_and_b32 vcc_lo, exec_lo, s2
	s_cbranch_vccnz .LBB93_2
; %bb.1:
	s_cmp_lg_u32 s5, 0
	s_cselect_b32 s2, -1, 0
	s_cmp_neq_f32 s6, 0
	s_cselect_b32 s3, -1, 0
	s_cmp_neq_f32 s7, 0
	s_cselect_b32 s8, -1, 0
	s_delay_alu instid0(SALU_CYCLE_1) | instskip(NEXT) | instid1(SALU_CYCLE_1)
	s_or_b32 s3, s3, s8
	s_and_b32 s2, s2, s3
.LBB93_2:
	s_delay_alu instid0(SALU_CYCLE_1)
	s_and_not1_b32 vcc_lo, exec_lo, s2
	s_cbranch_vccnz .LBB93_33
; %bb.3:
	s_load_b32 s19, s[0:1], 0x60
	s_bfe_u32 s2, ttmp6, 0x40014
	s_lshr_b32 s3, ttmp7, 16
	s_add_co_i32 s2, s2, 1
	s_bfe_u32 s8, ttmp6, 0x40008
	s_mul_i32 s2, s3, s2
	s_getreg_b32 s29, hwreg(HW_REG_IB_STS2, 6, 4)
	s_add_co_i32 s8, s8, s2
	s_cmp_eq_u32 s29, 0
	s_mov_b32 s23, 0
	s_cselect_b32 s22, s3, s8
	s_wait_kmcnt 0x0
	s_cmp_ge_u32 s22, s19
	s_cbranch_scc1 .LBB93_33
; %bb.4:
	s_clause 0x2
	s_load_b96 s[16:18], s[0:1], 0x10
	s_load_b32 s2, s[0:1], 0x30
	s_load_b96 s[12:14], s[0:1], 0x48
	v_and_b32_e32 v4, 0x3ff, v0
	v_bfe_u32 v5, v0, 10, 10
	s_clause 0x2
	s_load_b128 s[8:11], s[0:1], 0x20
	s_load_b64 s[26:27], s[0:1], 0x38
	s_load_b64 s[24:25], s[0:1], 0x58
	s_wait_xcnt 0x0
	s_bfe_u32 s1, ttmp6, 0x4000c
	s_bfe_u32 s3, ttmp6, 0x40010
	s_and_b32 s30, ttmp7, 0xffff
	s_add_co_i32 s1, s1, 1
	s_add_co_i32 s3, s3, 1
	v_lshl_add_u32 v1, v5, 4, v4
	s_and_b32 s0, ttmp6, 15
	s_bfe_u32 s33, ttmp6, 0x40004
	s_mul_i32 s1, ttmp9, s1
	s_mul_i32 s34, s30, s3
	s_add_co_i32 s0, s0, s1
	s_add_co_i32 s33, s33, s34
	v_dual_lshrrev_b32 v6, 3, v1 :: v_dual_bitop2_b32 v2, 31, v1 bitop3:0x40
	s_wait_kmcnt 0x0
	s_ashr_i32 s31, s18, 31
	s_ashr_i32 s3, s2, 31
	;; [unrolled: 1-line block ×3, first 2 shown]
	s_cmp_eq_u32 s29, 0
	v_dual_lshrrev_b32 v21, 5, v1 :: v_dual_bitop2_b32 v23, 7, v0 bitop3:0x40
	s_cselect_b32 s0, ttmp9, s0
	s_cselect_b32 s1, s30, s33
	s_lshl_b32 s29, s0, 5
	s_lshl_b32 s1, s1, 5
	s_cmp_neq_f32 s6, 0
	v_dual_lshlrev_b32 v1, 3, v2 :: v_dual_bitop2_b32 v0, s29, v2 bitop3:0x54
	v_dual_add_nc_u32 v2, s1, v6 :: v_dual_lshlrev_b32 v12, 3, v23
	s_cselect_b32 s0, -1, 0
	s_cmp_neq_f32 s7, 0
	s_delay_alu instid0(VALU_DEP_2) | instskip(NEXT) | instid1(VALU_DEP_2)
	v_lshl_or_b32 v25, v21, 8, v1
	v_dual_ashrrev_i32 v1, 31, v0 :: v_dual_ashrrev_i32 v3, 31, v2
	v_dual_add_nc_u32 v14, s1, v5 :: v_dual_lshlrev_b32 v29, 3, v4
	s_mov_b32 s30, s18
	s_cselect_b32 s18, -1, 0
	v_cmp_gt_i32_e64 s1, s4, v2
	s_or_b32 s33, s0, s18
	v_cmp_gt_i32_e64 s0, s4, v0
	v_mul_u64_e32 v[0:1], s[30:31], v[0:1]
	v_mul_u64_e32 v[2:3], s[2:3], v[2:3]
	v_dual_add_nc_u32 v16, 16, v14 :: v_dual_add_nc_u32 v4, s29, v4
	v_ashrrev_i32_e32 v15, 31, v14
	v_lshl_or_b32 v6, v6, 6, v12
	v_lshl_add_u32 v31, v5, 6, 0x800
	s_delay_alu instid0(VALU_DEP_4)
	v_ashrrev_i32_e32 v17, 31, v16
	v_ashrrev_i32_e32 v5, 31, v4
	v_mul_u64_e32 v[8:9], s[14:15], v[14:15]
	v_add_nc_u32_e32 v27, 0x800, v6
	v_add_nc_u32_e32 v6, 16, v4
	v_mul_u64_e32 v[10:11], s[14:15], v[16:17]
	v_mov_b32_e32 v15, 0
	v_cmp_gt_i32_e32 vcc_lo, s4, v14
	v_cmp_le_i32_e64 s2, v4, v14
	v_cmp_le_i32_e64 s3, v6, v14
	v_dual_ashrrev_i32 v7, 31, v6 :: v_dual_lshlrev_b32 v14, 3, v21
	v_mov_b32_e32 v13, v15
	s_cmp_gt_i32 s5, 0
	s_mov_b32 s15, s6
	s_cselect_b32 s34, -1, 0
	s_cmp_neq_f32 s20, 0
	s_cselect_b32 s18, -1, 0
	s_xor_b32 s14, s28, -1
	s_and_b32 s28, vcc_lo, s2
	s_and_b32 s29, vcc_lo, s3
	v_cmp_gt_i32_e32 vcc_lo, s4, v16
	v_lshl_add_u64 v[0:1], v[0:1], 3, v[14:15]
	v_lshl_add_u64 v[2:3], v[2:3], 3, v[12:13]
	v_cmp_le_i32_e64 s2, v4, v16
	v_cmp_le_i32_e64 s3, v6, v16
	s_or_b32 s18, s18, s14
	v_add_nc_u64_e32 v[12:13], s[16:17], v[0:1]
	v_add_nc_u64_e32 v[14:15], s[10:11], v[2:3]
	s_and_b32 s4, vcc_lo, s2
	s_and_b32 s30, vcc_lo, s3
	s_mov_b32 s2, s20
	s_mov_b32 s3, s20
	;; [unrolled: 1-line block ×4, first 2 shown]
	s_and_b32 s31, s33, s34
	s_lshl_b64 s[8:9], s[8:9], 3
	s_lshl_b64 s[10:11], s[26:27], 3
	s_branch .LBB93_6
.LBB93_5:                               ;   in Loop: Header=BB93_6 Depth=1
	s_wait_xcnt 0x0
	s_or_b32 exec_lo, exec_lo, s16
	s_add_co_i32 s22, s22, 0x10000
	s_delay_alu instid0(SALU_CYCLE_1)
	s_cmp_lt_u32 s22, s19
	s_cbranch_scc0 .LBB93_33
.LBB93_6:                               ; =>This Loop Header: Depth=1
                                        ;     Child Loop BB93_9 Depth 2
	v_dual_mov_b32 v32, 0 :: v_dual_mov_b32 v34, 0
	v_dual_mov_b32 v28, 0 :: v_dual_mov_b32 v30, 0
	;; [unrolled: 1-line block ×4, first 2 shown]
	s_and_not1_b32 vcc_lo, exec_lo, s31
	s_cbranch_vccnz .LBB93_13
; %bb.7:                                ;   in Loop: Header=BB93_6 Depth=1
	v_mad_nc_u64_u32 v[16:17], s8, s22, v[12:13]
	v_mad_nc_u64_u32 v[18:19], s10, s22, v[14:15]
	v_dual_mov_b32 v22, 0 :: v_dual_mov_b32 v20, 0
	v_dual_mov_b32 v26, 0 :: v_dual_mov_b32 v24, 0
	;; [unrolled: 1-line block ×4, first 2 shown]
	s_mov_b32 s16, 0
	v_mad_u32 v17, s9, s22, v17
	v_mad_u32 v19, s11, s22, v19
	s_branch .LBB93_9
.LBB93_8:                               ;   in Loop: Header=BB93_9 Depth=2
	s_wait_xcnt 0x0
	s_or_b32 exec_lo, exec_lo, s17
	s_wait_loadcnt 0x0
	ds_store_b64 v27, v[2:3]
	s_wait_dscnt 0x0
	s_barrier_signal -1
	s_barrier_wait -1
	ds_load_b128 v[36:39], v31
	ds_load_b128 v[40:43], v31 offset:16
	ds_load_b128 v[44:47], v31 offset:32
	;; [unrolled: 1-line block ×3, first 2 shown]
	ds_load_2addr_b64 v[48:51], v29 offset1:16
	v_add_nc_u64_e32 v[16:17], 64, v[16:17]
	v_add_nc_u64_e32 v[18:19], 64, v[18:19]
	s_add_co_i32 s16, s16, 8
	s_delay_alu instid0(SALU_CYCLE_1) | instskip(SKIP_2) | instid1(VALU_DEP_1)
	s_cmp_lt_i32 s16, s5
	s_wait_dscnt 0x0
	v_dual_mul_f32 v33, v37, v49 :: v_dual_mul_f32 v35, v36, v49
	v_dual_fma_f32 v33, v36, v48, -v33 :: v_dual_fmac_f32 v35, v37, v48
	s_delay_alu instid0(VALU_DEP_1) | instskip(SKIP_1) | instid1(VALU_DEP_1)
	v_dual_add_f32 v52, v32, v33 :: v_dual_add_f32 v53, v34, v35
	v_dual_mul_f32 v32, v37, v51 :: v_dual_mul_f32 v33, v36, v51
	v_dual_fma_f32 v32, v36, v50, -v32 :: v_dual_fmac_f32 v33, v37, v50
	s_delay_alu instid0(VALU_DEP_1) | instskip(SKIP_3) | instid1(VALU_DEP_1)
	v_dual_add_f32 v28, v28, v32 :: v_dual_add_f32 v30, v30, v33
	ds_load_b128 v[32:35], v31 offset:1024
	s_wait_dscnt 0x0
	v_dual_mul_f32 v36, v33, v49 :: v_dual_mul_f32 v37, v32, v49
	v_dual_fma_f32 v36, v32, v48, -v36 :: v_dual_fmac_f32 v37, v33, v48
	s_delay_alu instid0(VALU_DEP_1) | instskip(SKIP_1) | instid1(VALU_DEP_1)
	v_dual_add_f32 v24, v24, v36 :: v_dual_add_f32 v26, v26, v37
	v_mul_f32_e32 v36, v33, v51
	v_dual_fma_f32 v36, v32, v50, -v36 :: v_dual_mul_f32 v32, v32, v51
	s_delay_alu instid0(VALU_DEP_1) | instskip(SKIP_4) | instid1(VALU_DEP_1)
	v_fmac_f32_e32 v32, v33, v50
	ds_load_2addr_b64 v[48:51], v29 offset0:32 offset1:48
	v_add_f32_e32 v22, v22, v32
	s_wait_dscnt 0x0
	v_dual_add_f32 v20, v20, v36 :: v_dual_mul_f32 v32, v39, v49
	v_dual_mul_f32 v33, v38, v49 :: v_dual_fma_f32 v32, v38, v48, -v32
	s_delay_alu instid0(VALU_DEP_1) | instskip(NEXT) | instid1(VALU_DEP_1)
	v_fmac_f32_e32 v33, v39, v48
	v_dual_add_f32 v36, v52, v32 :: v_dual_add_f32 v37, v53, v33
	v_dual_mul_f32 v32, v39, v51 :: v_dual_mul_f32 v33, v38, v51
	s_delay_alu instid0(VALU_DEP_1) | instskip(NEXT) | instid1(VALU_DEP_1)
	v_dual_fma_f32 v32, v38, v50, -v32 :: v_dual_fmac_f32 v33, v39, v50
	v_dual_add_f32 v28, v28, v32 :: v_dual_add_f32 v30, v30, v33
	v_dual_mul_f32 v32, v35, v49 :: v_dual_mul_f32 v33, v34, v49
	s_delay_alu instid0(VALU_DEP_1) | instskip(NEXT) | instid1(VALU_DEP_1)
	v_dual_fma_f32 v32, v34, v48, -v32 :: v_dual_fmac_f32 v33, v35, v48
	;; [unrolled: 4-line block ×3, first 2 shown]
	v_dual_add_f32 v20, v20, v32 :: v_dual_add_f32 v22, v22, v33
	ds_load_2addr_b64 v[32:35], v29 offset0:64 offset1:80
	s_wait_dscnt 0x0
	v_dual_mul_f32 v38, v41, v33 :: v_dual_mul_f32 v39, v40, v33
	s_delay_alu instid0(VALU_DEP_1) | instskip(NEXT) | instid1(VALU_DEP_1)
	v_dual_fma_f32 v38, v40, v32, -v38 :: v_dual_fmac_f32 v39, v41, v32
	v_dual_add_f32 v48, v36, v38 :: v_dual_add_f32 v49, v37, v39
	v_dual_mul_f32 v36, v41, v35 :: v_dual_mul_f32 v37, v40, v35
	s_delay_alu instid0(VALU_DEP_1) | instskip(NEXT) | instid1(VALU_DEP_1)
	v_dual_fma_f32 v36, v40, v34, -v36 :: v_dual_fmac_f32 v37, v41, v34
	v_dual_add_f32 v28, v28, v36 :: v_dual_add_f32 v30, v30, v37
	ds_load_b128 v[36:39], v31 offset:1040
	s_wait_dscnt 0x0
	v_dual_mul_f32 v40, v37, v33 :: v_dual_mul_f32 v33, v36, v33
	s_delay_alu instid0(VALU_DEP_1) | instskip(NEXT) | instid1(VALU_DEP_1)
	v_dual_fma_f32 v40, v36, v32, -v40 :: v_dual_fmac_f32 v33, v37, v32
	v_dual_mul_f32 v32, v37, v35 :: v_dual_add_f32 v24, v24, v40
	s_delay_alu instid0(VALU_DEP_2) | instskip(NEXT) | instid1(VALU_DEP_1)
	v_dual_add_f32 v26, v26, v33 :: v_dual_mul_f32 v33, v36, v35
	v_dual_fma_f32 v32, v36, v34, -v32 :: v_dual_fmac_f32 v33, v37, v34
	s_delay_alu instid0(VALU_DEP_1) | instskip(SKIP_4) | instid1(VALU_DEP_2)
	v_dual_add_f32 v20, v20, v32 :: v_dual_add_f32 v22, v22, v33
	ds_load_2addr_b64 v[32:35], v29 offset0:96 offset1:112
	s_wait_dscnt 0x0
	v_dual_mul_f32 v40, v43, v35 :: v_dual_mul_f32 v41, v42, v35
	v_dual_mul_f32 v36, v43, v33 :: v_dual_mul_f32 v37, v42, v33
	v_dual_fma_f32 v40, v42, v34, -v40 :: v_dual_fmac_f32 v41, v43, v34
	s_delay_alu instid0(VALU_DEP_2) | instskip(NEXT) | instid1(VALU_DEP_2)
	v_dual_fma_f32 v36, v42, v32, -v36 :: v_dual_fmac_f32 v37, v43, v32
	v_dual_add_f32 v28, v28, v40 :: v_dual_add_f32 v30, v30, v41
	v_dual_mul_f32 v40, v39, v33 :: v_dual_mul_f32 v33, v38, v33
	s_delay_alu instid0(VALU_DEP_3) | instskip(NEXT) | instid1(VALU_DEP_2)
	v_dual_add_f32 v36, v48, v36 :: v_dual_add_f32 v37, v49, v37
	v_dual_fma_f32 v40, v38, v32, -v40 :: v_dual_fmac_f32 v33, v39, v32
	s_delay_alu instid0(VALU_DEP_1) | instskip(NEXT) | instid1(VALU_DEP_2)
	v_dual_mul_f32 v32, v39, v35 :: v_dual_add_f32 v24, v24, v40
	v_add_f32_e32 v26, v26, v33
	s_delay_alu instid0(VALU_DEP_2) | instskip(NEXT) | instid1(VALU_DEP_1)
	v_dual_mul_f32 v33, v38, v35 :: v_dual_fma_f32 v32, v38, v34, -v32
	v_dual_fmac_f32 v33, v39, v34 :: v_dual_add_f32 v20, v20, v32
	s_delay_alu instid0(VALU_DEP_1) | instskip(SKIP_3) | instid1(VALU_DEP_1)
	v_add_f32_e32 v22, v22, v33
	ds_load_2addr_b64 v[32:35], v29 offset0:128 offset1:144
	s_wait_dscnt 0x0
	v_dual_mul_f32 v38, v45, v33 :: v_dual_mul_f32 v39, v44, v33
	v_dual_fma_f32 v38, v44, v32, -v38 :: v_dual_fmac_f32 v39, v45, v32
	s_delay_alu instid0(VALU_DEP_1) | instskip(SKIP_1) | instid1(VALU_DEP_1)
	v_dual_add_f32 v40, v36, v38 :: v_dual_add_f32 v41, v37, v39
	v_dual_mul_f32 v36, v45, v35 :: v_dual_mul_f32 v37, v44, v35
	v_dual_fma_f32 v36, v44, v34, -v36 :: v_dual_fmac_f32 v37, v45, v34
	s_delay_alu instid0(VALU_DEP_1) | instskip(SKIP_3) | instid1(VALU_DEP_1)
	v_dual_add_f32 v28, v28, v36 :: v_dual_add_f32 v30, v30, v37
	ds_load_b128 v[36:39], v31 offset:1056
	s_wait_dscnt 0x0
	v_dual_mul_f32 v42, v37, v33 :: v_dual_mul_f32 v33, v36, v33
	v_dual_fma_f32 v42, v36, v32, -v42 :: v_dual_fmac_f32 v33, v37, v32
	s_delay_alu instid0(VALU_DEP_1) | instskip(NEXT) | instid1(VALU_DEP_2)
	v_dual_mul_f32 v32, v37, v35 :: v_dual_add_f32 v24, v24, v42
	v_dual_add_f32 v26, v26, v33 :: v_dual_mul_f32 v33, v36, v35
	s_delay_alu instid0(VALU_DEP_1) | instskip(NEXT) | instid1(VALU_DEP_1)
	v_dual_fma_f32 v32, v36, v34, -v32 :: v_dual_fmac_f32 v33, v37, v34
	v_dual_add_f32 v20, v20, v32 :: v_dual_add_f32 v22, v22, v33
	ds_load_2addr_b64 v[32:35], v29 offset0:160 offset1:176
	s_wait_dscnt 0x0
	v_dual_mul_f32 v36, v47, v33 :: v_dual_mul_f32 v37, v46, v33
	s_delay_alu instid0(VALU_DEP_1) | instskip(NEXT) | instid1(VALU_DEP_1)
	v_dual_fma_f32 v36, v46, v32, -v36 :: v_dual_fmac_f32 v37, v47, v32
	v_dual_add_f32 v36, v40, v36 :: v_dual_add_f32 v37, v41, v37
	v_dual_mul_f32 v40, v47, v35 :: v_dual_mul_f32 v41, v46, v35
	s_delay_alu instid0(VALU_DEP_1) | instskip(NEXT) | instid1(VALU_DEP_1)
	v_dual_fma_f32 v40, v46, v34, -v40 :: v_dual_fmac_f32 v41, v47, v34
	v_dual_add_f32 v28, v28, v40 :: v_dual_add_f32 v30, v30, v41
	v_dual_mul_f32 v40, v39, v33 :: v_dual_mul_f32 v33, v38, v33
	s_delay_alu instid0(VALU_DEP_1) | instskip(NEXT) | instid1(VALU_DEP_1)
	v_dual_fma_f32 v40, v38, v32, -v40 :: v_dual_fmac_f32 v33, v39, v32
	v_dual_mul_f32 v32, v39, v35 :: v_dual_add_f32 v24, v24, v40
	s_delay_alu instid0(VALU_DEP_2) | instskip(NEXT) | instid1(VALU_DEP_2)
	v_add_f32_e32 v26, v26, v33
	v_dual_mul_f32 v33, v38, v35 :: v_dual_fma_f32 v32, v38, v34, -v32
	ds_load_2addr_b64 v[40:43], v29 offset0:224 offset1:240
	v_dual_fmac_f32 v33, v39, v34 :: v_dual_add_f32 v20, v20, v32
	s_delay_alu instid0(VALU_DEP_1) | instskip(SKIP_3) | instid1(VALU_DEP_1)
	v_add_f32_e32 v22, v22, v33
	ds_load_2addr_b64 v[32:35], v29 offset0:192 offset1:208
	s_wait_dscnt 0x0
	v_dual_mul_f32 v38, v1, v33 :: v_dual_mul_f32 v39, v0, v33
	v_dual_fma_f32 v38, v0, v32, -v38 :: v_dual_fmac_f32 v39, v1, v32
	s_delay_alu instid0(VALU_DEP_1) | instskip(SKIP_1) | instid1(VALU_DEP_1)
	v_dual_add_f32 v44, v36, v38 :: v_dual_add_f32 v45, v37, v39
	v_mul_f32_e32 v36, v1, v35
	v_dual_fma_f32 v36, v0, v34, -v36 :: v_dual_mul_f32 v0, v0, v35
	s_delay_alu instid0(VALU_DEP_1) | instskip(NEXT) | instid1(VALU_DEP_1)
	v_fmac_f32_e32 v0, v1, v34
	v_add_f32_e32 v0, v30, v0
	s_delay_alu instid0(VALU_DEP_3)
	v_add_f32_e32 v1, v28, v36
	ds_load_b128 v[36:39], v31 offset:1072
	s_wait_dscnt 0x0
	s_barrier_signal -1
	s_barrier_wait -1
	v_dual_mul_f32 v28, v37, v33 :: v_dual_mul_f32 v30, v36, v33
	s_delay_alu instid0(VALU_DEP_1) | instskip(NEXT) | instid1(VALU_DEP_1)
	v_dual_fma_f32 v28, v36, v32, -v28 :: v_dual_fmac_f32 v30, v37, v32
	v_dual_add_f32 v24, v24, v28 :: v_dual_add_f32 v26, v26, v30
	v_dual_mul_f32 v28, v37, v35 :: v_dual_mul_f32 v30, v36, v35
	s_delay_alu instid0(VALU_DEP_1) | instskip(NEXT) | instid1(VALU_DEP_1)
	v_dual_fma_f32 v28, v36, v34, -v28 :: v_dual_fmac_f32 v30, v37, v34
	v_dual_add_f32 v20, v20, v28 :: v_dual_add_f32 v22, v22, v30
	;; [unrolled: 4-line block ×3, first 2 shown]
	v_mul_f32_e32 v28, v3, v43
	s_delay_alu instid0(VALU_DEP_1) | instskip(NEXT) | instid1(VALU_DEP_1)
	v_dual_fma_f32 v28, v2, v42, -v28 :: v_dual_mul_f32 v2, v2, v43
	v_dual_fmac_f32 v2, v3, v42 :: v_dual_add_f32 v28, v1, v28
	s_delay_alu instid0(VALU_DEP_1) | instskip(NEXT) | instid1(VALU_DEP_1)
	v_dual_mul_f32 v1, v38, v41 :: v_dual_add_f32 v30, v0, v2
	v_dual_mul_f32 v0, v39, v41 :: v_dual_fmac_f32 v1, v39, v40
	s_delay_alu instid0(VALU_DEP_1) | instskip(NEXT) | instid1(VALU_DEP_2)
	v_fma_f32 v0, v38, v40, -v0
	v_add_f32_e32 v26, v26, v1
	s_delay_alu instid0(VALU_DEP_2) | instskip(NEXT) | instid1(VALU_DEP_1)
	v_dual_mul_f32 v1, v38, v43 :: v_dual_add_f32 v24, v24, v0
	v_dual_mul_f32 v0, v39, v43 :: v_dual_fmac_f32 v1, v39, v42
	s_delay_alu instid0(VALU_DEP_1) | instskip(NEXT) | instid1(VALU_DEP_1)
	v_fma_f32 v0, v38, v42, -v0
	v_dual_add_f32 v22, v22, v1 :: v_dual_add_f32 v20, v20, v0
	s_cbranch_scc0 .LBB93_13
.LBB93_9:                               ;   Parent Loop BB93_6 Depth=1
                                        ; =>  This Inner Loop Header: Depth=2
	v_dual_mov_b32 v1, 0 :: v_dual_add_nc_u32 v0, s16, v21
	s_delay_alu instid0(VALU_DEP_1) | instskip(SKIP_2) | instid1(SALU_CYCLE_1)
	v_cmp_gt_i32_e32 vcc_lo, s5, v0
	v_mov_b32_e32 v0, 0
	s_and_b32 s26, s0, vcc_lo
	s_and_saveexec_b32 s17, s26
	s_cbranch_execz .LBB93_11
; %bb.10:                               ;   in Loop: Header=BB93_9 Depth=2
	global_load_b64 v[0:1], v[16:17], off
.LBB93_11:                              ;   in Loop: Header=BB93_9 Depth=2
	s_wait_xcnt 0x0
	s_or_b32 exec_lo, exec_lo, s17
	v_dual_mov_b32 v3, 0 :: v_dual_add_nc_u32 v2, s16, v23
	s_wait_loadcnt 0x0
	ds_store_b64 v25, v[0:1]
	v_cmp_gt_i32_e32 vcc_lo, s5, v2
	v_mov_b32_e32 v2, 0
	s_and_b32 s26, vcc_lo, s1
	s_delay_alu instid0(SALU_CYCLE_1)
	s_and_saveexec_b32 s17, s26
	s_cbranch_execz .LBB93_8
; %bb.12:                               ;   in Loop: Header=BB93_9 Depth=2
	global_load_b64 v[2:3], v[18:19], off
	s_branch .LBB93_8
.LBB93_13:                              ;   in Loop: Header=BB93_6 Depth=1
	s_mul_u64 s[16:17], s[24:25], s[22:23]
	s_delay_alu instid0(SALU_CYCLE_1) | instskip(NEXT) | instid1(SALU_CYCLE_1)
	s_lshl_b64 s[16:17], s[16:17], 3
	s_add_nc_u64 s[16:17], s[12:13], s[16:17]
	s_delay_alu instid0(SALU_CYCLE_1)
	v_lshl_add_u64 v[0:1], v[8:9], 3, s[16:17]
	s_and_saveexec_b32 s26, s28
	s_cbranch_execz .LBB93_18
; %bb.14:                               ;   in Loop: Header=BB93_6 Depth=1
	v_mov_b64_e32 v[2:3], s[14:15]
	v_mov_b64_e32 v[16:17], s[6:7]
	s_and_b32 vcc_lo, exec_lo, s18
	s_mov_b32 s27, -1
	s_delay_alu instid0(VALU_DEP_2) | instskip(NEXT) | instid1(VALU_DEP_1)
	v_pk_mul_f32 v[2:3], v[34:35], v[2:3] op_sel_hi:[0,1]
	v_pk_fma_f32 v[18:19], v[32:33], v[16:17], v[2:3] op_sel_hi:[0,1,1]
	v_pk_fma_f32 v[2:3], v[32:33], v[16:17], v[2:3] neg_lo:[0,0,1] neg_hi:[0,0,1]
	v_lshl_add_u64 v[16:17], v[4:5], 3, v[0:1]
	s_delay_alu instid0(VALU_DEP_3)
	v_mov_b32_e32 v3, v19
	s_cbranch_vccz .LBB93_16
; %bb.15:                               ;   in Loop: Header=BB93_6 Depth=1
	global_load_b64 v[18:19], v[16:17], off
	v_mov_b64_e32 v[32:33], s[20:21]
	v_mov_b64_e32 v[34:35], s[2:3]
	s_mov_b32 s27, 0
	s_wait_loadcnt 0x0
	s_delay_alu instid0(VALU_DEP_2) | instskip(NEXT) | instid1(VALU_DEP_1)
	v_pk_mul_f32 v[32:33], v[18:19], v[32:33]
	v_pk_fma_f32 v[36:37], v[18:19], v[34:35], v[32:33] op_sel:[0,0,1] op_sel_hi:[1,1,0]
	v_pk_fma_f32 v[18:19], v[18:19], v[34:35], v[32:33] op_sel:[0,0,1] op_sel_hi:[1,1,0] neg_lo:[0,0,1] neg_hi:[0,0,1]
	s_delay_alu instid0(VALU_DEP_2) | instskip(NEXT) | instid1(VALU_DEP_1)
	v_mov_b32_e32 v19, v37
	v_pk_add_f32 v[18:19], v[2:3], v[18:19]
	global_store_b64 v[16:17], v[18:19], off
.LBB93_16:                              ;   in Loop: Header=BB93_6 Depth=1
	s_and_not1_b32 vcc_lo, exec_lo, s27
	s_cbranch_vccnz .LBB93_18
; %bb.17:                               ;   in Loop: Header=BB93_6 Depth=1
	global_store_b64 v[16:17], v[2:3], off
.LBB93_18:                              ;   in Loop: Header=BB93_6 Depth=1
	s_wait_xcnt 0x0
	s_or_b32 exec_lo, exec_lo, s26
	s_and_saveexec_b32 s26, s29
	s_cbranch_execz .LBB93_23
; %bb.19:                               ;   in Loop: Header=BB93_6 Depth=1
	v_mov_b64_e32 v[2:3], s[14:15]
	v_mov_b64_e32 v[16:17], s[6:7]
	v_lshl_add_u64 v[0:1], v[6:7], 3, v[0:1]
	s_and_not1_b32 vcc_lo, exec_lo, s18
	s_mov_b32 s27, -1
	s_delay_alu instid0(VALU_DEP_3) | instskip(NEXT) | instid1(VALU_DEP_1)
	v_pk_mul_f32 v[2:3], v[30:31], v[2:3] op_sel_hi:[0,1]
	v_pk_fma_f32 v[18:19], v[28:29], v[16:17], v[2:3] op_sel_hi:[0,1,1]
	v_pk_fma_f32 v[2:3], v[28:29], v[16:17], v[2:3] neg_lo:[0,0,1] neg_hi:[0,0,1]
	s_delay_alu instid0(VALU_DEP_2)
	v_mov_b32_e32 v3, v19
	s_cbranch_vccnz .LBB93_21
; %bb.20:                               ;   in Loop: Header=BB93_6 Depth=1
	global_load_b64 v[16:17], v[0:1], off
	v_mov_b64_e32 v[18:19], s[20:21]
	v_mov_b64_e32 v[32:33], s[2:3]
	s_mov_b32 s27, 0
	s_wait_loadcnt 0x0
	s_delay_alu instid0(VALU_DEP_2) | instskip(NEXT) | instid1(VALU_DEP_1)
	v_pk_mul_f32 v[18:19], v[16:17], v[18:19]
	v_pk_fma_f32 v[34:35], v[16:17], v[32:33], v[18:19] op_sel:[0,0,1] op_sel_hi:[1,1,0]
	v_pk_fma_f32 v[16:17], v[16:17], v[32:33], v[18:19] op_sel:[0,0,1] op_sel_hi:[1,1,0] neg_lo:[0,0,1] neg_hi:[0,0,1]
	s_delay_alu instid0(VALU_DEP_2) | instskip(NEXT) | instid1(VALU_DEP_1)
	v_mov_b32_e32 v17, v35
	v_pk_add_f32 v[16:17], v[2:3], v[16:17]
	global_store_b64 v[0:1], v[16:17], off
.LBB93_21:                              ;   in Loop: Header=BB93_6 Depth=1
	s_and_not1_b32 vcc_lo, exec_lo, s27
	s_cbranch_vccnz .LBB93_23
; %bb.22:                               ;   in Loop: Header=BB93_6 Depth=1
	global_store_b64 v[0:1], v[2:3], off
.LBB93_23:                              ;   in Loop: Header=BB93_6 Depth=1
	s_wait_xcnt 0x0
	s_or_b32 exec_lo, exec_lo, s26
	v_lshl_add_u64 v[0:1], v[10:11], 3, s[16:17]
	s_and_saveexec_b32 s16, s4
	s_cbranch_execz .LBB93_28
; %bb.24:                               ;   in Loop: Header=BB93_6 Depth=1
	v_mov_b64_e32 v[2:3], s[14:15]
	v_mov_b64_e32 v[16:17], s[6:7]
	s_and_not1_b32 vcc_lo, exec_lo, s18
	s_mov_b32 s17, -1
	s_delay_alu instid0(VALU_DEP_2) | instskip(NEXT) | instid1(VALU_DEP_1)
	v_pk_mul_f32 v[2:3], v[26:27], v[2:3] op_sel_hi:[0,1]
	v_pk_fma_f32 v[18:19], v[24:25], v[16:17], v[2:3] op_sel_hi:[0,1,1]
	v_pk_fma_f32 v[2:3], v[24:25], v[16:17], v[2:3] neg_lo:[0,0,1] neg_hi:[0,0,1]
	v_lshl_add_u64 v[16:17], v[4:5], 3, v[0:1]
	s_delay_alu instid0(VALU_DEP_3)
	v_mov_b32_e32 v3, v19
	s_cbranch_vccnz .LBB93_26
; %bb.25:                               ;   in Loop: Header=BB93_6 Depth=1
	global_load_b64 v[18:19], v[16:17], off
	v_mov_b64_e32 v[32:33], s[20:21]
	v_mov_b64_e32 v[34:35], s[2:3]
	s_mov_b32 s17, 0
	s_wait_loadcnt 0x0
	s_delay_alu instid0(VALU_DEP_2) | instskip(NEXT) | instid1(VALU_DEP_1)
	v_pk_mul_f32 v[32:33], v[18:19], v[32:33]
	v_pk_fma_f32 v[36:37], v[18:19], v[34:35], v[32:33] op_sel:[0,0,1] op_sel_hi:[1,1,0]
	v_pk_fma_f32 v[18:19], v[18:19], v[34:35], v[32:33] op_sel:[0,0,1] op_sel_hi:[1,1,0] neg_lo:[0,0,1] neg_hi:[0,0,1]
	s_delay_alu instid0(VALU_DEP_2) | instskip(NEXT) | instid1(VALU_DEP_1)
	v_mov_b32_e32 v19, v37
	v_pk_add_f32 v[18:19], v[2:3], v[18:19]
	global_store_b64 v[16:17], v[18:19], off
.LBB93_26:                              ;   in Loop: Header=BB93_6 Depth=1
	s_and_not1_b32 vcc_lo, exec_lo, s17
	s_cbranch_vccnz .LBB93_28
; %bb.27:                               ;   in Loop: Header=BB93_6 Depth=1
	global_store_b64 v[16:17], v[2:3], off
.LBB93_28:                              ;   in Loop: Header=BB93_6 Depth=1
	s_wait_xcnt 0x0
	s_or_b32 exec_lo, exec_lo, s16
	s_and_saveexec_b32 s16, s30
	s_cbranch_execz .LBB93_5
; %bb.29:                               ;   in Loop: Header=BB93_6 Depth=1
	v_mov_b64_e32 v[2:3], s[14:15]
	v_mov_b64_e32 v[16:17], s[6:7]
	v_lshl_add_u64 v[0:1], v[6:7], 3, v[0:1]
	s_and_not1_b32 vcc_lo, exec_lo, s18
	s_mov_b32 s17, -1
	s_delay_alu instid0(VALU_DEP_3) | instskip(NEXT) | instid1(VALU_DEP_1)
	v_pk_mul_f32 v[2:3], v[22:23], v[2:3] op_sel_hi:[0,1]
	v_pk_fma_f32 v[18:19], v[20:21], v[16:17], v[2:3] op_sel_hi:[0,1,1]
	v_pk_fma_f32 v[2:3], v[20:21], v[16:17], v[2:3] neg_lo:[0,0,1] neg_hi:[0,0,1]
	s_delay_alu instid0(VALU_DEP_2)
	v_mov_b32_e32 v3, v19
	s_cbranch_vccnz .LBB93_31
; %bb.30:                               ;   in Loop: Header=BB93_6 Depth=1
	global_load_b64 v[16:17], v[0:1], off
	v_mov_b64_e32 v[18:19], s[20:21]
	v_mov_b64_e32 v[32:33], s[2:3]
	s_mov_b32 s17, 0
	s_wait_loadcnt 0x0
	s_delay_alu instid0(VALU_DEP_2) | instskip(NEXT) | instid1(VALU_DEP_1)
	v_pk_mul_f32 v[18:19], v[16:17], v[18:19]
	v_pk_fma_f32 v[34:35], v[16:17], v[32:33], v[18:19] op_sel:[0,0,1] op_sel_hi:[1,1,0]
	v_pk_fma_f32 v[16:17], v[16:17], v[32:33], v[18:19] op_sel:[0,0,1] op_sel_hi:[1,1,0] neg_lo:[0,0,1] neg_hi:[0,0,1]
	s_delay_alu instid0(VALU_DEP_2) | instskip(NEXT) | instid1(VALU_DEP_1)
	v_mov_b32_e32 v17, v35
	v_pk_add_f32 v[16:17], v[2:3], v[16:17]
	global_store_b64 v[0:1], v[16:17], off
.LBB93_31:                              ;   in Loop: Header=BB93_6 Depth=1
	s_and_not1_b32 vcc_lo, exec_lo, s17
	s_cbranch_vccnz .LBB93_5
; %bb.32:                               ;   in Loop: Header=BB93_6 Depth=1
	global_store_b64 v[0:1], v[2:3], off
	s_branch .LBB93_5
.LBB93_33:
	s_endpgm
	.section	.rodata,"a",@progbits
	.p2align	6, 0x0
	.amdhsa_kernel _ZL29rocblas_internal_gemmt_kernelIiLi16ELi32ELi8ELc84ELc78ELc85ELb0ELb0E19rocblas_complex_numIfES1_PKS1_PS1_EviT_T9_T10_S5_lS7_S5_lS6_T11_S5_li
		.amdhsa_group_segment_fixed_size 4096
		.amdhsa_private_segment_fixed_size 0
		.amdhsa_kernarg_size 100
		.amdhsa_user_sgpr_count 2
		.amdhsa_user_sgpr_dispatch_ptr 0
		.amdhsa_user_sgpr_queue_ptr 0
		.amdhsa_user_sgpr_kernarg_segment_ptr 1
		.amdhsa_user_sgpr_dispatch_id 0
		.amdhsa_user_sgpr_kernarg_preload_length 0
		.amdhsa_user_sgpr_kernarg_preload_offset 0
		.amdhsa_user_sgpr_private_segment_size 0
		.amdhsa_wavefront_size32 1
		.amdhsa_uses_dynamic_stack 0
		.amdhsa_enable_private_segment 0
		.amdhsa_system_sgpr_workgroup_id_x 1
		.amdhsa_system_sgpr_workgroup_id_y 1
		.amdhsa_system_sgpr_workgroup_id_z 1
		.amdhsa_system_sgpr_workgroup_info 0
		.amdhsa_system_vgpr_workitem_id 1
		.amdhsa_next_free_vgpr 54
		.amdhsa_next_free_sgpr 35
		.amdhsa_named_barrier_count 0
		.amdhsa_reserve_vcc 1
		.amdhsa_float_round_mode_32 0
		.amdhsa_float_round_mode_16_64 0
		.amdhsa_float_denorm_mode_32 3
		.amdhsa_float_denorm_mode_16_64 3
		.amdhsa_fp16_overflow 0
		.amdhsa_memory_ordered 1
		.amdhsa_forward_progress 1
		.amdhsa_inst_pref_size 25
		.amdhsa_round_robin_scheduling 0
		.amdhsa_exception_fp_ieee_invalid_op 0
		.amdhsa_exception_fp_denorm_src 0
		.amdhsa_exception_fp_ieee_div_zero 0
		.amdhsa_exception_fp_ieee_overflow 0
		.amdhsa_exception_fp_ieee_underflow 0
		.amdhsa_exception_fp_ieee_inexact 0
		.amdhsa_exception_int_div_zero 0
	.end_amdhsa_kernel
	.section	.text._ZL29rocblas_internal_gemmt_kernelIiLi16ELi32ELi8ELc84ELc78ELc85ELb0ELb0E19rocblas_complex_numIfES1_PKS1_PS1_EviT_T9_T10_S5_lS7_S5_lS6_T11_S5_li,"axG",@progbits,_ZL29rocblas_internal_gemmt_kernelIiLi16ELi32ELi8ELc84ELc78ELc85ELb0ELb0E19rocblas_complex_numIfES1_PKS1_PS1_EviT_T9_T10_S5_lS7_S5_lS6_T11_S5_li,comdat
.Lfunc_end93:
	.size	_ZL29rocblas_internal_gemmt_kernelIiLi16ELi32ELi8ELc84ELc78ELc85ELb0ELb0E19rocblas_complex_numIfES1_PKS1_PS1_EviT_T9_T10_S5_lS7_S5_lS6_T11_S5_li, .Lfunc_end93-_ZL29rocblas_internal_gemmt_kernelIiLi16ELi32ELi8ELc84ELc78ELc85ELb0ELb0E19rocblas_complex_numIfES1_PKS1_PS1_EviT_T9_T10_S5_lS7_S5_lS6_T11_S5_li
                                        ; -- End function
	.set _ZL29rocblas_internal_gemmt_kernelIiLi16ELi32ELi8ELc84ELc78ELc85ELb0ELb0E19rocblas_complex_numIfES1_PKS1_PS1_EviT_T9_T10_S5_lS7_S5_lS6_T11_S5_li.num_vgpr, 54
	.set _ZL29rocblas_internal_gemmt_kernelIiLi16ELi32ELi8ELc84ELc78ELc85ELb0ELb0E19rocblas_complex_numIfES1_PKS1_PS1_EviT_T9_T10_S5_lS7_S5_lS6_T11_S5_li.num_agpr, 0
	.set _ZL29rocblas_internal_gemmt_kernelIiLi16ELi32ELi8ELc84ELc78ELc85ELb0ELb0E19rocblas_complex_numIfES1_PKS1_PS1_EviT_T9_T10_S5_lS7_S5_lS6_T11_S5_li.numbered_sgpr, 35
	.set _ZL29rocblas_internal_gemmt_kernelIiLi16ELi32ELi8ELc84ELc78ELc85ELb0ELb0E19rocblas_complex_numIfES1_PKS1_PS1_EviT_T9_T10_S5_lS7_S5_lS6_T11_S5_li.num_named_barrier, 0
	.set _ZL29rocblas_internal_gemmt_kernelIiLi16ELi32ELi8ELc84ELc78ELc85ELb0ELb0E19rocblas_complex_numIfES1_PKS1_PS1_EviT_T9_T10_S5_lS7_S5_lS6_T11_S5_li.private_seg_size, 0
	.set _ZL29rocblas_internal_gemmt_kernelIiLi16ELi32ELi8ELc84ELc78ELc85ELb0ELb0E19rocblas_complex_numIfES1_PKS1_PS1_EviT_T9_T10_S5_lS7_S5_lS6_T11_S5_li.uses_vcc, 1
	.set _ZL29rocblas_internal_gemmt_kernelIiLi16ELi32ELi8ELc84ELc78ELc85ELb0ELb0E19rocblas_complex_numIfES1_PKS1_PS1_EviT_T9_T10_S5_lS7_S5_lS6_T11_S5_li.uses_flat_scratch, 0
	.set _ZL29rocblas_internal_gemmt_kernelIiLi16ELi32ELi8ELc84ELc78ELc85ELb0ELb0E19rocblas_complex_numIfES1_PKS1_PS1_EviT_T9_T10_S5_lS7_S5_lS6_T11_S5_li.has_dyn_sized_stack, 0
	.set _ZL29rocblas_internal_gemmt_kernelIiLi16ELi32ELi8ELc84ELc78ELc85ELb0ELb0E19rocblas_complex_numIfES1_PKS1_PS1_EviT_T9_T10_S5_lS7_S5_lS6_T11_S5_li.has_recursion, 0
	.set _ZL29rocblas_internal_gemmt_kernelIiLi16ELi32ELi8ELc84ELc78ELc85ELb0ELb0E19rocblas_complex_numIfES1_PKS1_PS1_EviT_T9_T10_S5_lS7_S5_lS6_T11_S5_li.has_indirect_call, 0
	.section	.AMDGPU.csdata,"",@progbits
; Kernel info:
; codeLenInByte = 3172
; TotalNumSgprs: 37
; NumVgprs: 54
; ScratchSize: 0
; MemoryBound: 0
; FloatMode: 240
; IeeeMode: 1
; LDSByteSize: 4096 bytes/workgroup (compile time only)
; SGPRBlocks: 0
; VGPRBlocks: 3
; NumSGPRsForWavesPerEU: 37
; NumVGPRsForWavesPerEU: 54
; NamedBarCnt: 0
; Occupancy: 16
; WaveLimiterHint : 0
; COMPUTE_PGM_RSRC2:SCRATCH_EN: 0
; COMPUTE_PGM_RSRC2:USER_SGPR: 2
; COMPUTE_PGM_RSRC2:TRAP_HANDLER: 0
; COMPUTE_PGM_RSRC2:TGID_X_EN: 1
; COMPUTE_PGM_RSRC2:TGID_Y_EN: 1
; COMPUTE_PGM_RSRC2:TGID_Z_EN: 1
; COMPUTE_PGM_RSRC2:TIDIG_COMP_CNT: 1
	.section	.text._ZL29rocblas_internal_gemmt_kernelIiLi16ELi32ELi8ELc84ELc84ELc85ELb0ELb0E19rocblas_complex_numIfES1_PKS1_PS1_EviT_T9_T10_S5_lS7_S5_lS6_T11_S5_li,"axG",@progbits,_ZL29rocblas_internal_gemmt_kernelIiLi16ELi32ELi8ELc84ELc84ELc85ELb0ELb0E19rocblas_complex_numIfES1_PKS1_PS1_EviT_T9_T10_S5_lS7_S5_lS6_T11_S5_li,comdat
	.globl	_ZL29rocblas_internal_gemmt_kernelIiLi16ELi32ELi8ELc84ELc84ELc85ELb0ELb0E19rocblas_complex_numIfES1_PKS1_PS1_EviT_T9_T10_S5_lS7_S5_lS6_T11_S5_li ; -- Begin function _ZL29rocblas_internal_gemmt_kernelIiLi16ELi32ELi8ELc84ELc84ELc85ELb0ELb0E19rocblas_complex_numIfES1_PKS1_PS1_EviT_T9_T10_S5_lS7_S5_lS6_T11_S5_li
	.p2align	8
	.type	_ZL29rocblas_internal_gemmt_kernelIiLi16ELi32ELi8ELc84ELc84ELc85ELb0ELb0E19rocblas_complex_numIfES1_PKS1_PS1_EviT_T9_T10_S5_lS7_S5_lS6_T11_S5_li,@function
_ZL29rocblas_internal_gemmt_kernelIiLi16ELi32ELi8ELc84ELc84ELc85ELb0ELb0E19rocblas_complex_numIfES1_PKS1_PS1_EviT_T9_T10_S5_lS7_S5_lS6_T11_S5_li: ; @_ZL29rocblas_internal_gemmt_kernelIiLi16ELi32ELi8ELc84ELc84ELc85ELb0ELb0E19rocblas_complex_numIfES1_PKS1_PS1_EviT_T9_T10_S5_lS7_S5_lS6_T11_S5_li
; %bb.0:
	s_clause 0x1
	s_load_b64 s[20:21], s[0:1], 0x40
	s_load_b128 s[4:7], s[0:1], 0x0
	s_wait_kmcnt 0x0
	s_cmp_neq_f32 s20, 1.0
	s_cselect_b32 s2, -1, 0
	s_and_b32 s3, s21, 0x7fffffff
	s_delay_alu instid0(SALU_CYCLE_1) | instskip(SKIP_3) | instid1(SALU_CYCLE_1)
	s_cmp_eq_u32 s3, 0
	s_cselect_b32 s15, -1, 0
	s_cmp_lg_u32 s3, 0
	s_cselect_b32 s3, -1, 0
	s_or_b32 s2, s2, s3
	s_delay_alu instid0(SALU_CYCLE_1)
	s_and_b32 vcc_lo, exec_lo, s2
	s_cbranch_vccnz .LBB94_2
; %bb.1:
	s_cmp_lg_u32 s5, 0
	s_cselect_b32 s2, -1, 0
	s_cmp_neq_f32 s6, 0
	s_cselect_b32 s3, -1, 0
	s_cmp_neq_f32 s7, 0
	s_cselect_b32 s8, -1, 0
	s_delay_alu instid0(SALU_CYCLE_1) | instskip(NEXT) | instid1(SALU_CYCLE_1)
	s_or_b32 s3, s3, s8
	s_and_b32 s2, s2, s3
.LBB94_2:
	s_delay_alu instid0(SALU_CYCLE_1)
	s_and_not1_b32 vcc_lo, exec_lo, s2
	s_cbranch_vccnz .LBB94_33
; %bb.3:
	s_load_b32 s30, s[0:1], 0x60
	s_bfe_u32 s2, ttmp6, 0x40014
	s_lshr_b32 s3, ttmp7, 16
	s_add_co_i32 s2, s2, 1
	s_bfe_u32 s9, ttmp6, 0x40008
	s_mul_i32 s8, s3, s2
	s_getreg_b32 s2, hwreg(HW_REG_IB_STS2, 6, 4)
	s_add_co_i32 s9, s9, s8
	s_cmp_eq_u32 s2, 0
	s_mov_b32 s23, 0
	s_cselect_b32 s22, s3, s9
	s_wait_kmcnt 0x0
	s_cmp_ge_u32 s22, s30
	s_cbranch_scc1 .LBB94_33
; %bb.4:
	s_clause 0x2
	s_load_b96 s[16:18], s[0:1], 0x10
	s_load_b32 s26, s[0:1], 0x30
	s_load_b96 s[12:14], s[0:1], 0x48
	v_and_b32_e32 v6, 0x3ff, v0
	v_bfe_u32 v7, v0, 10, 10
	s_clause 0x2
	s_load_b128 s[8:11], s[0:1], 0x20
	s_load_b64 s[28:29], s[0:1], 0x38
	s_load_b64 s[24:25], s[0:1], 0x58
	s_wait_xcnt 0x0
	s_bfe_u32 s1, ttmp6, 0x4000c
	s_bfe_u32 s3, ttmp6, 0x40010
	s_and_b32 s31, ttmp7, 0xffff
	s_add_co_i32 s1, s1, 1
	s_add_co_i32 s3, s3, 1
	v_lshl_add_u32 v1, v7, 4, v6
	s_and_b32 s0, ttmp6, 15
	s_bfe_u32 s33, ttmp6, 0x40004
	s_mul_i32 s1, ttmp9, s1
	s_mul_i32 s34, s31, s3
	s_add_co_i32 s0, s0, s1
	s_add_co_i32 s33, s33, s34
	v_dual_lshrrev_b32 v23, 5, v1 :: v_dual_bitop2_b32 v4, 7, v0 bitop3:0x40
	s_wait_kmcnt 0x0
	s_ashr_i32 s19, s18, 31
	s_ashr_i32 s27, s26, 31
	;; [unrolled: 1-line block ×3, first 2 shown]
	s_cmp_eq_u32 s2, 0
	v_dual_lshrrev_b32 v3, 3, v1 :: v_dual_bitop2_b32 v1, 31, v1 bitop3:0x40
	s_cselect_b32 s0, ttmp9, s0
	s_cselect_b32 s1, s31, s33
	s_lshl_b32 s31, s0, 5
	s_lshl_b32 s33, s1, 5
	s_cmp_neq_f32 s6, 0
	v_dual_add_nc_u32 v2, s33, v3 :: v_dual_bitop2_b32 v0, s31, v1 bitop3:0x54
	v_dual_lshlrev_b32 v1, 3, v1 :: v_dual_lshlrev_b32 v5, 3, v4
	v_mov_b32_e32 v15, 0
	s_cselect_b32 s0, -1, 0
	s_cmp_neq_f32 s7, 0
	s_delay_alu instid0(VALU_DEP_2) | instskip(SKIP_4) | instid1(VALU_DEP_3)
	v_lshl_or_b32 v25, v23, 8, v1
	v_lshl_or_b32 v3, v3, 6, v5
	v_dual_ashrrev_i32 v1, 31, v0 :: v_dual_mov_b32 v5, v15
	v_add_nc_u32_e32 v16, s33, v7
	s_cselect_b32 s1, -1, 0
	v_add_nc_u32_e32 v27, 0x800, v3
	s_or_b32 s36, s0, s1
	v_cmp_gt_i32_e64 s0, s4, v0
	v_mul_u64_e32 v[0:1], s[18:19], v[0:1]
	v_mul_u64_e32 v[18:19], s[26:27], v[4:5]
	v_dual_ashrrev_i32 v3, 31, v2 :: v_dual_add_nc_u32 v20, 16, v16
	v_dual_lshlrev_b32 v5, 3, v6 :: v_dual_add_nc_u32 v6, s31, v6
	v_ashrrev_i32_e32 v17, 31, v16
	s_mov_b32 s2, s14
	s_delay_alu instid0(VALU_DEP_3)
	v_ashrrev_i32_e32 v21, 31, v20
	v_lshl_add_u32 v29, v7, 6, 0x800
	v_add_nc_u32_e32 v8, 16, v6
	v_mul_u64_e32 v[10:11], s[2:3], v[16:17]
	v_ashrrev_i32_e32 v7, 31, v6
	v_mul_u64_e32 v[12:13], s[2:3], v[20:21]
	v_cmp_gt_i32_e64 s1, s4, v2
	v_lshlrev_b64_e32 v[2:3], 3, v[2:3]
	v_dual_ashrrev_i32 v9, 31, v8 :: v_dual_lshlrev_b32 v14, 3, v23
	s_cmp_gt_i32 s5, 0
	v_cmp_gt_i32_e32 vcc_lo, s4, v16
	v_cmp_le_i32_e64 s2, v6, v16
	v_cmp_le_i32_e64 s3, v8, v16
	s_cselect_b32 s37, -1, 0
	s_cmp_neq_f32 s20, 0
	s_cselect_b32 s14, -1, 0
	s_and_b32 s33, vcc_lo, s2
	s_and_b32 s34, vcc_lo, s3
	v_cmp_gt_i32_e32 vcc_lo, s4, v20
	v_cmp_le_i32_e64 s2, v6, v20
	v_lshl_add_u64 v[0:1], v[0:1], 3, v[14:15]
	v_lshl_add_u64 v[2:3], v[18:19], 3, v[2:3]
	v_cmp_le_i32_e64 s3, v8, v20
	s_xor_b32 s15, s15, -1
	s_and_b32 s4, vcc_lo, s2
	v_add_nc_u64_e32 v[14:15], s[16:17], v[0:1]
	v_add_nc_u64_e32 v[16:17], s[10:11], v[2:3]
	s_or_b32 s31, s14, s15
	s_and_b32 s35, vcc_lo, s3
	s_mov_b32 s2, s20
	s_mov_b32 s3, s20
	;; [unrolled: 1-line block ×5, first 2 shown]
	s_and_b32 s36, s36, s37
	s_lshl_b64 s[8:9], s[8:9], 3
	s_lshl_b64 s[10:11], s[28:29], 3
	;; [unrolled: 1-line block ×3, first 2 shown]
	s_branch .LBB94_6
.LBB94_5:                               ;   in Loop: Header=BB94_6 Depth=1
	s_wait_xcnt 0x0
	s_or_b32 exec_lo, exec_lo, s18
	s_add_co_i32 s22, s22, 0x10000
	s_delay_alu instid0(SALU_CYCLE_1)
	s_cmp_lt_u32 s22, s30
	s_cbranch_scc0 .LBB94_33
.LBB94_6:                               ; =>This Loop Header: Depth=1
                                        ;     Child Loop BB94_9 Depth 2
	v_dual_mov_b32 v34, 0 :: v_dual_mov_b32 v36, 0
	v_dual_mov_b32 v30, 0 :: v_dual_mov_b32 v32, 0
	;; [unrolled: 1-line block ×4, first 2 shown]
	s_and_not1_b32 vcc_lo, exec_lo, s36
	s_cbranch_vccnz .LBB94_13
; %bb.7:                                ;   in Loop: Header=BB94_6 Depth=1
	v_mad_nc_u64_u32 v[18:19], s8, s22, v[14:15]
	v_mad_nc_u64_u32 v[20:21], s10, s22, v[16:17]
	v_dual_mov_b32 v24, 0 :: v_dual_mov_b32 v22, 0
	v_dual_mov_b32 v28, 0 :: v_dual_mov_b32 v26, 0
	v_dual_mov_b32 v32, 0 :: v_dual_mov_b32 v30, 0
	v_dual_mov_b32 v36, 0 :: v_dual_mov_b32 v34, 0
	s_mov_b32 s18, 0
	v_mad_u32 v19, s9, s22, v19
	v_mad_u32 v21, s11, s22, v21
	s_branch .LBB94_9
.LBB94_8:                               ;   in Loop: Header=BB94_9 Depth=2
	s_wait_xcnt 0x0
	s_or_b32 exec_lo, exec_lo, s19
	s_wait_loadcnt 0x0
	ds_store_b64 v27, v[2:3]
	s_wait_dscnt 0x0
	s_barrier_signal -1
	s_barrier_wait -1
	ds_load_b128 v[38:41], v29
	ds_load_b128 v[42:45], v29 offset:16
	ds_load_b128 v[46:49], v29 offset:32
	;; [unrolled: 1-line block ×3, first 2 shown]
	ds_load_2addr_b64 v[50:53], v5 offset1:16
	v_add_nc_u64_e32 v[18:19], 64, v[18:19]
	v_add_nc_u64_e32 v[20:21], s[16:17], v[20:21]
	s_add_co_i32 s18, s18, 8
	s_delay_alu instid0(SALU_CYCLE_1) | instskip(SKIP_2) | instid1(VALU_DEP_1)
	s_cmp_lt_i32 s18, s5
	s_wait_dscnt 0x0
	v_dual_mul_f32 v31, v39, v51 :: v_dual_mul_f32 v33, v38, v51
	v_dual_fma_f32 v31, v38, v50, -v31 :: v_dual_fmac_f32 v33, v39, v50
	s_delay_alu instid0(VALU_DEP_1) | instskip(SKIP_1) | instid1(VALU_DEP_1)
	v_dual_add_f32 v54, v34, v31 :: v_dual_add_f32 v55, v36, v33
	v_dual_mul_f32 v31, v39, v53 :: v_dual_mul_f32 v33, v38, v53
	v_dual_fma_f32 v31, v38, v52, -v31 :: v_dual_fmac_f32 v33, v39, v52
	s_delay_alu instid0(VALU_DEP_1) | instskip(SKIP_3) | instid1(VALU_DEP_1)
	v_dual_add_f32 v38, v30, v31 :: v_dual_add_f32 v39, v32, v33
	ds_load_b128 v[30:33], v29 offset:1024
	s_wait_dscnt 0x0
	v_dual_mul_f32 v34, v31, v51 :: v_dual_mul_f32 v35, v30, v51
	v_dual_fma_f32 v34, v30, v50, -v34 :: v_dual_fmac_f32 v35, v31, v50
	s_delay_alu instid0(VALU_DEP_1) | instskip(SKIP_1) | instid1(VALU_DEP_1)
	v_dual_add_f32 v26, v26, v34 :: v_dual_add_f32 v28, v28, v35
	v_mul_f32_e32 v34, v31, v53
	v_dual_fma_f32 v34, v30, v52, -v34 :: v_dual_mul_f32 v30, v30, v53
	s_delay_alu instid0(VALU_DEP_1) | instskip(NEXT) | instid1(VALU_DEP_1)
	v_fmac_f32_e32 v30, v31, v52
	v_add_f32_e32 v24, v24, v30
	s_delay_alu instid0(VALU_DEP_3) | instskip(SKIP_3) | instid1(VALU_DEP_1)
	v_add_f32_e32 v22, v22, v34
	ds_load_2addr_b64 v[34:37], v5 offset0:32 offset1:48
	s_wait_dscnt 0x0
	v_dual_mul_f32 v30, v41, v35 :: v_dual_mul_f32 v31, v40, v35
	v_dual_fma_f32 v30, v40, v34, -v30 :: v_dual_fmac_f32 v31, v41, v34
	s_delay_alu instid0(VALU_DEP_1) | instskip(SKIP_1) | instid1(VALU_DEP_1)
	v_dual_add_f32 v50, v54, v30 :: v_dual_add_f32 v51, v55, v31
	v_dual_mul_f32 v30, v41, v37 :: v_dual_mul_f32 v31, v40, v37
	v_dual_fma_f32 v30, v40, v36, -v30 :: v_dual_fmac_f32 v31, v41, v36
	s_delay_alu instid0(VALU_DEP_1) | instskip(SKIP_1) | instid1(VALU_DEP_1)
	v_dual_add_f32 v38, v38, v30 :: v_dual_add_f32 v39, v39, v31
	;; [unrolled: 4-line block ×3, first 2 shown]
	v_dual_mul_f32 v30, v33, v37 :: v_dual_mul_f32 v31, v32, v37
	v_dual_fma_f32 v30, v32, v36, -v30 :: v_dual_fmac_f32 v31, v33, v36
	s_delay_alu instid0(VALU_DEP_1) | instskip(SKIP_3) | instid1(VALU_DEP_1)
	v_dual_add_f32 v22, v22, v30 :: v_dual_add_f32 v24, v24, v31
	ds_load_2addr_b64 v[30:33], v5 offset0:64 offset1:80
	s_wait_dscnt 0x0
	v_dual_mul_f32 v34, v43, v31 :: v_dual_mul_f32 v35, v42, v31
	v_dual_fma_f32 v34, v42, v30, -v34 :: v_dual_fmac_f32 v35, v43, v30
	s_delay_alu instid0(VALU_DEP_1) | instskip(SKIP_1) | instid1(VALU_DEP_1)
	v_dual_add_f32 v40, v50, v34 :: v_dual_add_f32 v41, v51, v35
	v_dual_mul_f32 v34, v43, v33 :: v_dual_mul_f32 v35, v42, v33
	v_dual_fma_f32 v34, v42, v32, -v34 :: v_dual_fmac_f32 v35, v43, v32
	s_delay_alu instid0(VALU_DEP_1) | instskip(SKIP_3) | instid1(VALU_DEP_1)
	v_dual_add_f32 v38, v38, v34 :: v_dual_add_f32 v39, v39, v35
	ds_load_b128 v[34:37], v29 offset:1040
	s_wait_dscnt 0x0
	v_dual_mul_f32 v42, v35, v31 :: v_dual_mul_f32 v31, v34, v31
	v_dual_fma_f32 v42, v34, v30, -v42 :: v_dual_fmac_f32 v31, v35, v30
	s_delay_alu instid0(VALU_DEP_1) | instskip(NEXT) | instid1(VALU_DEP_2)
	v_dual_mul_f32 v30, v35, v33 :: v_dual_add_f32 v26, v26, v42
	v_dual_add_f32 v28, v28, v31 :: v_dual_mul_f32 v31, v34, v33
	s_delay_alu instid0(VALU_DEP_1) | instskip(NEXT) | instid1(VALU_DEP_1)
	v_dual_fma_f32 v30, v34, v32, -v30 :: v_dual_fmac_f32 v31, v35, v32
	v_dual_add_f32 v22, v22, v30 :: v_dual_add_f32 v24, v24, v31
	ds_load_2addr_b64 v[30:33], v5 offset0:96 offset1:112
	s_wait_dscnt 0x0
	v_dual_mul_f32 v34, v45, v31 :: v_dual_mul_f32 v35, v44, v31
	s_delay_alu instid0(VALU_DEP_1) | instskip(NEXT) | instid1(VALU_DEP_1)
	v_dual_fma_f32 v34, v44, v30, -v34 :: v_dual_fmac_f32 v35, v45, v30
	v_dual_add_f32 v34, v40, v34 :: v_dual_add_f32 v35, v41, v35
	v_dual_mul_f32 v40, v45, v33 :: v_dual_mul_f32 v41, v44, v33
	s_delay_alu instid0(VALU_DEP_1) | instskip(NEXT) | instid1(VALU_DEP_1)
	v_dual_fma_f32 v40, v44, v32, -v40 :: v_dual_fmac_f32 v41, v45, v32
	v_dual_add_f32 v38, v38, v40 :: v_dual_add_f32 v39, v39, v41
	v_dual_mul_f32 v40, v37, v31 :: v_dual_mul_f32 v31, v36, v31
	s_delay_alu instid0(VALU_DEP_1) | instskip(NEXT) | instid1(VALU_DEP_1)
	v_dual_fma_f32 v40, v36, v30, -v40 :: v_dual_fmac_f32 v31, v37, v30
	v_dual_mul_f32 v30, v37, v33 :: v_dual_add_f32 v26, v26, v40
	s_delay_alu instid0(VALU_DEP_2) | instskip(NEXT) | instid1(VALU_DEP_2)
	v_add_f32_e32 v28, v28, v31
	v_dual_mul_f32 v31, v36, v33 :: v_dual_fma_f32 v30, v36, v32, -v30
	s_delay_alu instid0(VALU_DEP_1) | instskip(NEXT) | instid1(VALU_DEP_1)
	v_dual_fmac_f32 v31, v37, v32 :: v_dual_add_f32 v22, v22, v30
	v_add_f32_e32 v24, v24, v31
	ds_load_2addr_b64 v[30:33], v5 offset0:128 offset1:144
	s_wait_dscnt 0x0
	v_dual_mul_f32 v36, v47, v31 :: v_dual_mul_f32 v37, v46, v31
	s_delay_alu instid0(VALU_DEP_1) | instskip(NEXT) | instid1(VALU_DEP_1)
	v_dual_fma_f32 v36, v46, v30, -v36 :: v_dual_fmac_f32 v37, v47, v30
	v_dual_add_f32 v40, v34, v36 :: v_dual_add_f32 v41, v35, v37
	v_dual_mul_f32 v34, v47, v33 :: v_dual_mul_f32 v35, v46, v33
	s_delay_alu instid0(VALU_DEP_1) | instskip(NEXT) | instid1(VALU_DEP_1)
	v_dual_fma_f32 v34, v46, v32, -v34 :: v_dual_fmac_f32 v35, v47, v32
	v_dual_add_f32 v38, v38, v34 :: v_dual_add_f32 v39, v39, v35
	ds_load_b128 v[34:37], v29 offset:1056
	s_wait_dscnt 0x0
	v_dual_mul_f32 v42, v35, v31 :: v_dual_mul_f32 v31, v34, v31
	s_delay_alu instid0(VALU_DEP_1) | instskip(NEXT) | instid1(VALU_DEP_1)
	v_dual_fma_f32 v42, v34, v30, -v42 :: v_dual_fmac_f32 v31, v35, v30
	v_dual_mul_f32 v30, v35, v33 :: v_dual_add_f32 v26, v26, v42
	s_delay_alu instid0(VALU_DEP_2) | instskip(NEXT) | instid1(VALU_DEP_1)
	v_dual_add_f32 v28, v28, v31 :: v_dual_mul_f32 v31, v34, v33
	v_dual_fma_f32 v30, v34, v32, -v30 :: v_dual_fmac_f32 v31, v35, v32
	s_delay_alu instid0(VALU_DEP_1) | instskip(SKIP_3) | instid1(VALU_DEP_1)
	v_dual_add_f32 v22, v22, v30 :: v_dual_add_f32 v24, v24, v31
	ds_load_2addr_b64 v[30:33], v5 offset0:160 offset1:176
	s_wait_dscnt 0x0
	v_dual_mul_f32 v34, v49, v31 :: v_dual_mul_f32 v35, v48, v31
	v_dual_fma_f32 v34, v48, v30, -v34 :: v_dual_fmac_f32 v35, v49, v30
	s_delay_alu instid0(VALU_DEP_1) | instskip(SKIP_1) | instid1(VALU_DEP_1)
	v_dual_add_f32 v34, v40, v34 :: v_dual_add_f32 v35, v41, v35
	v_dual_mul_f32 v40, v49, v33 :: v_dual_mul_f32 v41, v48, v33
	v_dual_fma_f32 v40, v48, v32, -v40 :: v_dual_fmac_f32 v41, v49, v32
	s_delay_alu instid0(VALU_DEP_1) | instskip(SKIP_1) | instid1(VALU_DEP_1)
	v_dual_add_f32 v38, v38, v40 :: v_dual_add_f32 v39, v39, v41
	v_dual_mul_f32 v40, v37, v31 :: v_dual_mul_f32 v31, v36, v31
	v_dual_fma_f32 v40, v36, v30, -v40 :: v_dual_fmac_f32 v31, v37, v30
	s_delay_alu instid0(VALU_DEP_1) | instskip(NEXT) | instid1(VALU_DEP_2)
	v_dual_mul_f32 v30, v37, v33 :: v_dual_add_f32 v26, v26, v40
	v_add_f32_e32 v28, v28, v31
	s_delay_alu instid0(VALU_DEP_2) | instskip(NEXT) | instid1(VALU_DEP_1)
	v_dual_mul_f32 v31, v36, v33 :: v_dual_fma_f32 v30, v36, v32, -v30
	v_dual_fmac_f32 v31, v37, v32 :: v_dual_add_f32 v22, v22, v30
	s_delay_alu instid0(VALU_DEP_1) | instskip(SKIP_3) | instid1(VALU_DEP_1)
	v_add_f32_e32 v24, v24, v31
	ds_load_2addr_b64 v[30:33], v5 offset0:192 offset1:208
	s_wait_dscnt 0x0
	v_dual_mul_f32 v36, v1, v31 :: v_dual_mul_f32 v37, v0, v31
	v_dual_fma_f32 v36, v0, v30, -v36 :: v_dual_fmac_f32 v37, v1, v30
	s_delay_alu instid0(VALU_DEP_1) | instskip(SKIP_1) | instid1(VALU_DEP_1)
	v_dual_add_f32 v34, v34, v36 :: v_dual_add_f32 v35, v35, v37
	v_mul_f32_e32 v36, v1, v33
	v_dual_fma_f32 v36, v0, v32, -v36 :: v_dual_mul_f32 v0, v0, v33
	s_delay_alu instid0(VALU_DEP_1) | instskip(NEXT) | instid1(VALU_DEP_2)
	v_fmac_f32_e32 v0, v1, v32
	v_add_f32_e32 v1, v38, v36
	s_delay_alu instid0(VALU_DEP_2) | instskip(SKIP_3) | instid1(VALU_DEP_1)
	v_add_f32_e32 v0, v39, v0
	ds_load_b128 v[36:39], v29 offset:1072
	s_wait_dscnt 0x0
	v_dual_mul_f32 v40, v37, v31 :: v_dual_mul_f32 v31, v36, v31
	v_dual_fma_f32 v40, v36, v30, -v40 :: v_dual_fmac_f32 v31, v37, v30
	s_delay_alu instid0(VALU_DEP_1) | instskip(NEXT) | instid1(VALU_DEP_2)
	v_dual_mul_f32 v30, v37, v33 :: v_dual_add_f32 v26, v26, v40
	v_add_f32_e32 v28, v28, v31
	ds_load_2addr_b64 v[40:43], v5 offset0:224 offset1:240
	v_dual_mul_f32 v31, v36, v33 :: v_dual_fma_f32 v30, v36, v32, -v30
	s_wait_dscnt 0x0
	s_barrier_signal -1
	s_barrier_wait -1
	s_delay_alu instid0(VALU_DEP_1) | instskip(NEXT) | instid1(VALU_DEP_1)
	v_dual_fmac_f32 v31, v37, v32 :: v_dual_add_f32 v22, v22, v30
	v_dual_add_f32 v24, v24, v31 :: v_dual_mul_f32 v30, v3, v41
	s_delay_alu instid0(VALU_DEP_1) | instskip(NEXT) | instid1(VALU_DEP_1)
	v_dual_mul_f32 v31, v2, v41 :: v_dual_fma_f32 v30, v2, v40, -v30
	v_dual_fmac_f32 v31, v3, v40 :: v_dual_add_f32 v34, v34, v30
	s_delay_alu instid0(VALU_DEP_1) | instskip(SKIP_1) | instid1(VALU_DEP_1)
	v_add_f32_e32 v36, v35, v31
	v_mul_f32_e32 v30, v3, v43
	v_dual_fma_f32 v30, v2, v42, -v30 :: v_dual_mul_f32 v2, v2, v43
	s_delay_alu instid0(VALU_DEP_1) | instskip(NEXT) | instid1(VALU_DEP_1)
	v_fmac_f32_e32 v2, v3, v42
	v_dual_add_f32 v32, v0, v2 :: v_dual_mul_f32 v0, v39, v41
	s_delay_alu instid0(VALU_DEP_3) | instskip(NEXT) | instid1(VALU_DEP_1)
	v_dual_add_f32 v30, v1, v30 :: v_dual_mul_f32 v1, v38, v41
	v_dual_fma_f32 v0, v38, v40, -v0 :: v_dual_fmac_f32 v1, v39, v40
	s_delay_alu instid0(VALU_DEP_1) | instskip(NEXT) | instid1(VALU_DEP_2)
	v_dual_add_f32 v26, v26, v0 :: v_dual_mul_f32 v0, v39, v43
	v_dual_add_f32 v28, v28, v1 :: v_dual_mul_f32 v1, v38, v43
	s_delay_alu instid0(VALU_DEP_1) | instskip(NEXT) | instid1(VALU_DEP_1)
	v_dual_fma_f32 v0, v38, v42, -v0 :: v_dual_fmac_f32 v1, v39, v42
	v_dual_add_f32 v22, v22, v0 :: v_dual_add_f32 v24, v24, v1
	s_cbranch_scc0 .LBB94_13
.LBB94_9:                               ;   Parent Loop BB94_6 Depth=1
                                        ; =>  This Inner Loop Header: Depth=2
	v_dual_mov_b32 v1, 0 :: v_dual_add_nc_u32 v0, s18, v23
	s_delay_alu instid0(VALU_DEP_1) | instskip(SKIP_2) | instid1(SALU_CYCLE_1)
	v_cmp_gt_i32_e32 vcc_lo, s5, v0
	v_mov_b32_e32 v0, 0
	s_and_b32 s26, s0, vcc_lo
	s_and_saveexec_b32 s19, s26
	s_cbranch_execz .LBB94_11
; %bb.10:                               ;   in Loop: Header=BB94_9 Depth=2
	global_load_b64 v[0:1], v[18:19], off
.LBB94_11:                              ;   in Loop: Header=BB94_9 Depth=2
	s_wait_xcnt 0x0
	s_or_b32 exec_lo, exec_lo, s19
	v_dual_mov_b32 v3, 0 :: v_dual_add_nc_u32 v2, s18, v4
	s_wait_loadcnt 0x0
	ds_store_b64 v25, v[0:1]
	v_cmp_gt_i32_e32 vcc_lo, s5, v2
	v_mov_b32_e32 v2, 0
	s_and_b32 s26, vcc_lo, s1
	s_delay_alu instid0(SALU_CYCLE_1)
	s_and_saveexec_b32 s19, s26
	s_cbranch_execz .LBB94_8
; %bb.12:                               ;   in Loop: Header=BB94_9 Depth=2
	global_load_b64 v[2:3], v[20:21], off
	s_branch .LBB94_8
.LBB94_13:                              ;   in Loop: Header=BB94_6 Depth=1
	s_mul_u64 s[18:19], s[24:25], s[22:23]
	s_delay_alu instid0(SALU_CYCLE_1) | instskip(NEXT) | instid1(SALU_CYCLE_1)
	s_lshl_b64 s[18:19], s[18:19], 3
	s_add_nc_u64 s[18:19], s[12:13], s[18:19]
	s_delay_alu instid0(SALU_CYCLE_1)
	v_lshl_add_u64 v[0:1], v[10:11], 3, s[18:19]
	s_and_saveexec_b32 s26, s33
	s_cbranch_execz .LBB94_18
; %bb.14:                               ;   in Loop: Header=BB94_6 Depth=1
	v_mov_b64_e32 v[2:3], s[14:15]
	v_mov_b64_e32 v[18:19], s[6:7]
	s_and_b32 vcc_lo, exec_lo, s31
	s_mov_b32 s27, -1
	s_delay_alu instid0(VALU_DEP_2) | instskip(NEXT) | instid1(VALU_DEP_1)
	v_pk_mul_f32 v[2:3], v[36:37], v[2:3] op_sel_hi:[0,1]
	v_pk_fma_f32 v[20:21], v[34:35], v[18:19], v[2:3] op_sel_hi:[0,1,1]
	v_pk_fma_f32 v[2:3], v[34:35], v[18:19], v[2:3] neg_lo:[0,0,1] neg_hi:[0,0,1]
	v_lshl_add_u64 v[18:19], v[6:7], 3, v[0:1]
	s_delay_alu instid0(VALU_DEP_3)
	v_mov_b32_e32 v3, v21
	s_cbranch_vccz .LBB94_16
; %bb.15:                               ;   in Loop: Header=BB94_6 Depth=1
	global_load_b64 v[20:21], v[18:19], off
	v_mov_b64_e32 v[34:35], s[20:21]
	v_mov_b64_e32 v[36:37], s[2:3]
	s_mov_b32 s27, 0
	s_wait_loadcnt 0x0
	s_delay_alu instid0(VALU_DEP_2) | instskip(NEXT) | instid1(VALU_DEP_1)
	v_pk_mul_f32 v[34:35], v[20:21], v[34:35]
	v_pk_fma_f32 v[38:39], v[20:21], v[36:37], v[34:35] op_sel:[0,0,1] op_sel_hi:[1,1,0]
	v_pk_fma_f32 v[20:21], v[20:21], v[36:37], v[34:35] op_sel:[0,0,1] op_sel_hi:[1,1,0] neg_lo:[0,0,1] neg_hi:[0,0,1]
	s_delay_alu instid0(VALU_DEP_2) | instskip(NEXT) | instid1(VALU_DEP_1)
	v_mov_b32_e32 v21, v39
	v_pk_add_f32 v[20:21], v[2:3], v[20:21]
	global_store_b64 v[18:19], v[20:21], off
.LBB94_16:                              ;   in Loop: Header=BB94_6 Depth=1
	s_and_not1_b32 vcc_lo, exec_lo, s27
	s_cbranch_vccnz .LBB94_18
; %bb.17:                               ;   in Loop: Header=BB94_6 Depth=1
	global_store_b64 v[18:19], v[2:3], off
.LBB94_18:                              ;   in Loop: Header=BB94_6 Depth=1
	s_wait_xcnt 0x0
	s_or_b32 exec_lo, exec_lo, s26
	s_and_saveexec_b32 s26, s34
	s_cbranch_execz .LBB94_23
; %bb.19:                               ;   in Loop: Header=BB94_6 Depth=1
	v_mov_b64_e32 v[2:3], s[14:15]
	v_mov_b64_e32 v[18:19], s[6:7]
	v_lshl_add_u64 v[0:1], v[8:9], 3, v[0:1]
	s_and_not1_b32 vcc_lo, exec_lo, s31
	s_mov_b32 s27, -1
	s_delay_alu instid0(VALU_DEP_3) | instskip(NEXT) | instid1(VALU_DEP_1)
	v_pk_mul_f32 v[2:3], v[32:33], v[2:3] op_sel_hi:[0,1]
	v_pk_fma_f32 v[20:21], v[30:31], v[18:19], v[2:3] op_sel_hi:[0,1,1]
	v_pk_fma_f32 v[2:3], v[30:31], v[18:19], v[2:3] neg_lo:[0,0,1] neg_hi:[0,0,1]
	s_delay_alu instid0(VALU_DEP_2)
	v_mov_b32_e32 v3, v21
	s_cbranch_vccnz .LBB94_21
; %bb.20:                               ;   in Loop: Header=BB94_6 Depth=1
	global_load_b64 v[18:19], v[0:1], off
	v_mov_b64_e32 v[20:21], s[20:21]
	v_mov_b64_e32 v[30:31], s[2:3]
	s_mov_b32 s27, 0
	s_wait_loadcnt 0x0
	s_delay_alu instid0(VALU_DEP_2) | instskip(NEXT) | instid1(VALU_DEP_1)
	v_pk_mul_f32 v[20:21], v[18:19], v[20:21]
	v_pk_fma_f32 v[32:33], v[18:19], v[30:31], v[20:21] op_sel:[0,0,1] op_sel_hi:[1,1,0]
	v_pk_fma_f32 v[18:19], v[18:19], v[30:31], v[20:21] op_sel:[0,0,1] op_sel_hi:[1,1,0] neg_lo:[0,0,1] neg_hi:[0,0,1]
	s_delay_alu instid0(VALU_DEP_2) | instskip(NEXT) | instid1(VALU_DEP_1)
	v_mov_b32_e32 v19, v33
	v_pk_add_f32 v[18:19], v[2:3], v[18:19]
	global_store_b64 v[0:1], v[18:19], off
.LBB94_21:                              ;   in Loop: Header=BB94_6 Depth=1
	s_and_not1_b32 vcc_lo, exec_lo, s27
	s_cbranch_vccnz .LBB94_23
; %bb.22:                               ;   in Loop: Header=BB94_6 Depth=1
	global_store_b64 v[0:1], v[2:3], off
.LBB94_23:                              ;   in Loop: Header=BB94_6 Depth=1
	s_wait_xcnt 0x0
	s_or_b32 exec_lo, exec_lo, s26
	v_lshl_add_u64 v[0:1], v[12:13], 3, s[18:19]
	s_and_saveexec_b32 s18, s4
	s_cbranch_execz .LBB94_28
; %bb.24:                               ;   in Loop: Header=BB94_6 Depth=1
	v_mov_b64_e32 v[2:3], s[14:15]
	v_mov_b64_e32 v[18:19], s[6:7]
	s_and_not1_b32 vcc_lo, exec_lo, s31
	s_mov_b32 s19, -1
	s_delay_alu instid0(VALU_DEP_2) | instskip(NEXT) | instid1(VALU_DEP_1)
	v_pk_mul_f32 v[2:3], v[28:29], v[2:3] op_sel_hi:[0,1]
	v_pk_fma_f32 v[20:21], v[26:27], v[18:19], v[2:3] op_sel_hi:[0,1,1]
	v_pk_fma_f32 v[2:3], v[26:27], v[18:19], v[2:3] neg_lo:[0,0,1] neg_hi:[0,0,1]
	v_lshl_add_u64 v[18:19], v[6:7], 3, v[0:1]
	s_delay_alu instid0(VALU_DEP_3)
	v_mov_b32_e32 v3, v21
	s_cbranch_vccnz .LBB94_26
; %bb.25:                               ;   in Loop: Header=BB94_6 Depth=1
	global_load_b64 v[20:21], v[18:19], off
	v_mov_b64_e32 v[30:31], s[20:21]
	v_mov_b64_e32 v[32:33], s[2:3]
	s_mov_b32 s19, 0
	s_wait_loadcnt 0x0
	s_delay_alu instid0(VALU_DEP_2) | instskip(NEXT) | instid1(VALU_DEP_1)
	v_pk_mul_f32 v[30:31], v[20:21], v[30:31]
	v_pk_fma_f32 v[34:35], v[20:21], v[32:33], v[30:31] op_sel:[0,0,1] op_sel_hi:[1,1,0]
	v_pk_fma_f32 v[20:21], v[20:21], v[32:33], v[30:31] op_sel:[0,0,1] op_sel_hi:[1,1,0] neg_lo:[0,0,1] neg_hi:[0,0,1]
	s_delay_alu instid0(VALU_DEP_2) | instskip(NEXT) | instid1(VALU_DEP_1)
	v_mov_b32_e32 v21, v35
	v_pk_add_f32 v[20:21], v[2:3], v[20:21]
	global_store_b64 v[18:19], v[20:21], off
.LBB94_26:                              ;   in Loop: Header=BB94_6 Depth=1
	s_and_not1_b32 vcc_lo, exec_lo, s19
	s_cbranch_vccnz .LBB94_28
; %bb.27:                               ;   in Loop: Header=BB94_6 Depth=1
	global_store_b64 v[18:19], v[2:3], off
.LBB94_28:                              ;   in Loop: Header=BB94_6 Depth=1
	s_wait_xcnt 0x0
	s_or_b32 exec_lo, exec_lo, s18
	s_and_saveexec_b32 s18, s35
	s_cbranch_execz .LBB94_5
; %bb.29:                               ;   in Loop: Header=BB94_6 Depth=1
	v_mov_b64_e32 v[2:3], s[14:15]
	v_mov_b64_e32 v[18:19], s[6:7]
	v_lshl_add_u64 v[0:1], v[8:9], 3, v[0:1]
	s_and_not1_b32 vcc_lo, exec_lo, s31
	s_mov_b32 s19, -1
	s_delay_alu instid0(VALU_DEP_3) | instskip(NEXT) | instid1(VALU_DEP_1)
	v_pk_mul_f32 v[2:3], v[24:25], v[2:3] op_sel_hi:[0,1]
	v_pk_fma_f32 v[20:21], v[22:23], v[18:19], v[2:3] op_sel_hi:[0,1,1]
	v_pk_fma_f32 v[2:3], v[22:23], v[18:19], v[2:3] neg_lo:[0,0,1] neg_hi:[0,0,1]
	s_delay_alu instid0(VALU_DEP_2)
	v_mov_b32_e32 v3, v21
	s_cbranch_vccnz .LBB94_31
; %bb.30:                               ;   in Loop: Header=BB94_6 Depth=1
	global_load_b64 v[18:19], v[0:1], off
	v_mov_b64_e32 v[20:21], s[20:21]
	v_mov_b64_e32 v[30:31], s[2:3]
	s_mov_b32 s19, 0
	s_wait_loadcnt 0x0
	s_delay_alu instid0(VALU_DEP_2) | instskip(NEXT) | instid1(VALU_DEP_1)
	v_pk_mul_f32 v[20:21], v[18:19], v[20:21]
	v_pk_fma_f32 v[32:33], v[18:19], v[30:31], v[20:21] op_sel:[0,0,1] op_sel_hi:[1,1,0]
	v_pk_fma_f32 v[18:19], v[18:19], v[30:31], v[20:21] op_sel:[0,0,1] op_sel_hi:[1,1,0] neg_lo:[0,0,1] neg_hi:[0,0,1]
	s_delay_alu instid0(VALU_DEP_2) | instskip(NEXT) | instid1(VALU_DEP_1)
	v_mov_b32_e32 v19, v33
	v_pk_add_f32 v[18:19], v[2:3], v[18:19]
	global_store_b64 v[0:1], v[18:19], off
.LBB94_31:                              ;   in Loop: Header=BB94_6 Depth=1
	s_and_not1_b32 vcc_lo, exec_lo, s19
	s_cbranch_vccnz .LBB94_5
; %bb.32:                               ;   in Loop: Header=BB94_6 Depth=1
	global_store_b64 v[0:1], v[2:3], off
	s_branch .LBB94_5
.LBB94_33:
	s_endpgm
	.section	.rodata,"a",@progbits
	.p2align	6, 0x0
	.amdhsa_kernel _ZL29rocblas_internal_gemmt_kernelIiLi16ELi32ELi8ELc84ELc84ELc85ELb0ELb0E19rocblas_complex_numIfES1_PKS1_PS1_EviT_T9_T10_S5_lS7_S5_lS6_T11_S5_li
		.amdhsa_group_segment_fixed_size 4096
		.amdhsa_private_segment_fixed_size 0
		.amdhsa_kernarg_size 100
		.amdhsa_user_sgpr_count 2
		.amdhsa_user_sgpr_dispatch_ptr 0
		.amdhsa_user_sgpr_queue_ptr 0
		.amdhsa_user_sgpr_kernarg_segment_ptr 1
		.amdhsa_user_sgpr_dispatch_id 0
		.amdhsa_user_sgpr_kernarg_preload_length 0
		.amdhsa_user_sgpr_kernarg_preload_offset 0
		.amdhsa_user_sgpr_private_segment_size 0
		.amdhsa_wavefront_size32 1
		.amdhsa_uses_dynamic_stack 0
		.amdhsa_enable_private_segment 0
		.amdhsa_system_sgpr_workgroup_id_x 1
		.amdhsa_system_sgpr_workgroup_id_y 1
		.amdhsa_system_sgpr_workgroup_id_z 1
		.amdhsa_system_sgpr_workgroup_info 0
		.amdhsa_system_vgpr_workitem_id 1
		.amdhsa_next_free_vgpr 56
		.amdhsa_next_free_sgpr 38
		.amdhsa_named_barrier_count 0
		.amdhsa_reserve_vcc 1
		.amdhsa_float_round_mode_32 0
		.amdhsa_float_round_mode_16_64 0
		.amdhsa_float_denorm_mode_32 3
		.amdhsa_float_denorm_mode_16_64 3
		.amdhsa_fp16_overflow 0
		.amdhsa_memory_ordered 1
		.amdhsa_forward_progress 1
		.amdhsa_inst_pref_size 25
		.amdhsa_round_robin_scheduling 0
		.amdhsa_exception_fp_ieee_invalid_op 0
		.amdhsa_exception_fp_denorm_src 0
		.amdhsa_exception_fp_ieee_div_zero 0
		.amdhsa_exception_fp_ieee_overflow 0
		.amdhsa_exception_fp_ieee_underflow 0
		.amdhsa_exception_fp_ieee_inexact 0
		.amdhsa_exception_int_div_zero 0
	.end_amdhsa_kernel
	.section	.text._ZL29rocblas_internal_gemmt_kernelIiLi16ELi32ELi8ELc84ELc84ELc85ELb0ELb0E19rocblas_complex_numIfES1_PKS1_PS1_EviT_T9_T10_S5_lS7_S5_lS6_T11_S5_li,"axG",@progbits,_ZL29rocblas_internal_gemmt_kernelIiLi16ELi32ELi8ELc84ELc84ELc85ELb0ELb0E19rocblas_complex_numIfES1_PKS1_PS1_EviT_T9_T10_S5_lS7_S5_lS6_T11_S5_li,comdat
.Lfunc_end94:
	.size	_ZL29rocblas_internal_gemmt_kernelIiLi16ELi32ELi8ELc84ELc84ELc85ELb0ELb0E19rocblas_complex_numIfES1_PKS1_PS1_EviT_T9_T10_S5_lS7_S5_lS6_T11_S5_li, .Lfunc_end94-_ZL29rocblas_internal_gemmt_kernelIiLi16ELi32ELi8ELc84ELc84ELc85ELb0ELb0E19rocblas_complex_numIfES1_PKS1_PS1_EviT_T9_T10_S5_lS7_S5_lS6_T11_S5_li
                                        ; -- End function
	.set _ZL29rocblas_internal_gemmt_kernelIiLi16ELi32ELi8ELc84ELc84ELc85ELb0ELb0E19rocblas_complex_numIfES1_PKS1_PS1_EviT_T9_T10_S5_lS7_S5_lS6_T11_S5_li.num_vgpr, 56
	.set _ZL29rocblas_internal_gemmt_kernelIiLi16ELi32ELi8ELc84ELc84ELc85ELb0ELb0E19rocblas_complex_numIfES1_PKS1_PS1_EviT_T9_T10_S5_lS7_S5_lS6_T11_S5_li.num_agpr, 0
	.set _ZL29rocblas_internal_gemmt_kernelIiLi16ELi32ELi8ELc84ELc84ELc85ELb0ELb0E19rocblas_complex_numIfES1_PKS1_PS1_EviT_T9_T10_S5_lS7_S5_lS6_T11_S5_li.numbered_sgpr, 38
	.set _ZL29rocblas_internal_gemmt_kernelIiLi16ELi32ELi8ELc84ELc84ELc85ELb0ELb0E19rocblas_complex_numIfES1_PKS1_PS1_EviT_T9_T10_S5_lS7_S5_lS6_T11_S5_li.num_named_barrier, 0
	.set _ZL29rocblas_internal_gemmt_kernelIiLi16ELi32ELi8ELc84ELc84ELc85ELb0ELb0E19rocblas_complex_numIfES1_PKS1_PS1_EviT_T9_T10_S5_lS7_S5_lS6_T11_S5_li.private_seg_size, 0
	.set _ZL29rocblas_internal_gemmt_kernelIiLi16ELi32ELi8ELc84ELc84ELc85ELb0ELb0E19rocblas_complex_numIfES1_PKS1_PS1_EviT_T9_T10_S5_lS7_S5_lS6_T11_S5_li.uses_vcc, 1
	.set _ZL29rocblas_internal_gemmt_kernelIiLi16ELi32ELi8ELc84ELc84ELc85ELb0ELb0E19rocblas_complex_numIfES1_PKS1_PS1_EviT_T9_T10_S5_lS7_S5_lS6_T11_S5_li.uses_flat_scratch, 0
	.set _ZL29rocblas_internal_gemmt_kernelIiLi16ELi32ELi8ELc84ELc84ELc85ELb0ELb0E19rocblas_complex_numIfES1_PKS1_PS1_EviT_T9_T10_S5_lS7_S5_lS6_T11_S5_li.has_dyn_sized_stack, 0
	.set _ZL29rocblas_internal_gemmt_kernelIiLi16ELi32ELi8ELc84ELc84ELc85ELb0ELb0E19rocblas_complex_numIfES1_PKS1_PS1_EviT_T9_T10_S5_lS7_S5_lS6_T11_S5_li.has_recursion, 0
	.set _ZL29rocblas_internal_gemmt_kernelIiLi16ELi32ELi8ELc84ELc84ELc85ELb0ELb0E19rocblas_complex_numIfES1_PKS1_PS1_EviT_T9_T10_S5_lS7_S5_lS6_T11_S5_li.has_indirect_call, 0
	.section	.AMDGPU.csdata,"",@progbits
; Kernel info:
; codeLenInByte = 3152
; TotalNumSgprs: 40
; NumVgprs: 56
; ScratchSize: 0
; MemoryBound: 0
; FloatMode: 240
; IeeeMode: 1
; LDSByteSize: 4096 bytes/workgroup (compile time only)
; SGPRBlocks: 0
; VGPRBlocks: 3
; NumSGPRsForWavesPerEU: 40
; NumVGPRsForWavesPerEU: 56
; NamedBarCnt: 0
; Occupancy: 16
; WaveLimiterHint : 0
; COMPUTE_PGM_RSRC2:SCRATCH_EN: 0
; COMPUTE_PGM_RSRC2:USER_SGPR: 2
; COMPUTE_PGM_RSRC2:TRAP_HANDLER: 0
; COMPUTE_PGM_RSRC2:TGID_X_EN: 1
; COMPUTE_PGM_RSRC2:TGID_Y_EN: 1
; COMPUTE_PGM_RSRC2:TGID_Z_EN: 1
; COMPUTE_PGM_RSRC2:TIDIG_COMP_CNT: 1
	.section	.text._ZL29rocblas_internal_gemmt_kernelIiLi16ELi32ELi8ELc84ELc67ELc85ELb0ELb1E19rocblas_complex_numIfES1_PKS1_PS1_EviT_T9_T10_S5_lS7_S5_lS6_T11_S5_li,"axG",@progbits,_ZL29rocblas_internal_gemmt_kernelIiLi16ELi32ELi8ELc84ELc67ELc85ELb0ELb1E19rocblas_complex_numIfES1_PKS1_PS1_EviT_T9_T10_S5_lS7_S5_lS6_T11_S5_li,comdat
	.globl	_ZL29rocblas_internal_gemmt_kernelIiLi16ELi32ELi8ELc84ELc67ELc85ELb0ELb1E19rocblas_complex_numIfES1_PKS1_PS1_EviT_T9_T10_S5_lS7_S5_lS6_T11_S5_li ; -- Begin function _ZL29rocblas_internal_gemmt_kernelIiLi16ELi32ELi8ELc84ELc67ELc85ELb0ELb1E19rocblas_complex_numIfES1_PKS1_PS1_EviT_T9_T10_S5_lS7_S5_lS6_T11_S5_li
	.p2align	8
	.type	_ZL29rocblas_internal_gemmt_kernelIiLi16ELi32ELi8ELc84ELc67ELc85ELb0ELb1E19rocblas_complex_numIfES1_PKS1_PS1_EviT_T9_T10_S5_lS7_S5_lS6_T11_S5_li,@function
_ZL29rocblas_internal_gemmt_kernelIiLi16ELi32ELi8ELc84ELc67ELc85ELb0ELb1E19rocblas_complex_numIfES1_PKS1_PS1_EviT_T9_T10_S5_lS7_S5_lS6_T11_S5_li: ; @_ZL29rocblas_internal_gemmt_kernelIiLi16ELi32ELi8ELc84ELc67ELc85ELb0ELb1E19rocblas_complex_numIfES1_PKS1_PS1_EviT_T9_T10_S5_lS7_S5_lS6_T11_S5_li
; %bb.0:
	s_clause 0x1
	s_load_b64 s[20:21], s[0:1], 0x40
	s_load_b128 s[4:7], s[0:1], 0x0
	s_wait_kmcnt 0x0
	s_cmp_neq_f32 s20, 1.0
	s_cselect_b32 s2, -1, 0
	s_and_b32 s3, s21, 0x7fffffff
	s_delay_alu instid0(SALU_CYCLE_1) | instskip(SKIP_3) | instid1(SALU_CYCLE_1)
	s_cmp_eq_u32 s3, 0
	s_cselect_b32 s19, -1, 0
	s_cmp_lg_u32 s3, 0
	s_cselect_b32 s3, -1, 0
	s_or_b32 s2, s2, s3
	s_delay_alu instid0(SALU_CYCLE_1)
	s_and_b32 vcc_lo, exec_lo, s2
	s_cbranch_vccnz .LBB95_2
; %bb.1:
	s_cmp_lg_u32 s5, 0
	s_cselect_b32 s2, -1, 0
	s_cmp_neq_f32 s6, 0
	s_cselect_b32 s3, -1, 0
	s_cmp_neq_f32 s7, 0
	s_cselect_b32 s8, -1, 0
	s_delay_alu instid0(SALU_CYCLE_1) | instskip(NEXT) | instid1(SALU_CYCLE_1)
	s_or_b32 s3, s3, s8
	s_and_b32 s2, s2, s3
.LBB95_2:
	s_delay_alu instid0(SALU_CYCLE_1)
	s_and_not1_b32 vcc_lo, exec_lo, s2
	s_cbranch_vccnz .LBB95_35
; %bb.3:
	s_load_b32 s30, s[0:1], 0x60
	s_bfe_u32 s2, ttmp6, 0x40014
	s_lshr_b32 s3, ttmp7, 16
	s_add_co_i32 s2, s2, 1
	s_bfe_u32 s9, ttmp6, 0x40008
	s_mul_i32 s8, s3, s2
	s_getreg_b32 s2, hwreg(HW_REG_IB_STS2, 6, 4)
	s_add_co_i32 s9, s9, s8
	s_cmp_eq_u32 s2, 0
	s_mov_b32 s23, 0
	s_cselect_b32 s22, s3, s9
	s_wait_kmcnt 0x0
	s_cmp_ge_u32 s22, s30
	s_cbranch_scc1 .LBB95_35
; %bb.4:
	s_clause 0x2
	s_load_b96 s[16:18], s[0:1], 0x10
	s_load_b32 s26, s[0:1], 0x30
	s_load_b96 s[12:14], s[0:1], 0x48
	v_and_b32_e32 v6, 0x3ff, v0
	v_bfe_u32 v8, v0, 10, 10
	s_clause 0x2
	s_load_b128 s[8:11], s[0:1], 0x20
	s_load_b64 s[28:29], s[0:1], 0x38
	s_load_b64 s[24:25], s[0:1], 0x58
	s_wait_xcnt 0x0
	s_bfe_u32 s1, ttmp6, 0x4000c
	s_bfe_u32 s3, ttmp6, 0x40010
	s_and_b32 s31, ttmp7, 0xffff
	v_lshl_add_u32 v1, v8, 4, v6
	s_add_co_i32 s1, s1, 1
	s_add_co_i32 s3, s3, 1
	s_and_b32 s0, ttmp6, 15
	s_mul_i32 s1, ttmp9, s1
	s_mul_i32 s33, s31, s3
	s_bfe_u32 s34, ttmp6, 0x40004
	v_dual_lshrrev_b32 v25, 5, v1 :: v_dual_bitop2_b32 v4, 7, v0 bitop3:0x40
	s_add_co_i32 s0, s0, s1
	s_add_co_i32 s34, s34, s33
	s_wait_kmcnt 0x0
	s_ashr_i32 s3, s18, 31
	s_ashr_i32 s27, s26, 31
	s_ashr_i32 s15, s14, 31
	v_dual_mov_b32 v7, 0 :: v_dual_lshlrev_b32 v9, 3, v4
	s_cmp_eq_u32 s2, 0
	v_dual_lshrrev_b32 v1, 3, v1 :: v_dual_bitop2_b32 v3, 31, v1 bitop3:0x40
	s_cselect_b32 s0, ttmp9, s0
	s_cselect_b32 s1, s31, s34
	s_lshl_b32 s31, s0, 5
	v_mov_b32_e32 v5, v7
	s_lshl_b32 s1, s1, 5
	s_cmp_neq_f32 s6, 0
	v_dual_add_nc_u32 v2, s1, v1 :: v_dual_bitop2_b32 v0, s31, v3 bitop3:0x54
	v_lshlrev_b32_e32 v3, 3, v3
	v_mul_u64_e32 v[16:17], s[26:27], v[4:5]
	s_cselect_b32 s0, -1, 0
	s_cmp_neq_f32 s7, 0
	v_lshl_or_b32 v9, v1, 6, v9
	v_ashrrev_i32_e32 v1, 31, v0
	v_dual_add_nc_u32 v18, s1, v8 :: v_dual_lshlrev_b32 v29, 3, v6
	s_mov_b32 s2, s18
	s_cselect_b32 s18, -1, 0
	v_lshl_or_b32 v5, v25, 8, v3
	s_or_b32 s18, s0, s18
	v_cmp_gt_i32_e64 s0, s4, v0
	v_ashrrev_i32_e32 v3, 31, v2
	v_mul_u64_e32 v[0:1], s[2:3], v[0:1]
	v_dual_add_nc_u32 v20, 16, v18 :: v_dual_ashrrev_i32 v19, 31, v18
	v_lshl_add_u32 v31, v8, 6, 0x800
	v_add_nc_u32_e32 v8, s31, v6
	v_cmp_gt_i32_e32 vcc_lo, s4, v2
	s_delay_alu instid0(VALU_DEP_4)
	v_ashrrev_i32_e32 v21, 31, v20
	v_mul_u64_e32 v[12:13], s[14:15], v[18:19]
	v_lshlrev_b64_e32 v[2:3], 3, v[2:3]
	v_add_nc_u32_e32 v10, 16, v8
	v_add_nc_u32_e32 v27, 0x800, v9
	v_mul_u64_e32 v[14:15], s[14:15], v[20:21]
	v_dual_ashrrev_i32 v9, 31, v8 :: v_dual_lshlrev_b32 v6, 3, v25
	s_delay_alu instid0(VALU_DEP_4)
	v_ashrrev_i32_e32 v11, 31, v10
	s_cmp_gt_i32 s5, 0
	v_cmp_gt_i32_e64 s1, s4, v18
	v_cmp_le_i32_e64 s2, v8, v18
	v_cmp_le_i32_e64 s3, v10, v18
	v_lshl_add_u64 v[2:3], v[16:17], 3, v[2:3]
	s_cselect_b32 s35, -1, 0
	s_cmp_neq_f32 s20, 0
	s_delay_alu instid0(VALU_DEP_1)
	v_add_nc_u64_e32 v[2:3], s[10:11], v[2:3]
	s_cselect_b32 s31, -1, 0
	s_and_b32 s33, s1, s2
	s_and_b32 s34, s1, s3
	v_cmp_gt_i32_e64 s1, s4, v20
	v_cmp_le_i32_e64 s2, v8, v20
	v_cmp_le_i32_e64 s3, v10, v20
	v_add_nc_u64_e32 v[18:19], 4, v[2:3]
	v_lshl_add_u64 v[0:1], v[0:1], 3, v[6:7]
	s_xor_b32 s14, s19, -1
	s_and_b32 s4, s1, s2
	s_or_b32 s31, s31, s14
	s_and_b32 s1, s1, s3
	v_add_nc_u64_e32 v[16:17], s[16:17], v[0:1]
	s_mov_b32 s2, s20
	s_mov_b32 s3, s20
	;; [unrolled: 1-line block ×5, first 2 shown]
	s_lshl_b64 s[8:9], s[8:9], 3
	s_and_b32 s35, s18, s35
	s_lshl_b64 s[14:15], s[28:29], 3
	s_lshl_b64 s[16:17], s[26:27], 6
	s_xor_b32 s26, vcc_lo, -1
	s_branch .LBB95_6
.LBB95_5:                               ;   in Loop: Header=BB95_6 Depth=1
	s_wait_xcnt 0x0
	s_or_b32 exec_lo, exec_lo, s18
	s_add_co_i32 s22, s22, 0x10000
	s_delay_alu instid0(SALU_CYCLE_1)
	s_cmp_lt_u32 s22, s30
	s_cbranch_scc0 .LBB95_35
.LBB95_6:                               ; =>This Loop Header: Depth=1
                                        ;     Child Loop BB95_9 Depth 2
	v_dual_mov_b32 v34, 0 :: v_dual_mov_b32 v36, 0
	v_dual_mov_b32 v30, 0 :: v_dual_mov_b32 v32, 0
	v_dual_mov_b32 v26, 0 :: v_dual_mov_b32 v28, 0
	v_dual_mov_b32 v6, 0 :: v_dual_mov_b32 v24, 0
	s_and_not1_b32 vcc_lo, exec_lo, s35
	s_cbranch_vccnz .LBB95_15
; %bb.7:                                ;   in Loop: Header=BB95_6 Depth=1
	v_mad_nc_u64_u32 v[20:21], s8, s22, v[16:17]
	v_mad_nc_u64_u32 v[22:23], s14, s22, v[18:19]
	v_dual_mov_b32 v24, 0 :: v_dual_mov_b32 v6, 0
	v_dual_mov_b32 v28, 0 :: v_dual_mov_b32 v26, 0
	v_dual_mov_b32 v32, 0 :: v_dual_mov_b32 v30, 0
	v_dual_mov_b32 v36, 0 :: v_dual_mov_b32 v34, 0
	s_mov_b32 s18, 0
	v_mad_u32 v21, s9, s22, v21
	v_mad_u32 v23, s15, s22, v23
	s_branch .LBB95_9
.LBB95_8:                               ;   in Loop: Header=BB95_9 Depth=2
	s_wait_xcnt 0x0
	s_or_b32 exec_lo, exec_lo, s19
	ds_store_b32 v27, v0 offset:4
	s_wait_dscnt 0x0
	s_barrier_signal -1
	s_barrier_wait -1
	ds_load_b128 v[38:41], v31
	ds_load_b128 v[42:45], v31 offset:16
	ds_load_b128 v[46:49], v31 offset:32
	;; [unrolled: 1-line block ×3, first 2 shown]
	ds_load_2addr_b64 v[50:53], v29 offset1:16
	v_add_nc_u64_e32 v[20:21], 64, v[20:21]
	v_add_nc_u64_e32 v[22:23], s[16:17], v[22:23]
	s_add_co_i32 s18, s18, 8
	s_delay_alu instid0(SALU_CYCLE_1) | instskip(SKIP_2) | instid1(VALU_DEP_1)
	s_cmp_lt_i32 s18, s5
	s_wait_dscnt 0x0
	v_dual_mul_f32 v33, v39, v51 :: v_dual_mul_f32 v35, v38, v51
	v_dual_fma_f32 v33, v38, v50, -v33 :: v_dual_fmac_f32 v35, v39, v50
	s_delay_alu instid0(VALU_DEP_1) | instskip(SKIP_1) | instid1(VALU_DEP_1)
	v_dual_add_f32 v54, v34, v33 :: v_dual_add_f32 v55, v36, v35
	v_dual_mul_f32 v33, v39, v53 :: v_dual_mul_f32 v34, v38, v53
	v_dual_fma_f32 v33, v38, v52, -v33 :: v_dual_fmac_f32 v34, v39, v52
	s_delay_alu instid0(VALU_DEP_1) | instskip(SKIP_3) | instid1(VALU_DEP_1)
	v_dual_add_f32 v30, v30, v33 :: v_dual_add_f32 v56, v32, v34
	ds_load_b128 v[32:35], v31 offset:1024
	s_wait_dscnt 0x0
	v_dual_mul_f32 v36, v33, v51 :: v_dual_mul_f32 v37, v32, v51
	v_dual_fma_f32 v36, v32, v50, -v36 :: v_dual_fmac_f32 v37, v33, v50
	s_delay_alu instid0(VALU_DEP_1) | instskip(SKIP_1) | instid1(VALU_DEP_1)
	v_dual_add_f32 v26, v26, v36 :: v_dual_add_f32 v28, v28, v37
	v_mul_f32_e32 v36, v33, v53
	v_dual_fma_f32 v36, v32, v52, -v36 :: v_dual_mul_f32 v32, v32, v53
	s_delay_alu instid0(VALU_DEP_1) | instskip(SKIP_3) | instid1(VALU_DEP_1)
	v_add_f32_e32 v6, v6, v36
	ds_load_2addr_b64 v[36:39], v29 offset0:32 offset1:48
	s_wait_dscnt 0x0
	v_dual_fmac_f32 v32, v33, v52 :: v_dual_mul_f32 v33, v40, v37
	v_dual_add_f32 v24, v24, v32 :: v_dual_mul_f32 v32, v41, v37
	s_delay_alu instid0(VALU_DEP_1) | instskip(NEXT) | instid1(VALU_DEP_1)
	v_dual_fmac_f32 v33, v41, v36 :: v_dual_fma_f32 v32, v40, v36, -v32
	v_dual_add_f32 v50, v54, v32 :: v_dual_mul_f32 v32, v41, v39
	s_delay_alu instid0(VALU_DEP_1) | instskip(NEXT) | instid1(VALU_DEP_1)
	v_dual_add_f32 v51, v55, v33 :: v_dual_fma_f32 v32, v40, v38, -v32
	v_dual_mul_f32 v33, v40, v39 :: v_dual_add_f32 v30, v30, v32
	s_delay_alu instid0(VALU_DEP_1) | instskip(NEXT) | instid1(VALU_DEP_1)
	v_dual_fmac_f32 v33, v41, v38 :: v_dual_mul_f32 v32, v35, v37
	v_dual_add_f32 v40, v56, v33 :: v_dual_fma_f32 v32, v34, v36, -v32
	v_mul_f32_e32 v33, v34, v37
	s_delay_alu instid0(VALU_DEP_2) | instskip(NEXT) | instid1(VALU_DEP_1)
	v_dual_add_f32 v26, v26, v32 :: v_dual_mul_f32 v32, v35, v39
	v_dual_fmac_f32 v33, v35, v36 :: v_dual_fma_f32 v32, v34, v38, -v32
	s_delay_alu instid0(VALU_DEP_1) | instskip(NEXT) | instid1(VALU_DEP_1)
	v_dual_add_f32 v28, v28, v33 :: v_dual_mul_f32 v33, v34, v39
	v_dual_add_f32 v6, v6, v32 :: v_dual_fmac_f32 v33, v35, v38
	s_delay_alu instid0(VALU_DEP_1) | instskip(SKIP_3) | instid1(VALU_DEP_1)
	v_add_f32_e32 v24, v24, v33
	ds_load_2addr_b64 v[32:35], v29 offset0:64 offset1:80
	s_wait_dscnt 0x0
	v_dual_mul_f32 v36, v43, v33 :: v_dual_mul_f32 v37, v42, v33
	v_dual_fma_f32 v36, v42, v32, -v36 :: v_dual_fmac_f32 v37, v43, v32
	s_delay_alu instid0(VALU_DEP_1) | instskip(SKIP_1) | instid1(VALU_DEP_1)
	v_dual_add_f32 v41, v50, v36 :: v_dual_add_f32 v50, v51, v37
	v_dual_mul_f32 v36, v43, v35 :: v_dual_mul_f32 v37, v42, v35
	v_dual_fma_f32 v36, v42, v34, -v36 :: v_dual_fmac_f32 v37, v43, v34
	s_delay_alu instid0(VALU_DEP_1) | instskip(SKIP_3) | instid1(VALU_DEP_1)
	v_dual_add_f32 v30, v30, v36 :: v_dual_add_f32 v40, v40, v37
	ds_load_b128 v[36:39], v31 offset:1040
	s_wait_dscnt 0x0
	v_dual_mul_f32 v42, v37, v33 :: v_dual_mul_f32 v33, v36, v33
	v_dual_fma_f32 v42, v36, v32, -v42 :: v_dual_fmac_f32 v33, v37, v32
	s_delay_alu instid0(VALU_DEP_1) | instskip(NEXT) | instid1(VALU_DEP_2)
	v_dual_mul_f32 v32, v37, v35 :: v_dual_add_f32 v26, v26, v42
	v_add_f32_e32 v28, v28, v33
	s_delay_alu instid0(VALU_DEP_2) | instskip(NEXT) | instid1(VALU_DEP_1)
	v_dual_mul_f32 v33, v36, v35 :: v_dual_fma_f32 v32, v36, v34, -v32
	v_dual_fmac_f32 v33, v37, v34 :: v_dual_add_f32 v6, v6, v32
	s_delay_alu instid0(VALU_DEP_1) | instskip(SKIP_3) | instid1(VALU_DEP_1)
	v_add_f32_e32 v24, v24, v33
	ds_load_2addr_b64 v[32:35], v29 offset0:96 offset1:112
	s_wait_dscnt 0x0
	v_dual_mul_f32 v36, v45, v33 :: v_dual_mul_f32 v37, v44, v33
	v_dual_mul_f32 v42, v44, v35 :: v_dual_fma_f32 v36, v44, v32, -v36
	s_delay_alu instid0(VALU_DEP_1) | instskip(NEXT) | instid1(VALU_DEP_1)
	v_dual_fmac_f32 v37, v45, v32 :: v_dual_fmac_f32 v42, v45, v34
	v_dual_add_f32 v36, v41, v36 :: v_dual_add_f32 v37, v50, v37
	s_delay_alu instid0(VALU_DEP_2) | instskip(NEXT) | instid1(VALU_DEP_1)
	v_dual_mul_f32 v41, v45, v35 :: v_dual_add_f32 v40, v40, v42
	v_fma_f32 v41, v44, v34, -v41
	s_delay_alu instid0(VALU_DEP_1) | instskip(SKIP_1) | instid1(VALU_DEP_1)
	v_add_f32_e32 v30, v30, v41
	v_dual_mul_f32 v41, v39, v33 :: v_dual_mul_f32 v33, v38, v33
	v_fmac_f32_e32 v33, v39, v32
	s_delay_alu instid0(VALU_DEP_2) | instskip(NEXT) | instid1(VALU_DEP_2)
	v_dual_fma_f32 v41, v38, v32, -v41 :: v_dual_mul_f32 v32, v39, v35
	v_dual_add_f32 v28, v28, v33 :: v_dual_mul_f32 v33, v38, v35
	s_delay_alu instid0(VALU_DEP_2) | instskip(NEXT) | instid1(VALU_DEP_2)
	v_fma_f32 v32, v38, v34, -v32
	v_dual_add_f32 v26, v26, v41 :: v_dual_fmac_f32 v33, v39, v34
	s_delay_alu instid0(VALU_DEP_1) | instskip(SKIP_3) | instid1(VALU_DEP_1)
	v_dual_add_f32 v6, v6, v32 :: v_dual_add_f32 v24, v24, v33
	ds_load_2addr_b64 v[32:35], v29 offset0:128 offset1:144
	s_wait_dscnt 0x0
	v_dual_mul_f32 v38, v47, v33 :: v_dual_mul_f32 v39, v46, v33
	v_dual_fma_f32 v38, v46, v32, -v38 :: v_dual_fmac_f32 v39, v47, v32
	s_delay_alu instid0(VALU_DEP_1) | instskip(SKIP_1) | instid1(VALU_DEP_1)
	v_dual_add_f32 v41, v36, v38 :: v_dual_add_f32 v42, v37, v39
	v_dual_mul_f32 v36, v47, v35 :: v_dual_mul_f32 v37, v46, v35
	v_dual_fma_f32 v36, v46, v34, -v36 :: v_dual_fmac_f32 v37, v47, v34
	s_delay_alu instid0(VALU_DEP_1) | instskip(SKIP_3) | instid1(VALU_DEP_1)
	v_dual_add_f32 v30, v30, v36 :: v_dual_add_f32 v40, v40, v37
	ds_load_b128 v[36:39], v31 offset:1056
	s_wait_dscnt 0x0
	v_dual_mul_f32 v43, v37, v33 :: v_dual_mul_f32 v33, v36, v33
	v_dual_fma_f32 v43, v36, v32, -v43 :: v_dual_fmac_f32 v33, v37, v32
	v_mul_f32_e32 v32, v37, v35
	s_delay_alu instid0(VALU_DEP_2) | instskip(NEXT) | instid1(VALU_DEP_2)
	v_dual_add_f32 v26, v26, v43 :: v_dual_add_f32 v28, v28, v33
	v_dual_mul_f32 v33, v36, v35 :: v_dual_fma_f32 v32, v36, v34, -v32
	s_delay_alu instid0(VALU_DEP_1) | instskip(NEXT) | instid1(VALU_DEP_1)
	v_dual_fmac_f32 v33, v37, v34 :: v_dual_add_f32 v6, v6, v32
	v_add_f32_e32 v24, v24, v33
	ds_load_2addr_b64 v[32:35], v29 offset0:160 offset1:176
	s_wait_dscnt 0x0
	v_dual_mul_f32 v36, v49, v33 :: v_dual_mul_f32 v37, v48, v33
	s_delay_alu instid0(VALU_DEP_1) | instskip(NEXT) | instid1(VALU_DEP_1)
	v_dual_fma_f32 v36, v48, v32, -v36 :: v_dual_fmac_f32 v37, v49, v32
	v_dual_add_f32 v36, v41, v36 :: v_dual_add_f32 v37, v42, v37
	v_dual_mul_f32 v41, v49, v35 :: v_dual_mul_f32 v42, v48, v35
	s_delay_alu instid0(VALU_DEP_1) | instskip(NEXT) | instid1(VALU_DEP_1)
	v_dual_fma_f32 v41, v48, v34, -v41 :: v_dual_fmac_f32 v42, v49, v34
	v_dual_add_f32 v30, v30, v41 :: v_dual_add_f32 v40, v40, v42
	v_dual_mul_f32 v41, v39, v33 :: v_dual_mul_f32 v33, v38, v33
	s_delay_alu instid0(VALU_DEP_1) | instskip(NEXT) | instid1(VALU_DEP_2)
	v_fmac_f32_e32 v33, v39, v32
	v_dual_fma_f32 v41, v38, v32, -v41 :: v_dual_mul_f32 v32, v39, v35
	s_delay_alu instid0(VALU_DEP_2) | instskip(NEXT) | instid1(VALU_DEP_2)
	v_dual_add_f32 v28, v28, v33 :: v_dual_mul_f32 v33, v38, v35
	v_fma_f32 v32, v38, v34, -v32
	s_delay_alu instid0(VALU_DEP_2) | instskip(NEXT) | instid1(VALU_DEP_1)
	v_dual_add_f32 v26, v26, v41 :: v_dual_fmac_f32 v33, v39, v34
	v_dual_add_f32 v6, v6, v32 :: v_dual_add_f32 v24, v24, v33
	ds_load_2addr_b64 v[32:35], v29 offset0:192 offset1:208
	s_wait_dscnt 0x0
	v_dual_mul_f32 v38, v1, v33 :: v_dual_mul_f32 v39, v0, v33
	s_delay_alu instid0(VALU_DEP_1) | instskip(NEXT) | instid1(VALU_DEP_1)
	v_dual_fma_f32 v38, v0, v32, -v38 :: v_dual_fmac_f32 v39, v1, v32
	v_dual_add_f32 v44, v36, v38 :: v_dual_add_f32 v45, v37, v39
	v_mul_f32_e32 v36, v1, v35
	s_delay_alu instid0(VALU_DEP_1) | instskip(NEXT) | instid1(VALU_DEP_1)
	v_dual_fma_f32 v36, v0, v34, -v36 :: v_dual_mul_f32 v0, v0, v35
	v_dual_fmac_f32 v0, v1, v34 :: v_dual_add_f32 v1, v30, v36
	ds_load_b128 v[36:39], v31 offset:1072
	s_wait_dscnt 0x0
	v_dual_mul_f32 v30, v37, v33 :: v_dual_mul_f32 v33, v36, v33
	s_delay_alu instid0(VALU_DEP_1)
	v_fma_f32 v30, v36, v32, -v30
	v_add_f32_e32 v0, v40, v0
	ds_load_2addr_b64 v[40:43], v29 offset0:224 offset1:240
	v_dual_fmac_f32 v33, v37, v32 :: v_dual_mul_f32 v32, v36, v35
	v_dual_add_f32 v26, v26, v30 :: v_dual_mul_f32 v30, v37, v35
	s_wait_dscnt 0x0
	s_delay_alu instid0(VALU_DEP_2) | instskip(SKIP_1) | instid1(VALU_DEP_2)
	v_dual_add_f32 v28, v28, v33 :: v_dual_fmac_f32 v32, v37, v34
	s_barrier_signal -1
	v_fma_f32 v30, v36, v34, -v30
	s_barrier_wait -1
	s_delay_alu instid0(VALU_DEP_1) | instskip(SKIP_1) | instid1(VALU_DEP_1)
	v_dual_add_f32 v24, v24, v32 :: v_dual_add_f32 v6, v6, v30
	v_dual_mul_f32 v30, v3, v41 :: v_dual_mul_f32 v32, v2, v41
	v_dual_fma_f32 v30, v2, v40, -v30 :: v_dual_fmac_f32 v32, v3, v40
	s_delay_alu instid0(VALU_DEP_1) | instskip(SKIP_1) | instid1(VALU_DEP_1)
	v_dual_add_f32 v34, v44, v30 :: v_dual_add_f32 v36, v45, v32
	v_mul_f32_e32 v30, v3, v43
	v_dual_fma_f32 v30, v2, v42, -v30 :: v_dual_mul_f32 v2, v2, v43
	s_delay_alu instid0(VALU_DEP_1) | instskip(NEXT) | instid1(VALU_DEP_1)
	v_fmac_f32_e32 v2, v3, v42
	v_dual_add_f32 v32, v0, v2 :: v_dual_mul_f32 v0, v39, v41
	s_delay_alu instid0(VALU_DEP_3) | instskip(NEXT) | instid1(VALU_DEP_1)
	v_dual_add_f32 v30, v1, v30 :: v_dual_mul_f32 v1, v38, v41
	v_dual_fma_f32 v0, v38, v40, -v0 :: v_dual_fmac_f32 v1, v39, v40
	s_delay_alu instid0(VALU_DEP_1) | instskip(NEXT) | instid1(VALU_DEP_2)
	v_dual_add_f32 v26, v26, v0 :: v_dual_mul_f32 v0, v39, v43
	v_dual_add_f32 v28, v28, v1 :: v_dual_mul_f32 v1, v38, v43
	s_delay_alu instid0(VALU_DEP_1) | instskip(NEXT) | instid1(VALU_DEP_1)
	v_dual_fma_f32 v0, v38, v42, -v0 :: v_dual_fmac_f32 v1, v39, v42
	v_dual_add_f32 v6, v6, v0 :: v_dual_add_f32 v24, v24, v1
	s_cbranch_scc0 .LBB95_15
.LBB95_9:                               ;   Parent Loop BB95_6 Depth=1
                                        ; =>  This Inner Loop Header: Depth=2
	v_dual_mov_b32 v1, 0 :: v_dual_add_nc_u32 v0, s18, v25
	s_delay_alu instid0(VALU_DEP_1) | instskip(SKIP_2) | instid1(SALU_CYCLE_1)
	v_cmp_gt_i32_e32 vcc_lo, s5, v0
	v_mov_b32_e32 v0, 0
	s_and_b32 s27, s0, vcc_lo
	s_and_saveexec_b32 s19, s27
	s_cbranch_execz .LBB95_11
; %bb.10:                               ;   in Loop: Header=BB95_9 Depth=2
	global_load_b64 v[0:1], v[20:21], off
.LBB95_11:                              ;   in Loop: Header=BB95_9 Depth=2
	s_wait_xcnt 0x0
	s_or_b32 exec_lo, exec_lo, s19
	v_add_nc_u32_e32 v2, s18, v4
	s_wait_loadcnt 0x0
	ds_store_b64 v5, v[0:1]
	v_cmp_le_i32_e32 vcc_lo, s5, v2
	s_or_b32 s19, vcc_lo, s26
	s_delay_alu instid0(SALU_CYCLE_1) | instskip(NEXT) | instid1(SALU_CYCLE_1)
	s_and_saveexec_b32 s27, s19
	s_xor_b32 s19, exec_lo, s27
; %bb.12:                               ;   in Loop: Header=BB95_9 Depth=2
	ds_store_b32 v27, v7
; %bb.13:                               ;   in Loop: Header=BB95_9 Depth=2
	s_or_saveexec_b32 s19, s19
	v_mov_b32_e32 v0, 0
	s_xor_b32 exec_lo, exec_lo, s19
	s_cbranch_execz .LBB95_8
; %bb.14:                               ;   in Loop: Header=BB95_9 Depth=2
	global_load_b64 v[2:3], v[22:23], off offset:-4
	s_wait_loadcnt 0x0
	v_xor_b32_e32 v0, 0x80000000, v3
	ds_store_b32 v27, v2
	s_branch .LBB95_8
.LBB95_15:                              ;   in Loop: Header=BB95_6 Depth=1
	s_mul_u64 s[18:19], s[24:25], s[22:23]
	s_delay_alu instid0(SALU_CYCLE_1) | instskip(NEXT) | instid1(SALU_CYCLE_1)
	s_lshl_b64 s[18:19], s[18:19], 3
	s_add_nc_u64 s[18:19], s[12:13], s[18:19]
	s_delay_alu instid0(SALU_CYCLE_1)
	v_lshl_add_u64 v[0:1], v[12:13], 3, s[18:19]
	s_and_saveexec_b32 s27, s33
	s_cbranch_execz .LBB95_20
; %bb.16:                               ;   in Loop: Header=BB95_6 Depth=1
	v_mov_b64_e32 v[2:3], s[10:11]
	v_mov_b64_e32 v[20:21], s[6:7]
	s_and_b32 vcc_lo, exec_lo, s31
	s_mov_b32 s28, -1
	s_delay_alu instid0(VALU_DEP_2) | instskip(NEXT) | instid1(VALU_DEP_1)
	v_pk_mul_f32 v[2:3], v[36:37], v[2:3] op_sel_hi:[0,1]
	v_pk_fma_f32 v[22:23], v[34:35], v[20:21], v[2:3] op_sel_hi:[0,1,1]
	v_pk_fma_f32 v[2:3], v[34:35], v[20:21], v[2:3] neg_lo:[0,0,1] neg_hi:[0,0,1]
	v_lshl_add_u64 v[20:21], v[8:9], 3, v[0:1]
	s_delay_alu instid0(VALU_DEP_3)
	v_mov_b32_e32 v3, v23
	s_cbranch_vccz .LBB95_18
; %bb.17:                               ;   in Loop: Header=BB95_6 Depth=1
	global_load_b64 v[22:23], v[20:21], off
	v_mov_b64_e32 v[34:35], s[20:21]
	v_mov_b64_e32 v[36:37], s[2:3]
	s_mov_b32 s28, 0
	s_wait_loadcnt 0x0
	s_delay_alu instid0(VALU_DEP_2) | instskip(NEXT) | instid1(VALU_DEP_1)
	v_pk_mul_f32 v[34:35], v[22:23], v[34:35]
	v_pk_fma_f32 v[38:39], v[22:23], v[36:37], v[34:35] op_sel:[0,0,1] op_sel_hi:[1,1,0]
	v_pk_fma_f32 v[22:23], v[22:23], v[36:37], v[34:35] op_sel:[0,0,1] op_sel_hi:[1,1,0] neg_lo:[0,0,1] neg_hi:[0,0,1]
	s_delay_alu instid0(VALU_DEP_2) | instskip(NEXT) | instid1(VALU_DEP_1)
	v_mov_b32_e32 v23, v39
	v_pk_add_f32 v[22:23], v[2:3], v[22:23]
	global_store_b64 v[20:21], v[22:23], off
.LBB95_18:                              ;   in Loop: Header=BB95_6 Depth=1
	s_and_not1_b32 vcc_lo, exec_lo, s28
	s_cbranch_vccnz .LBB95_20
; %bb.19:                               ;   in Loop: Header=BB95_6 Depth=1
	global_store_b64 v[20:21], v[2:3], off
.LBB95_20:                              ;   in Loop: Header=BB95_6 Depth=1
	s_wait_xcnt 0x0
	s_or_b32 exec_lo, exec_lo, s27
	s_and_saveexec_b32 s27, s34
	s_cbranch_execz .LBB95_25
; %bb.21:                               ;   in Loop: Header=BB95_6 Depth=1
	v_mov_b64_e32 v[2:3], s[10:11]
	v_mov_b64_e32 v[20:21], s[6:7]
	v_lshl_add_u64 v[0:1], v[10:11], 3, v[0:1]
	s_and_not1_b32 vcc_lo, exec_lo, s31
	s_mov_b32 s28, -1
	s_delay_alu instid0(VALU_DEP_3) | instskip(NEXT) | instid1(VALU_DEP_1)
	v_pk_mul_f32 v[2:3], v[32:33], v[2:3] op_sel_hi:[0,1]
	v_pk_fma_f32 v[22:23], v[30:31], v[20:21], v[2:3] op_sel_hi:[0,1,1]
	v_pk_fma_f32 v[2:3], v[30:31], v[20:21], v[2:3] neg_lo:[0,0,1] neg_hi:[0,0,1]
	s_delay_alu instid0(VALU_DEP_2)
	v_mov_b32_e32 v3, v23
	s_cbranch_vccnz .LBB95_23
; %bb.22:                               ;   in Loop: Header=BB95_6 Depth=1
	global_load_b64 v[20:21], v[0:1], off
	v_mov_b64_e32 v[22:23], s[20:21]
	v_mov_b64_e32 v[32:33], s[2:3]
	s_mov_b32 s28, 0
	s_wait_loadcnt 0x0
	s_delay_alu instid0(VALU_DEP_2) | instskip(NEXT) | instid1(VALU_DEP_1)
	v_pk_mul_f32 v[22:23], v[20:21], v[22:23]
	v_pk_fma_f32 v[34:35], v[20:21], v[32:33], v[22:23] op_sel:[0,0,1] op_sel_hi:[1,1,0]
	v_pk_fma_f32 v[20:21], v[20:21], v[32:33], v[22:23] op_sel:[0,0,1] op_sel_hi:[1,1,0] neg_lo:[0,0,1] neg_hi:[0,0,1]
	s_delay_alu instid0(VALU_DEP_2) | instskip(NEXT) | instid1(VALU_DEP_1)
	v_mov_b32_e32 v21, v35
	v_pk_add_f32 v[20:21], v[2:3], v[20:21]
	global_store_b64 v[0:1], v[20:21], off
.LBB95_23:                              ;   in Loop: Header=BB95_6 Depth=1
	s_and_not1_b32 vcc_lo, exec_lo, s28
	s_cbranch_vccnz .LBB95_25
; %bb.24:                               ;   in Loop: Header=BB95_6 Depth=1
	global_store_b64 v[0:1], v[2:3], off
.LBB95_25:                              ;   in Loop: Header=BB95_6 Depth=1
	s_wait_xcnt 0x0
	s_or_b32 exec_lo, exec_lo, s27
	v_lshl_add_u64 v[0:1], v[14:15], 3, s[18:19]
	s_and_saveexec_b32 s18, s4
	s_cbranch_execz .LBB95_30
; %bb.26:                               ;   in Loop: Header=BB95_6 Depth=1
	v_mov_b64_e32 v[2:3], s[10:11]
	v_mov_b64_e32 v[20:21], s[6:7]
	s_and_not1_b32 vcc_lo, exec_lo, s31
	s_mov_b32 s19, -1
	s_delay_alu instid0(VALU_DEP_2) | instskip(NEXT) | instid1(VALU_DEP_1)
	v_pk_mul_f32 v[2:3], v[28:29], v[2:3] op_sel_hi:[0,1]
	v_pk_fma_f32 v[22:23], v[26:27], v[20:21], v[2:3] op_sel_hi:[0,1,1]
	v_pk_fma_f32 v[2:3], v[26:27], v[20:21], v[2:3] neg_lo:[0,0,1] neg_hi:[0,0,1]
	v_lshl_add_u64 v[20:21], v[8:9], 3, v[0:1]
	s_delay_alu instid0(VALU_DEP_3)
	v_mov_b32_e32 v3, v23
	s_cbranch_vccnz .LBB95_28
; %bb.27:                               ;   in Loop: Header=BB95_6 Depth=1
	global_load_b64 v[22:23], v[20:21], off
	v_mov_b64_e32 v[32:33], s[20:21]
	v_mov_b64_e32 v[34:35], s[2:3]
	s_mov_b32 s19, 0
	s_wait_loadcnt 0x0
	s_delay_alu instid0(VALU_DEP_2) | instskip(NEXT) | instid1(VALU_DEP_1)
	v_pk_mul_f32 v[32:33], v[22:23], v[32:33]
	v_pk_fma_f32 v[36:37], v[22:23], v[34:35], v[32:33] op_sel:[0,0,1] op_sel_hi:[1,1,0]
	v_pk_fma_f32 v[22:23], v[22:23], v[34:35], v[32:33] op_sel:[0,0,1] op_sel_hi:[1,1,0] neg_lo:[0,0,1] neg_hi:[0,0,1]
	s_delay_alu instid0(VALU_DEP_2) | instskip(NEXT) | instid1(VALU_DEP_1)
	v_mov_b32_e32 v23, v37
	v_pk_add_f32 v[22:23], v[2:3], v[22:23]
	global_store_b64 v[20:21], v[22:23], off
.LBB95_28:                              ;   in Loop: Header=BB95_6 Depth=1
	s_and_not1_b32 vcc_lo, exec_lo, s19
	s_cbranch_vccnz .LBB95_30
; %bb.29:                               ;   in Loop: Header=BB95_6 Depth=1
	global_store_b64 v[20:21], v[2:3], off
.LBB95_30:                              ;   in Loop: Header=BB95_6 Depth=1
	s_wait_xcnt 0x0
	s_or_b32 exec_lo, exec_lo, s18
	s_and_saveexec_b32 s18, s1
	s_cbranch_execz .LBB95_5
; %bb.31:                               ;   in Loop: Header=BB95_6 Depth=1
	v_mov_b64_e32 v[2:3], s[10:11]
	v_mov_b64_e32 v[20:21], s[6:7]
	v_lshl_add_u64 v[0:1], v[10:11], 3, v[0:1]
	s_and_not1_b32 vcc_lo, exec_lo, s31
	s_mov_b32 s19, -1
	s_delay_alu instid0(VALU_DEP_3) | instskip(NEXT) | instid1(VALU_DEP_1)
	v_pk_mul_f32 v[2:3], v[24:25], v[2:3] op_sel_hi:[0,1]
	v_pk_fma_f32 v[22:23], v[6:7], v[20:21], v[2:3] op_sel_hi:[0,1,1]
	v_pk_fma_f32 v[2:3], v[6:7], v[20:21], v[2:3] neg_lo:[0,0,1] neg_hi:[0,0,1]
	s_delay_alu instid0(VALU_DEP_2)
	v_mov_b32_e32 v3, v23
	s_cbranch_vccnz .LBB95_33
; %bb.32:                               ;   in Loop: Header=BB95_6 Depth=1
	global_load_b64 v[20:21], v[0:1], off
	v_mov_b64_e32 v[22:23], s[20:21]
	v_mov_b64_e32 v[32:33], s[2:3]
	s_mov_b32 s19, 0
	s_wait_loadcnt 0x0
	s_delay_alu instid0(VALU_DEP_2) | instskip(NEXT) | instid1(VALU_DEP_1)
	v_pk_mul_f32 v[22:23], v[20:21], v[22:23]
	v_pk_fma_f32 v[34:35], v[20:21], v[32:33], v[22:23] op_sel:[0,0,1] op_sel_hi:[1,1,0]
	v_pk_fma_f32 v[20:21], v[20:21], v[32:33], v[22:23] op_sel:[0,0,1] op_sel_hi:[1,1,0] neg_lo:[0,0,1] neg_hi:[0,0,1]
	s_delay_alu instid0(VALU_DEP_2) | instskip(NEXT) | instid1(VALU_DEP_1)
	v_mov_b32_e32 v21, v35
	v_pk_add_f32 v[20:21], v[2:3], v[20:21]
	global_store_b64 v[0:1], v[20:21], off
.LBB95_33:                              ;   in Loop: Header=BB95_6 Depth=1
	s_and_not1_b32 vcc_lo, exec_lo, s19
	s_cbranch_vccnz .LBB95_5
; %bb.34:                               ;   in Loop: Header=BB95_6 Depth=1
	global_store_b64 v[0:1], v[2:3], off
	s_branch .LBB95_5
.LBB95_35:
	s_endpgm
	.section	.rodata,"a",@progbits
	.p2align	6, 0x0
	.amdhsa_kernel _ZL29rocblas_internal_gemmt_kernelIiLi16ELi32ELi8ELc84ELc67ELc85ELb0ELb1E19rocblas_complex_numIfES1_PKS1_PS1_EviT_T9_T10_S5_lS7_S5_lS6_T11_S5_li
		.amdhsa_group_segment_fixed_size 4096
		.amdhsa_private_segment_fixed_size 0
		.amdhsa_kernarg_size 100
		.amdhsa_user_sgpr_count 2
		.amdhsa_user_sgpr_dispatch_ptr 0
		.amdhsa_user_sgpr_queue_ptr 0
		.amdhsa_user_sgpr_kernarg_segment_ptr 1
		.amdhsa_user_sgpr_dispatch_id 0
		.amdhsa_user_sgpr_kernarg_preload_length 0
		.amdhsa_user_sgpr_kernarg_preload_offset 0
		.amdhsa_user_sgpr_private_segment_size 0
		.amdhsa_wavefront_size32 1
		.amdhsa_uses_dynamic_stack 0
		.amdhsa_enable_private_segment 0
		.amdhsa_system_sgpr_workgroup_id_x 1
		.amdhsa_system_sgpr_workgroup_id_y 1
		.amdhsa_system_sgpr_workgroup_id_z 1
		.amdhsa_system_sgpr_workgroup_info 0
		.amdhsa_system_vgpr_workitem_id 1
		.amdhsa_next_free_vgpr 57
		.amdhsa_next_free_sgpr 36
		.amdhsa_named_barrier_count 0
		.amdhsa_reserve_vcc 1
		.amdhsa_float_round_mode_32 0
		.amdhsa_float_round_mode_16_64 0
		.amdhsa_float_denorm_mode_32 3
		.amdhsa_float_denorm_mode_16_64 3
		.amdhsa_fp16_overflow 0
		.amdhsa_memory_ordered 1
		.amdhsa_forward_progress 1
		.amdhsa_inst_pref_size 26
		.amdhsa_round_robin_scheduling 0
		.amdhsa_exception_fp_ieee_invalid_op 0
		.amdhsa_exception_fp_denorm_src 0
		.amdhsa_exception_fp_ieee_div_zero 0
		.amdhsa_exception_fp_ieee_overflow 0
		.amdhsa_exception_fp_ieee_underflow 0
		.amdhsa_exception_fp_ieee_inexact 0
		.amdhsa_exception_int_div_zero 0
	.end_amdhsa_kernel
	.section	.text._ZL29rocblas_internal_gemmt_kernelIiLi16ELi32ELi8ELc84ELc67ELc85ELb0ELb1E19rocblas_complex_numIfES1_PKS1_PS1_EviT_T9_T10_S5_lS7_S5_lS6_T11_S5_li,"axG",@progbits,_ZL29rocblas_internal_gemmt_kernelIiLi16ELi32ELi8ELc84ELc67ELc85ELb0ELb1E19rocblas_complex_numIfES1_PKS1_PS1_EviT_T9_T10_S5_lS7_S5_lS6_T11_S5_li,comdat
.Lfunc_end95:
	.size	_ZL29rocblas_internal_gemmt_kernelIiLi16ELi32ELi8ELc84ELc67ELc85ELb0ELb1E19rocblas_complex_numIfES1_PKS1_PS1_EviT_T9_T10_S5_lS7_S5_lS6_T11_S5_li, .Lfunc_end95-_ZL29rocblas_internal_gemmt_kernelIiLi16ELi32ELi8ELc84ELc67ELc85ELb0ELb1E19rocblas_complex_numIfES1_PKS1_PS1_EviT_T9_T10_S5_lS7_S5_lS6_T11_S5_li
                                        ; -- End function
	.set _ZL29rocblas_internal_gemmt_kernelIiLi16ELi32ELi8ELc84ELc67ELc85ELb0ELb1E19rocblas_complex_numIfES1_PKS1_PS1_EviT_T9_T10_S5_lS7_S5_lS6_T11_S5_li.num_vgpr, 57
	.set _ZL29rocblas_internal_gemmt_kernelIiLi16ELi32ELi8ELc84ELc67ELc85ELb0ELb1E19rocblas_complex_numIfES1_PKS1_PS1_EviT_T9_T10_S5_lS7_S5_lS6_T11_S5_li.num_agpr, 0
	.set _ZL29rocblas_internal_gemmt_kernelIiLi16ELi32ELi8ELc84ELc67ELc85ELb0ELb1E19rocblas_complex_numIfES1_PKS1_PS1_EviT_T9_T10_S5_lS7_S5_lS6_T11_S5_li.numbered_sgpr, 36
	.set _ZL29rocblas_internal_gemmt_kernelIiLi16ELi32ELi8ELc84ELc67ELc85ELb0ELb1E19rocblas_complex_numIfES1_PKS1_PS1_EviT_T9_T10_S5_lS7_S5_lS6_T11_S5_li.num_named_barrier, 0
	.set _ZL29rocblas_internal_gemmt_kernelIiLi16ELi32ELi8ELc84ELc67ELc85ELb0ELb1E19rocblas_complex_numIfES1_PKS1_PS1_EviT_T9_T10_S5_lS7_S5_lS6_T11_S5_li.private_seg_size, 0
	.set _ZL29rocblas_internal_gemmt_kernelIiLi16ELi32ELi8ELc84ELc67ELc85ELb0ELb1E19rocblas_complex_numIfES1_PKS1_PS1_EviT_T9_T10_S5_lS7_S5_lS6_T11_S5_li.uses_vcc, 1
	.set _ZL29rocblas_internal_gemmt_kernelIiLi16ELi32ELi8ELc84ELc67ELc85ELb0ELb1E19rocblas_complex_numIfES1_PKS1_PS1_EviT_T9_T10_S5_lS7_S5_lS6_T11_S5_li.uses_flat_scratch, 0
	.set _ZL29rocblas_internal_gemmt_kernelIiLi16ELi32ELi8ELc84ELc67ELc85ELb0ELb1E19rocblas_complex_numIfES1_PKS1_PS1_EviT_T9_T10_S5_lS7_S5_lS6_T11_S5_li.has_dyn_sized_stack, 0
	.set _ZL29rocblas_internal_gemmt_kernelIiLi16ELi32ELi8ELc84ELc67ELc85ELb0ELb1E19rocblas_complex_numIfES1_PKS1_PS1_EviT_T9_T10_S5_lS7_S5_lS6_T11_S5_li.has_recursion, 0
	.set _ZL29rocblas_internal_gemmt_kernelIiLi16ELi32ELi8ELc84ELc67ELc85ELb0ELb1E19rocblas_complex_numIfES1_PKS1_PS1_EviT_T9_T10_S5_lS7_S5_lS6_T11_S5_li.has_indirect_call, 0
	.section	.AMDGPU.csdata,"",@progbits
; Kernel info:
; codeLenInByte = 3232
; TotalNumSgprs: 38
; NumVgprs: 57
; ScratchSize: 0
; MemoryBound: 0
; FloatMode: 240
; IeeeMode: 1
; LDSByteSize: 4096 bytes/workgroup (compile time only)
; SGPRBlocks: 0
; VGPRBlocks: 3
; NumSGPRsForWavesPerEU: 38
; NumVGPRsForWavesPerEU: 57
; NamedBarCnt: 0
; Occupancy: 16
; WaveLimiterHint : 0
; COMPUTE_PGM_RSRC2:SCRATCH_EN: 0
; COMPUTE_PGM_RSRC2:USER_SGPR: 2
; COMPUTE_PGM_RSRC2:TRAP_HANDLER: 0
; COMPUTE_PGM_RSRC2:TGID_X_EN: 1
; COMPUTE_PGM_RSRC2:TGID_Y_EN: 1
; COMPUTE_PGM_RSRC2:TGID_Z_EN: 1
; COMPUTE_PGM_RSRC2:TIDIG_COMP_CNT: 1
	.section	.text._ZL29rocblas_internal_gemmt_kernelIiLi16ELi32ELi8ELc67ELc78ELc85ELb1ELb0E19rocblas_complex_numIfES1_PKS1_PS1_EviT_T9_T10_S5_lS7_S5_lS6_T11_S5_li,"axG",@progbits,_ZL29rocblas_internal_gemmt_kernelIiLi16ELi32ELi8ELc67ELc78ELc85ELb1ELb0E19rocblas_complex_numIfES1_PKS1_PS1_EviT_T9_T10_S5_lS7_S5_lS6_T11_S5_li,comdat
	.globl	_ZL29rocblas_internal_gemmt_kernelIiLi16ELi32ELi8ELc67ELc78ELc85ELb1ELb0E19rocblas_complex_numIfES1_PKS1_PS1_EviT_T9_T10_S5_lS7_S5_lS6_T11_S5_li ; -- Begin function _ZL29rocblas_internal_gemmt_kernelIiLi16ELi32ELi8ELc67ELc78ELc85ELb1ELb0E19rocblas_complex_numIfES1_PKS1_PS1_EviT_T9_T10_S5_lS7_S5_lS6_T11_S5_li
	.p2align	8
	.type	_ZL29rocblas_internal_gemmt_kernelIiLi16ELi32ELi8ELc67ELc78ELc85ELb1ELb0E19rocblas_complex_numIfES1_PKS1_PS1_EviT_T9_T10_S5_lS7_S5_lS6_T11_S5_li,@function
_ZL29rocblas_internal_gemmt_kernelIiLi16ELi32ELi8ELc67ELc78ELc85ELb1ELb0E19rocblas_complex_numIfES1_PKS1_PS1_EviT_T9_T10_S5_lS7_S5_lS6_T11_S5_li: ; @_ZL29rocblas_internal_gemmt_kernelIiLi16ELi32ELi8ELc67ELc78ELc85ELb1ELb0E19rocblas_complex_numIfES1_PKS1_PS1_EviT_T9_T10_S5_lS7_S5_lS6_T11_S5_li
; %bb.0:
	s_clause 0x1
	s_load_b64 s[20:21], s[0:1], 0x40
	s_load_b128 s[4:7], s[0:1], 0x0
	s_wait_kmcnt 0x0
	s_cmp_neq_f32 s20, 1.0
	s_cselect_b32 s2, -1, 0
	s_and_b32 s3, s21, 0x7fffffff
	s_delay_alu instid0(SALU_CYCLE_1) | instskip(SKIP_3) | instid1(SALU_CYCLE_1)
	s_cmp_eq_u32 s3, 0
	s_cselect_b32 s28, -1, 0
	s_cmp_lg_u32 s3, 0
	s_cselect_b32 s3, -1, 0
	s_or_b32 s2, s2, s3
	s_delay_alu instid0(SALU_CYCLE_1)
	s_and_b32 vcc_lo, exec_lo, s2
	s_cbranch_vccnz .LBB96_2
; %bb.1:
	s_cmp_lg_u32 s5, 0
	s_cselect_b32 s2, -1, 0
	s_cmp_neq_f32 s6, 0
	s_cselect_b32 s3, -1, 0
	s_cmp_neq_f32 s7, 0
	s_cselect_b32 s8, -1, 0
	s_delay_alu instid0(SALU_CYCLE_1) | instskip(NEXT) | instid1(SALU_CYCLE_1)
	s_or_b32 s3, s3, s8
	s_and_b32 s2, s2, s3
.LBB96_2:
	s_delay_alu instid0(SALU_CYCLE_1)
	s_and_not1_b32 vcc_lo, exec_lo, s2
	s_cbranch_vccnz .LBB96_35
; %bb.3:
	s_load_b32 s19, s[0:1], 0x60
	s_bfe_u32 s2, ttmp6, 0x40014
	s_lshr_b32 s3, ttmp7, 16
	s_add_co_i32 s2, s2, 1
	s_bfe_u32 s8, ttmp6, 0x40008
	s_mul_i32 s2, s3, s2
	s_getreg_b32 s29, hwreg(HW_REG_IB_STS2, 6, 4)
	s_add_co_i32 s8, s8, s2
	s_cmp_eq_u32 s29, 0
	s_mov_b32 s23, 0
	s_cselect_b32 s22, s3, s8
	s_wait_kmcnt 0x0
	s_cmp_ge_u32 s22, s19
	s_cbranch_scc1 .LBB96_35
; %bb.4:
	s_clause 0x2
	s_load_b96 s[16:18], s[0:1], 0x10
	s_load_b32 s2, s[0:1], 0x30
	s_load_b96 s[12:14], s[0:1], 0x48
	v_and_b32_e32 v4, 0x3ff, v0
	v_bfe_u32 v5, v0, 10, 10
	s_clause 0x2
	s_load_b128 s[8:11], s[0:1], 0x20
	s_load_b64 s[26:27], s[0:1], 0x38
	s_load_b64 s[24:25], s[0:1], 0x58
	s_wait_xcnt 0x0
	s_bfe_u32 s1, ttmp6, 0x4000c
	s_bfe_u32 s3, ttmp6, 0x40010
	s_and_b32 s30, ttmp7, 0xffff
	s_add_co_i32 s1, s1, 1
	s_add_co_i32 s3, s3, 1
	v_lshl_add_u32 v1, v5, 4, v4
	s_and_b32 s0, ttmp6, 15
	s_bfe_u32 s31, ttmp6, 0x40004
	s_mul_i32 s33, ttmp9, s1
	s_mul_i32 s34, s30, s3
	s_add_co_i32 s0, s0, s33
	s_add_co_i32 s31, s31, s34
	v_dual_lshrrev_b32 v3, 3, v1 :: v_dual_bitop2_b32 v6, 31, v1 bitop3:0x40
	s_wait_kmcnt 0x0
	s_ashr_i32 s1, s18, 31
	s_ashr_i32 s3, s2, 31
	;; [unrolled: 1-line block ×3, first 2 shown]
	s_cmp_eq_u32 s29, 0
	v_dual_lshrrev_b32 v23, 5, v1 :: v_dual_bitop2_b32 v25, 7, v0 bitop3:0x40
	s_cselect_b32 s0, ttmp9, s0
	s_cselect_b32 s29, s30, s31
	s_lshl_b32 s30, s0, 5
	s_lshl_b32 s29, s29, 5
	s_delay_alu instid0(SALU_CYCLE_1) | instskip(SKIP_2) | instid1(VALU_DEP_2)
	v_dual_add_nc_u32 v2, s29, v3 :: v_dual_bitop2_b32 v0, s30, v6 bitop3:0x54
	s_mov_b32 s0, s18
	v_dual_lshlrev_b32 v6, 3, v6 :: v_dual_add_nc_u32 v12, s29, v5
	v_dual_ashrrev_i32 v1, 31, v0 :: v_dual_lshlrev_b32 v14, 3, v25
	v_cmp_gt_i32_e32 vcc_lo, s4, v0
	s_cmp_neq_f32 s6, 0
	v_lshlrev_b32_e32 v31, 3, v4
	s_delay_alu instid0(VALU_DEP_3)
	v_mul_u64_e32 v[0:1], s[0:1], v[0:1]
	v_lshl_or_b32 v7, v3, 6, v14
	v_ashrrev_i32_e32 v3, 31, v2
	v_cmp_gt_i32_e64 s0, s4, v2
	v_dual_add_nc_u32 v16, 16, v12 :: v_dual_ashrrev_i32 v13, 31, v12
	s_cselect_b32 s31, -1, 0
	v_mul_u64_e32 v[2:3], s[2:3], v[2:3]
	s_cmp_neq_f32 s7, 0
	s_delay_alu instid0(VALU_DEP_2)
	v_ashrrev_i32_e32 v17, 31, v16
	v_add_nc_u32_e32 v4, s30, v4
	v_lshl_or_b32 v27, v23, 8, v6
	s_cselect_b32 s18, -1, 0
	v_add_nc_u32_e32 v29, 0x800, v7
	v_mul_u64_e32 v[6:7], s[14:15], v[12:13]
	v_mov_b32_e32 v13, 0
	v_mul_u64_e32 v[10:11], s[14:15], v[16:17]
	s_or_b32 s31, s31, s18
	s_cmp_gt_i32 s5, 0
	v_cmp_gt_i32_e64 s1, s4, v12
	v_cmp_le_i32_e64 s2, v4, v12
	v_add_nc_u32_e32 v8, 16, v4
	s_cselect_b32 s33, -1, 0
	s_cmp_neq_f32 s20, 0
	v_lshl_add_u32 v33, v5, 6, 0x800
	v_mov_b32_e32 v15, v13
	s_mov_b32 s14, s7
	s_cselect_b32 s3, -1, 0
	s_xor_b32 s18, s28, -1
	s_and_b32 s28, s1, s2
	v_cmp_le_i32_e64 s2, v8, v12
	v_dual_lshlrev_b32 v12, 3, v23 :: v_dual_ashrrev_i32 v5, 31, v4
	v_ashrrev_i32_e32 v9, 31, v8
	s_or_b32 s18, s3, s18
	v_cmp_gt_i32_e64 s3, s4, v16
	s_delay_alu instid0(VALU_DEP_3)
	v_lshl_add_u64 v[0:1], v[0:1], 3, v[12:13]
	v_cmp_le_i32_e64 s4, v4, v16
	s_and_b32 s29, s1, s2
	v_lshl_add_u64 v[2:3], v[2:3], 3, v[14:15]
	v_cmp_le_i32_e64 s1, v8, v16
	v_add_nc_u64_e32 v[0:1], s[16:17], v[0:1]
	s_and_b32 s4, s3, s4
	s_mov_b32 s2, s20
	v_add_nc_u64_e32 v[16:17], s[10:11], v[2:3]
	s_and_b32 s1, s3, s1
	s_mov_b32 s3, s20
	s_mov_b32 s20, s21
	v_add_nc_u64_e32 v[14:15], 4, v[0:1]
	s_mov_b32 s15, s6
	s_and_b32 s30, s31, s33
	s_lshl_b64 s[8:9], s[8:9], 3
	s_lshl_b64 s[10:11], s[26:27], 3
	s_xor_b32 s26, vcc_lo, -1
	s_branch .LBB96_6
.LBB96_5:                               ;   in Loop: Header=BB96_6 Depth=1
	s_wait_xcnt 0x0
	s_or_b32 exec_lo, exec_lo, s16
	s_add_co_i32 s22, s22, 0x10000
	s_delay_alu instid0(SALU_CYCLE_1)
	s_cmp_lt_u32 s22, s19
	s_cbranch_scc0 .LBB96_35
.LBB96_6:                               ; =>This Loop Header: Depth=1
                                        ;     Child Loop BB96_9 Depth 2
	v_dual_mov_b32 v32, 0 :: v_dual_mov_b32 v34, 0
	v_dual_mov_b32 v28, 0 :: v_dual_mov_b32 v30, 0
	;; [unrolled: 1-line block ×4, first 2 shown]
	s_and_not1_b32 vcc_lo, exec_lo, s30
	s_cbranch_vccnz .LBB96_15
; %bb.7:                                ;   in Loop: Header=BB96_6 Depth=1
	v_mad_nc_u64_u32 v[18:19], s8, s22, v[14:15]
	v_mad_nc_u64_u32 v[20:21], s10, s22, v[16:17]
	v_dual_mov_b32 v22, 0 :: v_dual_mov_b32 v12, 0
	v_dual_mov_b32 v26, 0 :: v_dual_mov_b32 v24, 0
	;; [unrolled: 1-line block ×4, first 2 shown]
	s_mov_b32 s16, 0
	v_mad_u32 v19, s9, s22, v19
	v_mad_u32 v21, s11, s22, v21
	s_branch .LBB96_9
.LBB96_8:                               ;   in Loop: Header=BB96_9 Depth=2
	s_wait_xcnt 0x0
	s_or_b32 exec_lo, exec_lo, s17
	s_wait_loadcnt 0x0
	ds_store_b64 v29, v[0:1]
	s_wait_dscnt 0x0
	s_barrier_signal -1
	s_barrier_wait -1
	ds_load_b128 v[36:39], v33
	ds_load_b128 v[40:43], v33 offset:16
	ds_load_b128 v[44:47], v33 offset:32
	;; [unrolled: 1-line block ×3, first 2 shown]
	ds_load_2addr_b64 v[48:51], v31 offset1:16
	v_add_nc_u64_e32 v[18:19], 64, v[18:19]
	v_add_nc_u64_e32 v[20:21], 64, v[20:21]
	s_add_co_i32 s16, s16, 8
	s_delay_alu instid0(SALU_CYCLE_1) | instskip(SKIP_2) | instid1(VALU_DEP_1)
	s_cmp_lt_i32 s16, s5
	s_wait_dscnt 0x0
	v_dual_mul_f32 v35, v37, v49 :: v_dual_mul_f32 v52, v36, v49
	v_dual_fma_f32 v35, v36, v48, -v35 :: v_dual_fmac_f32 v52, v37, v48
	s_delay_alu instid0(VALU_DEP_1) | instskip(SKIP_1) | instid1(VALU_DEP_1)
	v_dual_add_f32 v32, v32, v35 :: v_dual_add_f32 v52, v34, v52
	v_dual_mul_f32 v34, v37, v51 :: v_dual_mul_f32 v35, v36, v51
	v_dual_fma_f32 v34, v36, v50, -v34 :: v_dual_fmac_f32 v35, v37, v50
	s_delay_alu instid0(VALU_DEP_1) | instskip(SKIP_3) | instid1(VALU_DEP_1)
	v_dual_add_f32 v28, v28, v34 :: v_dual_add_f32 v30, v30, v35
	ds_load_b128 v[34:37], v33 offset:1024
	s_wait_dscnt 0x0
	v_dual_mul_f32 v53, v35, v49 :: v_dual_mul_f32 v49, v34, v49
	v_fma_f32 v53, v34, v48, -v53
	s_delay_alu instid0(VALU_DEP_2) | instskip(NEXT) | instid1(VALU_DEP_1)
	v_dual_fmac_f32 v49, v35, v48 :: v_dual_mul_f32 v48, v35, v51
	v_dual_add_f32 v24, v24, v53 :: v_dual_fma_f32 v48, v34, v50, -v48
	v_mul_f32_e32 v34, v34, v51
	s_delay_alu instid0(VALU_DEP_1) | instskip(NEXT) | instid1(VALU_DEP_3)
	v_dual_add_f32 v26, v26, v49 :: v_dual_fmac_f32 v34, v35, v50
	v_add_f32_e32 v12, v12, v48
	ds_load_2addr_b64 v[48:51], v31 offset0:32 offset1:48
	s_wait_dscnt 0x0
	v_dual_add_f32 v22, v22, v34 :: v_dual_mul_f32 v34, v39, v49
	s_delay_alu instid0(VALU_DEP_1) | instskip(NEXT) | instid1(VALU_DEP_1)
	v_dual_mul_f32 v35, v38, v49 :: v_dual_fma_f32 v34, v38, v48, -v34
	v_dual_fmac_f32 v35, v39, v48 :: v_dual_add_f32 v32, v32, v34
	v_mul_f32_e32 v34, v39, v51
	s_delay_alu instid0(VALU_DEP_1) | instskip(NEXT) | instid1(VALU_DEP_1)
	v_dual_add_f32 v52, v52, v35 :: v_dual_fma_f32 v34, v38, v50, -v34
	v_dual_mul_f32 v35, v38, v51 :: v_dual_add_f32 v28, v28, v34
	s_delay_alu instid0(VALU_DEP_1) | instskip(NEXT) | instid1(VALU_DEP_1)
	v_dual_fmac_f32 v35, v39, v50 :: v_dual_mul_f32 v34, v37, v49
	v_dual_add_f32 v30, v30, v35 :: v_dual_fma_f32 v34, v36, v48, -v34
	v_mul_f32_e32 v35, v36, v49
	s_delay_alu instid0(VALU_DEP_2) | instskip(NEXT) | instid1(VALU_DEP_1)
	v_dual_add_f32 v24, v24, v34 :: v_dual_mul_f32 v34, v37, v51
	v_dual_fmac_f32 v35, v37, v48 :: v_dual_fma_f32 v34, v36, v50, -v34
	s_delay_alu instid0(VALU_DEP_1) | instskip(SKIP_1) | instid1(VALU_DEP_1)
	v_add_f32_e32 v26, v26, v35
	v_mul_f32_e32 v35, v36, v51
	v_fmac_f32_e32 v35, v37, v50
	s_delay_alu instid0(VALU_DEP_1) | instskip(SKIP_3) | instid1(VALU_DEP_1)
	v_dual_add_f32 v12, v12, v34 :: v_dual_add_f32 v22, v22, v35
	ds_load_2addr_b64 v[34:37], v31 offset0:64 offset1:80
	s_wait_dscnt 0x0
	v_dual_mul_f32 v38, v41, v35 :: v_dual_mul_f32 v39, v40, v35
	v_dual_fma_f32 v38, v40, v34, -v38 :: v_dual_fmac_f32 v39, v41, v34
	s_delay_alu instid0(VALU_DEP_1) | instskip(SKIP_1) | instid1(VALU_DEP_3)
	v_add_f32_e32 v48, v52, v39
	v_mul_f32_e32 v39, v40, v37
	v_dual_add_f32 v32, v32, v38 :: v_dual_mul_f32 v38, v41, v37
	s_delay_alu instid0(VALU_DEP_1) | instskip(NEXT) | instid1(VALU_DEP_1)
	v_dual_fmac_f32 v39, v41, v36 :: v_dual_fma_f32 v38, v40, v36, -v38
	v_dual_add_f32 v30, v30, v39 :: v_dual_add_f32 v28, v28, v38
	ds_load_b128 v[38:41], v33 offset:1040
	s_wait_dscnt 0x0
	v_dual_mul_f32 v49, v39, v35 :: v_dual_mul_f32 v35, v38, v35
	s_delay_alu instid0(VALU_DEP_1) | instskip(SKIP_1) | instid1(VALU_DEP_2)
	v_dual_fma_f32 v49, v38, v34, -v49 :: v_dual_fmac_f32 v35, v39, v34
	v_mul_f32_e32 v34, v39, v37
	v_dual_add_f32 v24, v24, v49 :: v_dual_add_f32 v26, v26, v35
	s_delay_alu instid0(VALU_DEP_2) | instskip(NEXT) | instid1(VALU_DEP_1)
	v_dual_mul_f32 v35, v38, v37 :: v_dual_fma_f32 v34, v38, v36, -v34
	v_dual_fmac_f32 v35, v39, v36 :: v_dual_add_f32 v12, v12, v34
	s_delay_alu instid0(VALU_DEP_1) | instskip(SKIP_3) | instid1(VALU_DEP_1)
	v_add_f32_e32 v22, v22, v35
	ds_load_2addr_b64 v[34:37], v31 offset0:96 offset1:112
	s_wait_dscnt 0x0
	v_dual_mul_f32 v38, v43, v35 :: v_dual_mul_f32 v39, v42, v35
	v_dual_fma_f32 v38, v42, v34, -v38 :: v_dual_fmac_f32 v39, v43, v34
	s_delay_alu instid0(VALU_DEP_1) | instskip(NEXT) | instid1(VALU_DEP_2)
	v_add_f32_e32 v32, v32, v38
	v_dual_add_f32 v38, v48, v39 :: v_dual_mul_f32 v39, v43, v37
	s_delay_alu instid0(VALU_DEP_1) | instskip(NEXT) | instid1(VALU_DEP_1)
	v_dual_fma_f32 v39, v42, v36, -v39 :: v_dual_mul_f32 v42, v42, v37
	v_dual_add_f32 v28, v28, v39 :: v_dual_fmac_f32 v42, v43, v36
	v_dual_mul_f32 v39, v41, v35 :: v_dual_mul_f32 v35, v40, v35
	s_delay_alu instid0(VALU_DEP_2) | instskip(NEXT) | instid1(VALU_DEP_2)
	v_add_f32_e32 v30, v30, v42
	v_fmac_f32_e32 v35, v41, v34
	s_delay_alu instid0(VALU_DEP_3) | instskip(NEXT) | instid1(VALU_DEP_2)
	v_dual_fma_f32 v39, v40, v34, -v39 :: v_dual_mul_f32 v34, v41, v37
	v_dual_add_f32 v26, v26, v35 :: v_dual_mul_f32 v35, v40, v37
	s_delay_alu instid0(VALU_DEP_2) | instskip(NEXT) | instid1(VALU_DEP_2)
	v_fma_f32 v34, v40, v36, -v34
	v_dual_add_f32 v24, v24, v39 :: v_dual_fmac_f32 v35, v41, v36
	s_delay_alu instid0(VALU_DEP_1) | instskip(SKIP_3) | instid1(VALU_DEP_1)
	v_dual_add_f32 v12, v12, v34 :: v_dual_add_f32 v22, v22, v35
	ds_load_2addr_b64 v[34:37], v31 offset0:128 offset1:144
	s_wait_dscnt 0x0
	v_dual_mul_f32 v39, v45, v35 :: v_dual_mul_f32 v40, v44, v35
	v_dual_fma_f32 v39, v44, v34, -v39 :: v_dual_fmac_f32 v40, v45, v34
	s_delay_alu instid0(VALU_DEP_1) | instskip(SKIP_1) | instid1(VALU_DEP_1)
	v_dual_add_f32 v32, v32, v39 :: v_dual_add_f32 v42, v38, v40
	v_dual_mul_f32 v38, v45, v37 :: v_dual_mul_f32 v39, v44, v37
	v_dual_fma_f32 v38, v44, v36, -v38 :: v_dual_fmac_f32 v39, v45, v36
	s_delay_alu instid0(VALU_DEP_1) | instskip(SKIP_3) | instid1(VALU_DEP_1)
	v_dual_add_f32 v28, v28, v38 :: v_dual_add_f32 v30, v30, v39
	ds_load_b128 v[38:41], v33 offset:1056
	s_wait_dscnt 0x0
	v_dual_mul_f32 v43, v39, v35 :: v_dual_mul_f32 v35, v38, v35
	v_fma_f32 v43, v38, v34, -v43
	s_delay_alu instid0(VALU_DEP_2) | instskip(NEXT) | instid1(VALU_DEP_2)
	v_dual_fmac_f32 v35, v39, v34 :: v_dual_mul_f32 v34, v39, v37
	v_add_f32_e32 v24, v24, v43
	s_delay_alu instid0(VALU_DEP_2) | instskip(NEXT) | instid1(VALU_DEP_3)
	v_add_f32_e32 v26, v26, v35
	v_dual_fma_f32 v34, v38, v36, -v34 :: v_dual_mul_f32 v35, v38, v37
	s_delay_alu instid0(VALU_DEP_1) | instskip(NEXT) | instid1(VALU_DEP_1)
	v_dual_fmac_f32 v35, v39, v36 :: v_dual_add_f32 v12, v12, v34
	v_add_f32_e32 v22, v22, v35
	ds_load_2addr_b64 v[34:37], v31 offset0:160 offset1:176
	s_wait_dscnt 0x0
	v_dual_mul_f32 v38, v47, v35 :: v_dual_mul_f32 v39, v46, v35
	s_delay_alu instid0(VALU_DEP_1) | instskip(NEXT) | instid1(VALU_DEP_1)
	v_dual_fma_f32 v38, v46, v34, -v38 :: v_dual_fmac_f32 v39, v47, v34
	v_dual_add_f32 v32, v32, v38 :: v_dual_add_f32 v38, v42, v39
	v_dual_mul_f32 v39, v47, v37 :: v_dual_mul_f32 v42, v46, v37
	s_delay_alu instid0(VALU_DEP_1) | instskip(NEXT) | instid1(VALU_DEP_1)
	v_dual_fma_f32 v39, v46, v36, -v39 :: v_dual_fmac_f32 v42, v47, v36
	v_dual_add_f32 v28, v28, v39 :: v_dual_add_f32 v30, v30, v42
	v_dual_mul_f32 v39, v41, v35 :: v_dual_mul_f32 v35, v40, v35
	s_delay_alu instid0(VALU_DEP_1) | instskip(NEXT) | instid1(VALU_DEP_2)
	v_fmac_f32_e32 v35, v41, v34
	v_dual_fma_f32 v39, v40, v34, -v39 :: v_dual_mul_f32 v34, v41, v37
	s_delay_alu instid0(VALU_DEP_2) | instskip(NEXT) | instid1(VALU_DEP_2)
	v_dual_add_f32 v26, v26, v35 :: v_dual_mul_f32 v35, v40, v37
	v_fma_f32 v34, v40, v36, -v34
	s_delay_alu instid0(VALU_DEP_2) | instskip(NEXT) | instid1(VALU_DEP_1)
	v_dual_add_f32 v24, v24, v39 :: v_dual_fmac_f32 v35, v41, v36
	v_dual_add_f32 v12, v12, v34 :: v_dual_add_f32 v22, v22, v35
	ds_load_2addr_b64 v[34:37], v31 offset0:192 offset1:208
	s_wait_dscnt 0x0
	v_dual_mul_f32 v39, v1, v35 :: v_dual_mul_f32 v40, v0, v35
	s_delay_alu instid0(VALU_DEP_1) | instskip(NEXT) | instid1(VALU_DEP_1)
	v_dual_fma_f32 v39, v0, v34, -v39 :: v_dual_fmac_f32 v40, v1, v34
	v_dual_add_f32 v32, v32, v39 :: v_dual_add_f32 v42, v38, v40
	v_mul_f32_e32 v38, v1, v37
	s_delay_alu instid0(VALU_DEP_1) | instskip(NEXT) | instid1(VALU_DEP_1)
	v_dual_fma_f32 v38, v0, v36, -v38 :: v_dual_mul_f32 v0, v0, v37
	v_dual_fmac_f32 v0, v1, v36 :: v_dual_add_f32 v1, v28, v38
	ds_load_b128 v[38:41], v33 offset:1072
	s_wait_dscnt 0x0
	v_dual_add_f32 v0, v30, v0 :: v_dual_mul_f32 v28, v39, v35
	s_delay_alu instid0(VALU_DEP_1) | instskip(NEXT) | instid1(VALU_DEP_1)
	v_dual_mul_f32 v30, v38, v35 :: v_dual_fma_f32 v28, v38, v34, -v28
	v_dual_fmac_f32 v30, v39, v34 :: v_dual_add_f32 v24, v24, v28
	s_delay_alu instid0(VALU_DEP_1) | instskip(NEXT) | instid1(VALU_DEP_1)
	v_dual_add_f32 v26, v26, v30 :: v_dual_mul_f32 v28, v39, v37
	v_dual_mul_f32 v30, v38, v37 :: v_dual_fma_f32 v28, v38, v36, -v28
	s_delay_alu instid0(VALU_DEP_1)
	v_fmac_f32_e32 v30, v39, v36
	ds_load_2addr_b64 v[36:39], v31 offset0:224 offset1:240
	s_wait_dscnt 0x0
	s_barrier_signal -1
	v_dual_add_f32 v12, v12, v28 :: v_dual_add_f32 v22, v22, v30
	s_barrier_wait -1
	v_dual_mul_f32 v28, v3, v37 :: v_dual_mul_f32 v30, v2, v37
	s_delay_alu instid0(VALU_DEP_1) | instskip(NEXT) | instid1(VALU_DEP_1)
	v_dual_fma_f32 v28, v2, v36, -v28 :: v_dual_fmac_f32 v30, v3, v36
	v_dual_add_f32 v32, v32, v28 :: v_dual_add_f32 v34, v42, v30
	v_mul_f32_e32 v28, v3, v39
	s_delay_alu instid0(VALU_DEP_1) | instskip(NEXT) | instid1(VALU_DEP_1)
	v_dual_fma_f32 v28, v2, v38, -v28 :: v_dual_mul_f32 v2, v2, v39
	v_dual_fmac_f32 v2, v3, v38 :: v_dual_add_f32 v28, v1, v28
	v_mul_f32_e32 v1, v40, v37
	s_delay_alu instid0(VALU_DEP_2) | instskip(NEXT) | instid1(VALU_DEP_1)
	v_dual_add_f32 v30, v0, v2 :: v_dual_mul_f32 v0, v41, v37
	v_dual_fmac_f32 v1, v41, v36 :: v_dual_fma_f32 v0, v40, v36, -v0
	s_delay_alu instid0(VALU_DEP_1) | instskip(NEXT) | instid1(VALU_DEP_2)
	v_dual_add_f32 v26, v26, v1 :: v_dual_mul_f32 v1, v40, v39
	v_dual_add_f32 v24, v24, v0 :: v_dual_mul_f32 v0, v41, v39
	s_delay_alu instid0(VALU_DEP_1) | instskip(NEXT) | instid1(VALU_DEP_1)
	v_dual_fmac_f32 v1, v41, v38 :: v_dual_fma_f32 v0, v40, v38, -v0
	v_dual_add_f32 v22, v22, v1 :: v_dual_add_f32 v12, v12, v0
	s_cbranch_scc0 .LBB96_15
.LBB96_9:                               ;   Parent Loop BB96_6 Depth=1
                                        ; =>  This Inner Loop Header: Depth=2
	v_add_nc_u32_e32 v0, s16, v23
	s_delay_alu instid0(VALU_DEP_1) | instskip(SKIP_1) | instid1(SALU_CYCLE_1)
	v_cmp_le_i32_e32 vcc_lo, s5, v0
	s_or_b32 s17, s26, vcc_lo
	s_and_saveexec_b32 s27, s17
	s_delay_alu instid0(SALU_CYCLE_1)
	s_xor_b32 s17, exec_lo, s27
; %bb.10:                               ;   in Loop: Header=BB96_9 Depth=2
	ds_store_b32 v27, v13
; %bb.11:                               ;   in Loop: Header=BB96_9 Depth=2
	s_or_saveexec_b32 s17, s17
	v_dual_mov_b32 v0, 0 :: v_dual_mov_b32 v2, 0
	s_xor_b32 exec_lo, exec_lo, s17
	s_cbranch_execz .LBB96_13
; %bb.12:                               ;   in Loop: Header=BB96_9 Depth=2
	global_load_b64 v[36:37], v[18:19], off offset:-4
	s_wait_loadcnt 0x0
	v_xor_b32_e32 v2, 0x80000000, v37
	ds_store_b32 v27, v36
.LBB96_13:                              ;   in Loop: Header=BB96_9 Depth=2
	s_wait_xcnt 0x0
	s_or_b32 exec_lo, exec_lo, s17
	v_add_nc_u32_e32 v1, s16, v25
	ds_store_b32 v27, v2 offset:4
	v_cmp_gt_i32_e32 vcc_lo, s5, v1
	v_mov_b32_e32 v1, 0
	s_and_b32 s27, vcc_lo, s0
	s_delay_alu instid0(SALU_CYCLE_1)
	s_and_saveexec_b32 s17, s27
	s_cbranch_execz .LBB96_8
; %bb.14:                               ;   in Loop: Header=BB96_9 Depth=2
	global_load_b64 v[0:1], v[20:21], off
	s_branch .LBB96_8
.LBB96_15:                              ;   in Loop: Header=BB96_6 Depth=1
	s_mul_u64 s[16:17], s[24:25], s[22:23]
	s_delay_alu instid0(SALU_CYCLE_1) | instskip(NEXT) | instid1(SALU_CYCLE_1)
	s_lshl_b64 s[16:17], s[16:17], 3
	s_add_nc_u64 s[16:17], s[12:13], s[16:17]
	s_delay_alu instid0(SALU_CYCLE_1)
	v_lshl_add_u64 v[0:1], v[6:7], 3, s[16:17]
	s_and_saveexec_b32 s27, s28
	s_cbranch_execz .LBB96_20
; %bb.16:                               ;   in Loop: Header=BB96_6 Depth=1
	v_mov_b64_e32 v[2:3], s[14:15]
	v_mov_b64_e32 v[18:19], s[6:7]
	s_and_b32 vcc_lo, exec_lo, s18
	s_mov_b32 s31, -1
	s_delay_alu instid0(VALU_DEP_2) | instskip(NEXT) | instid1(VALU_DEP_1)
	v_pk_mul_f32 v[2:3], v[34:35], v[2:3] op_sel_hi:[0,1]
	v_pk_fma_f32 v[20:21], v[32:33], v[18:19], v[2:3] op_sel_hi:[0,1,1]
	v_pk_fma_f32 v[2:3], v[32:33], v[18:19], v[2:3] neg_lo:[0,0,1] neg_hi:[0,0,1]
	v_lshl_add_u64 v[18:19], v[4:5], 3, v[0:1]
	s_delay_alu instid0(VALU_DEP_3)
	v_mov_b32_e32 v3, v21
	s_cbranch_vccz .LBB96_18
; %bb.17:                               ;   in Loop: Header=BB96_6 Depth=1
	global_load_b64 v[20:21], v[18:19], off
	v_mov_b64_e32 v[34:35], s[20:21]
	v_mov_b64_e32 v[36:37], s[2:3]
	s_mov_b32 s31, 0
	s_wait_loadcnt 0x0
	s_delay_alu instid0(VALU_DEP_2) | instskip(NEXT) | instid1(VALU_DEP_1)
	v_pk_mul_f32 v[34:35], v[20:21], v[34:35]
	v_pk_fma_f32 v[38:39], v[20:21], v[36:37], v[34:35] op_sel:[0,0,1] op_sel_hi:[1,1,0]
	v_pk_fma_f32 v[20:21], v[20:21], v[36:37], v[34:35] op_sel:[0,0,1] op_sel_hi:[1,1,0] neg_lo:[0,0,1] neg_hi:[0,0,1]
	s_delay_alu instid0(VALU_DEP_2) | instskip(NEXT) | instid1(VALU_DEP_1)
	v_mov_b32_e32 v21, v39
	v_pk_add_f32 v[20:21], v[2:3], v[20:21]
	global_store_b64 v[18:19], v[20:21], off
.LBB96_18:                              ;   in Loop: Header=BB96_6 Depth=1
	s_and_not1_b32 vcc_lo, exec_lo, s31
	s_cbranch_vccnz .LBB96_20
; %bb.19:                               ;   in Loop: Header=BB96_6 Depth=1
	global_store_b64 v[18:19], v[2:3], off
.LBB96_20:                              ;   in Loop: Header=BB96_6 Depth=1
	s_wait_xcnt 0x0
	s_or_b32 exec_lo, exec_lo, s27
	s_and_saveexec_b32 s27, s29
	s_cbranch_execz .LBB96_25
; %bb.21:                               ;   in Loop: Header=BB96_6 Depth=1
	v_mov_b64_e32 v[2:3], s[14:15]
	v_mov_b64_e32 v[18:19], s[6:7]
	v_lshl_add_u64 v[0:1], v[8:9], 3, v[0:1]
	s_and_not1_b32 vcc_lo, exec_lo, s18
	s_mov_b32 s31, -1
	s_delay_alu instid0(VALU_DEP_3) | instskip(NEXT) | instid1(VALU_DEP_1)
	v_pk_mul_f32 v[2:3], v[30:31], v[2:3] op_sel_hi:[0,1]
	v_pk_fma_f32 v[20:21], v[28:29], v[18:19], v[2:3] op_sel_hi:[0,1,1]
	v_pk_fma_f32 v[2:3], v[28:29], v[18:19], v[2:3] neg_lo:[0,0,1] neg_hi:[0,0,1]
	s_delay_alu instid0(VALU_DEP_2)
	v_mov_b32_e32 v3, v21
	s_cbranch_vccnz .LBB96_23
; %bb.22:                               ;   in Loop: Header=BB96_6 Depth=1
	global_load_b64 v[18:19], v[0:1], off
	v_mov_b64_e32 v[20:21], s[20:21]
	v_mov_b64_e32 v[34:35], s[2:3]
	s_mov_b32 s31, 0
	s_wait_loadcnt 0x0
	s_delay_alu instid0(VALU_DEP_2) | instskip(NEXT) | instid1(VALU_DEP_1)
	v_pk_mul_f32 v[20:21], v[18:19], v[20:21]
	v_pk_fma_f32 v[36:37], v[18:19], v[34:35], v[20:21] op_sel:[0,0,1] op_sel_hi:[1,1,0]
	v_pk_fma_f32 v[18:19], v[18:19], v[34:35], v[20:21] op_sel:[0,0,1] op_sel_hi:[1,1,0] neg_lo:[0,0,1] neg_hi:[0,0,1]
	s_delay_alu instid0(VALU_DEP_2) | instskip(NEXT) | instid1(VALU_DEP_1)
	v_mov_b32_e32 v19, v37
	v_pk_add_f32 v[18:19], v[2:3], v[18:19]
	global_store_b64 v[0:1], v[18:19], off
.LBB96_23:                              ;   in Loop: Header=BB96_6 Depth=1
	s_and_not1_b32 vcc_lo, exec_lo, s31
	s_cbranch_vccnz .LBB96_25
; %bb.24:                               ;   in Loop: Header=BB96_6 Depth=1
	global_store_b64 v[0:1], v[2:3], off
.LBB96_25:                              ;   in Loop: Header=BB96_6 Depth=1
	s_wait_xcnt 0x0
	s_or_b32 exec_lo, exec_lo, s27
	v_lshl_add_u64 v[0:1], v[10:11], 3, s[16:17]
	s_and_saveexec_b32 s16, s4
	s_cbranch_execz .LBB96_30
; %bb.26:                               ;   in Loop: Header=BB96_6 Depth=1
	v_mov_b64_e32 v[2:3], s[14:15]
	v_mov_b64_e32 v[18:19], s[6:7]
	s_and_not1_b32 vcc_lo, exec_lo, s18
	s_mov_b32 s17, -1
	s_delay_alu instid0(VALU_DEP_2) | instskip(NEXT) | instid1(VALU_DEP_1)
	v_pk_mul_f32 v[2:3], v[26:27], v[2:3] op_sel_hi:[0,1]
	v_pk_fma_f32 v[20:21], v[24:25], v[18:19], v[2:3] op_sel_hi:[0,1,1]
	v_pk_fma_f32 v[2:3], v[24:25], v[18:19], v[2:3] neg_lo:[0,0,1] neg_hi:[0,0,1]
	v_lshl_add_u64 v[18:19], v[4:5], 3, v[0:1]
	s_delay_alu instid0(VALU_DEP_3)
	v_mov_b32_e32 v3, v21
	s_cbranch_vccnz .LBB96_28
; %bb.27:                               ;   in Loop: Header=BB96_6 Depth=1
	global_load_b64 v[20:21], v[18:19], off
	v_mov_b64_e32 v[34:35], s[20:21]
	v_mov_b64_e32 v[36:37], s[2:3]
	s_mov_b32 s17, 0
	s_wait_loadcnt 0x0
	s_delay_alu instid0(VALU_DEP_2) | instskip(NEXT) | instid1(VALU_DEP_1)
	v_pk_mul_f32 v[34:35], v[20:21], v[34:35]
	v_pk_fma_f32 v[38:39], v[20:21], v[36:37], v[34:35] op_sel:[0,0,1] op_sel_hi:[1,1,0]
	v_pk_fma_f32 v[20:21], v[20:21], v[36:37], v[34:35] op_sel:[0,0,1] op_sel_hi:[1,1,0] neg_lo:[0,0,1] neg_hi:[0,0,1]
	s_delay_alu instid0(VALU_DEP_2) | instskip(NEXT) | instid1(VALU_DEP_1)
	v_mov_b32_e32 v21, v39
	v_pk_add_f32 v[20:21], v[2:3], v[20:21]
	global_store_b64 v[18:19], v[20:21], off
.LBB96_28:                              ;   in Loop: Header=BB96_6 Depth=1
	s_and_not1_b32 vcc_lo, exec_lo, s17
	s_cbranch_vccnz .LBB96_30
; %bb.29:                               ;   in Loop: Header=BB96_6 Depth=1
	global_store_b64 v[18:19], v[2:3], off
.LBB96_30:                              ;   in Loop: Header=BB96_6 Depth=1
	s_wait_xcnt 0x0
	s_or_b32 exec_lo, exec_lo, s16
	s_and_saveexec_b32 s16, s1
	s_cbranch_execz .LBB96_5
; %bb.31:                               ;   in Loop: Header=BB96_6 Depth=1
	v_mov_b64_e32 v[2:3], s[14:15]
	v_mov_b64_e32 v[18:19], s[6:7]
	v_lshl_add_u64 v[0:1], v[8:9], 3, v[0:1]
	s_and_not1_b32 vcc_lo, exec_lo, s18
	s_mov_b32 s17, -1
	s_delay_alu instid0(VALU_DEP_3) | instskip(NEXT) | instid1(VALU_DEP_1)
	v_pk_mul_f32 v[2:3], v[22:23], v[2:3] op_sel_hi:[0,1]
	v_pk_fma_f32 v[20:21], v[12:13], v[18:19], v[2:3] op_sel_hi:[0,1,1]
	v_pk_fma_f32 v[2:3], v[12:13], v[18:19], v[2:3] neg_lo:[0,0,1] neg_hi:[0,0,1]
	s_delay_alu instid0(VALU_DEP_2)
	v_mov_b32_e32 v3, v21
	s_cbranch_vccnz .LBB96_33
; %bb.32:                               ;   in Loop: Header=BB96_6 Depth=1
	global_load_b64 v[18:19], v[0:1], off
	v_mov_b64_e32 v[20:21], s[20:21]
	v_mov_b64_e32 v[34:35], s[2:3]
	s_mov_b32 s17, 0
	s_wait_loadcnt 0x0
	s_delay_alu instid0(VALU_DEP_2) | instskip(NEXT) | instid1(VALU_DEP_1)
	v_pk_mul_f32 v[20:21], v[18:19], v[20:21]
	v_pk_fma_f32 v[36:37], v[18:19], v[34:35], v[20:21] op_sel:[0,0,1] op_sel_hi:[1,1,0]
	v_pk_fma_f32 v[18:19], v[18:19], v[34:35], v[20:21] op_sel:[0,0,1] op_sel_hi:[1,1,0] neg_lo:[0,0,1] neg_hi:[0,0,1]
	s_delay_alu instid0(VALU_DEP_2) | instskip(NEXT) | instid1(VALU_DEP_1)
	v_mov_b32_e32 v19, v37
	v_pk_add_f32 v[18:19], v[2:3], v[18:19]
	global_store_b64 v[0:1], v[18:19], off
.LBB96_33:                              ;   in Loop: Header=BB96_6 Depth=1
	s_and_not1_b32 vcc_lo, exec_lo, s17
	s_cbranch_vccnz .LBB96_5
; %bb.34:                               ;   in Loop: Header=BB96_6 Depth=1
	global_store_b64 v[0:1], v[2:3], off
	s_branch .LBB96_5
.LBB96_35:
	s_endpgm
	.section	.rodata,"a",@progbits
	.p2align	6, 0x0
	.amdhsa_kernel _ZL29rocblas_internal_gemmt_kernelIiLi16ELi32ELi8ELc67ELc78ELc85ELb1ELb0E19rocblas_complex_numIfES1_PKS1_PS1_EviT_T9_T10_S5_lS7_S5_lS6_T11_S5_li
		.amdhsa_group_segment_fixed_size 4096
		.amdhsa_private_segment_fixed_size 0
		.amdhsa_kernarg_size 100
		.amdhsa_user_sgpr_count 2
		.amdhsa_user_sgpr_dispatch_ptr 0
		.amdhsa_user_sgpr_queue_ptr 0
		.amdhsa_user_sgpr_kernarg_segment_ptr 1
		.amdhsa_user_sgpr_dispatch_id 0
		.amdhsa_user_sgpr_kernarg_preload_length 0
		.amdhsa_user_sgpr_kernarg_preload_offset 0
		.amdhsa_user_sgpr_private_segment_size 0
		.amdhsa_wavefront_size32 1
		.amdhsa_uses_dynamic_stack 0
		.amdhsa_enable_private_segment 0
		.amdhsa_system_sgpr_workgroup_id_x 1
		.amdhsa_system_sgpr_workgroup_id_y 1
		.amdhsa_system_sgpr_workgroup_id_z 1
		.amdhsa_system_sgpr_workgroup_info 0
		.amdhsa_system_vgpr_workitem_id 1
		.amdhsa_next_free_vgpr 54
		.amdhsa_next_free_sgpr 35
		.amdhsa_named_barrier_count 0
		.amdhsa_reserve_vcc 1
		.amdhsa_float_round_mode_32 0
		.amdhsa_float_round_mode_16_64 0
		.amdhsa_float_denorm_mode_32 3
		.amdhsa_float_denorm_mode_16_64 3
		.amdhsa_fp16_overflow 0
		.amdhsa_memory_ordered 1
		.amdhsa_forward_progress 1
		.amdhsa_inst_pref_size 26
		.amdhsa_round_robin_scheduling 0
		.amdhsa_exception_fp_ieee_invalid_op 0
		.amdhsa_exception_fp_denorm_src 0
		.amdhsa_exception_fp_ieee_div_zero 0
		.amdhsa_exception_fp_ieee_overflow 0
		.amdhsa_exception_fp_ieee_underflow 0
		.amdhsa_exception_fp_ieee_inexact 0
		.amdhsa_exception_int_div_zero 0
	.end_amdhsa_kernel
	.section	.text._ZL29rocblas_internal_gemmt_kernelIiLi16ELi32ELi8ELc67ELc78ELc85ELb1ELb0E19rocblas_complex_numIfES1_PKS1_PS1_EviT_T9_T10_S5_lS7_S5_lS6_T11_S5_li,"axG",@progbits,_ZL29rocblas_internal_gemmt_kernelIiLi16ELi32ELi8ELc67ELc78ELc85ELb1ELb0E19rocblas_complex_numIfES1_PKS1_PS1_EviT_T9_T10_S5_lS7_S5_lS6_T11_S5_li,comdat
.Lfunc_end96:
	.size	_ZL29rocblas_internal_gemmt_kernelIiLi16ELi32ELi8ELc67ELc78ELc85ELb1ELb0E19rocblas_complex_numIfES1_PKS1_PS1_EviT_T9_T10_S5_lS7_S5_lS6_T11_S5_li, .Lfunc_end96-_ZL29rocblas_internal_gemmt_kernelIiLi16ELi32ELi8ELc67ELc78ELc85ELb1ELb0E19rocblas_complex_numIfES1_PKS1_PS1_EviT_T9_T10_S5_lS7_S5_lS6_T11_S5_li
                                        ; -- End function
	.set _ZL29rocblas_internal_gemmt_kernelIiLi16ELi32ELi8ELc67ELc78ELc85ELb1ELb0E19rocblas_complex_numIfES1_PKS1_PS1_EviT_T9_T10_S5_lS7_S5_lS6_T11_S5_li.num_vgpr, 54
	.set _ZL29rocblas_internal_gemmt_kernelIiLi16ELi32ELi8ELc67ELc78ELc85ELb1ELb0E19rocblas_complex_numIfES1_PKS1_PS1_EviT_T9_T10_S5_lS7_S5_lS6_T11_S5_li.num_agpr, 0
	.set _ZL29rocblas_internal_gemmt_kernelIiLi16ELi32ELi8ELc67ELc78ELc85ELb1ELb0E19rocblas_complex_numIfES1_PKS1_PS1_EviT_T9_T10_S5_lS7_S5_lS6_T11_S5_li.numbered_sgpr, 35
	.set _ZL29rocblas_internal_gemmt_kernelIiLi16ELi32ELi8ELc67ELc78ELc85ELb1ELb0E19rocblas_complex_numIfES1_PKS1_PS1_EviT_T9_T10_S5_lS7_S5_lS6_T11_S5_li.num_named_barrier, 0
	.set _ZL29rocblas_internal_gemmt_kernelIiLi16ELi32ELi8ELc67ELc78ELc85ELb1ELb0E19rocblas_complex_numIfES1_PKS1_PS1_EviT_T9_T10_S5_lS7_S5_lS6_T11_S5_li.private_seg_size, 0
	.set _ZL29rocblas_internal_gemmt_kernelIiLi16ELi32ELi8ELc67ELc78ELc85ELb1ELb0E19rocblas_complex_numIfES1_PKS1_PS1_EviT_T9_T10_S5_lS7_S5_lS6_T11_S5_li.uses_vcc, 1
	.set _ZL29rocblas_internal_gemmt_kernelIiLi16ELi32ELi8ELc67ELc78ELc85ELb1ELb0E19rocblas_complex_numIfES1_PKS1_PS1_EviT_T9_T10_S5_lS7_S5_lS6_T11_S5_li.uses_flat_scratch, 0
	.set _ZL29rocblas_internal_gemmt_kernelIiLi16ELi32ELi8ELc67ELc78ELc85ELb1ELb0E19rocblas_complex_numIfES1_PKS1_PS1_EviT_T9_T10_S5_lS7_S5_lS6_T11_S5_li.has_dyn_sized_stack, 0
	.set _ZL29rocblas_internal_gemmt_kernelIiLi16ELi32ELi8ELc67ELc78ELc85ELb1ELb0E19rocblas_complex_numIfES1_PKS1_PS1_EviT_T9_T10_S5_lS7_S5_lS6_T11_S5_li.has_recursion, 0
	.set _ZL29rocblas_internal_gemmt_kernelIiLi16ELi32ELi8ELc67ELc78ELc85ELb1ELb0E19rocblas_complex_numIfES1_PKS1_PS1_EviT_T9_T10_S5_lS7_S5_lS6_T11_S5_li.has_indirect_call, 0
	.section	.AMDGPU.csdata,"",@progbits
; Kernel info:
; codeLenInByte = 3272
; TotalNumSgprs: 37
; NumVgprs: 54
; ScratchSize: 0
; MemoryBound: 0
; FloatMode: 240
; IeeeMode: 1
; LDSByteSize: 4096 bytes/workgroup (compile time only)
; SGPRBlocks: 0
; VGPRBlocks: 3
; NumSGPRsForWavesPerEU: 37
; NumVGPRsForWavesPerEU: 54
; NamedBarCnt: 0
; Occupancy: 16
; WaveLimiterHint : 0
; COMPUTE_PGM_RSRC2:SCRATCH_EN: 0
; COMPUTE_PGM_RSRC2:USER_SGPR: 2
; COMPUTE_PGM_RSRC2:TRAP_HANDLER: 0
; COMPUTE_PGM_RSRC2:TGID_X_EN: 1
; COMPUTE_PGM_RSRC2:TGID_Y_EN: 1
; COMPUTE_PGM_RSRC2:TGID_Z_EN: 1
; COMPUTE_PGM_RSRC2:TIDIG_COMP_CNT: 1
	.section	.text._ZL29rocblas_internal_gemmt_kernelIiLi16ELi32ELi8ELc67ELc84ELc85ELb1ELb0E19rocblas_complex_numIfES1_PKS1_PS1_EviT_T9_T10_S5_lS7_S5_lS6_T11_S5_li,"axG",@progbits,_ZL29rocblas_internal_gemmt_kernelIiLi16ELi32ELi8ELc67ELc84ELc85ELb1ELb0E19rocblas_complex_numIfES1_PKS1_PS1_EviT_T9_T10_S5_lS7_S5_lS6_T11_S5_li,comdat
	.globl	_ZL29rocblas_internal_gemmt_kernelIiLi16ELi32ELi8ELc67ELc84ELc85ELb1ELb0E19rocblas_complex_numIfES1_PKS1_PS1_EviT_T9_T10_S5_lS7_S5_lS6_T11_S5_li ; -- Begin function _ZL29rocblas_internal_gemmt_kernelIiLi16ELi32ELi8ELc67ELc84ELc85ELb1ELb0E19rocblas_complex_numIfES1_PKS1_PS1_EviT_T9_T10_S5_lS7_S5_lS6_T11_S5_li
	.p2align	8
	.type	_ZL29rocblas_internal_gemmt_kernelIiLi16ELi32ELi8ELc67ELc84ELc85ELb1ELb0E19rocblas_complex_numIfES1_PKS1_PS1_EviT_T9_T10_S5_lS7_S5_lS6_T11_S5_li,@function
_ZL29rocblas_internal_gemmt_kernelIiLi16ELi32ELi8ELc67ELc84ELc85ELb1ELb0E19rocblas_complex_numIfES1_PKS1_PS1_EviT_T9_T10_S5_lS7_S5_lS6_T11_S5_li: ; @_ZL29rocblas_internal_gemmt_kernelIiLi16ELi32ELi8ELc67ELc84ELc85ELb1ELb0E19rocblas_complex_numIfES1_PKS1_PS1_EviT_T9_T10_S5_lS7_S5_lS6_T11_S5_li
; %bb.0:
	s_clause 0x1
	s_load_b64 s[20:21], s[0:1], 0x40
	s_load_b128 s[4:7], s[0:1], 0x0
	s_wait_kmcnt 0x0
	s_cmp_neq_f32 s20, 1.0
	s_cselect_b32 s2, -1, 0
	s_and_b32 s8, s21, 0x7fffffff
	s_delay_alu instid0(SALU_CYCLE_1) | instskip(SKIP_3) | instid1(SALU_CYCLE_1)
	s_cmp_eq_u32 s8, 0
	s_cselect_b32 s3, -1, 0
	s_cmp_lg_u32 s8, 0
	s_cselect_b32 s8, -1, 0
	s_or_b32 s2, s2, s8
	s_delay_alu instid0(SALU_CYCLE_1)
	s_and_b32 vcc_lo, exec_lo, s2
	s_cbranch_vccnz .LBB97_2
; %bb.1:
	s_cmp_lg_u32 s5, 0
	s_cselect_b32 s2, -1, 0
	s_cmp_neq_f32 s6, 0
	s_cselect_b32 s8, -1, 0
	s_cmp_neq_f32 s7, 0
	s_cselect_b32 s9, -1, 0
	s_delay_alu instid0(SALU_CYCLE_1) | instskip(NEXT) | instid1(SALU_CYCLE_1)
	s_or_b32 s8, s8, s9
	s_and_b32 s2, s2, s8
.LBB97_2:
	s_delay_alu instid0(SALU_CYCLE_1)
	s_and_not1_b32 vcc_lo, exec_lo, s2
	s_cbranch_vccnz .LBB97_35
; %bb.3:
	s_load_b32 s30, s[0:1], 0x60
	s_bfe_u32 s2, ttmp6, 0x40014
	s_lshr_b32 s8, ttmp7, 16
	s_add_co_i32 s2, s2, 1
	s_bfe_u32 s10, ttmp6, 0x40008
	s_mul_i32 s9, s8, s2
	s_getreg_b32 s2, hwreg(HW_REG_IB_STS2, 6, 4)
	s_add_co_i32 s10, s10, s9
	s_cmp_eq_u32 s2, 0
	s_mov_b32 s23, 0
	s_cselect_b32 s22, s8, s10
	s_wait_kmcnt 0x0
	s_cmp_ge_u32 s22, s30
	s_cbranch_scc1 .LBB97_35
; %bb.4:
	s_clause 0x2
	s_load_b96 s[16:18], s[0:1], 0x10
	s_load_b32 s26, s[0:1], 0x30
	s_load_b96 s[12:14], s[0:1], 0x48
	v_and_b32_e32 v6, 0x3ff, v0
	v_bfe_u32 v8, v0, 10, 10
	s_clause 0x2
	s_load_b128 s[8:11], s[0:1], 0x20
	s_load_b64 s[28:29], s[0:1], 0x38
	s_load_b64 s[24:25], s[0:1], 0x58
	s_wait_xcnt 0x0
	s_bfe_u32 s1, ttmp6, 0x4000c
	s_bfe_u32 s15, ttmp6, 0x40010
	s_and_b32 s19, ttmp7, 0xffff
	s_add_co_i32 s1, s1, 1
	s_add_co_i32 s15, s15, 1
	v_lshl_add_u32 v1, v8, 4, v6
	s_and_b32 s0, ttmp6, 15
	s_bfe_u32 s31, ttmp6, 0x40004
	s_mul_i32 s33, ttmp9, s1
	s_mul_i32 s34, s19, s15
	s_add_co_i32 s0, s0, s33
	s_add_co_i32 s31, s31, s34
	v_dual_lshrrev_b32 v3, 3, v1 :: v_dual_bitop2_b32 v5, 31, v1 bitop3:0x40
	s_wait_kmcnt 0x0
	s_ashr_i32 s1, s18, 31
	s_ashr_i32 s27, s26, 31
	;; [unrolled: 1-line block ×3, first 2 shown]
	s_cmp_eq_u32 s2, 0
	v_dual_lshrrev_b32 v25, 5, v1 :: v_dual_bitop2_b32 v4, 7, v0 bitop3:0x40
	s_cselect_b32 s0, ttmp9, s0
	s_cselect_b32 s2, s19, s31
	s_lshl_b32 s19, s0, 5
	s_lshl_b32 s2, s2, 5
	s_delay_alu instid0(SALU_CYCLE_1) | instskip(SKIP_2) | instid1(VALU_DEP_2)
	v_dual_add_nc_u32 v2, s2, v3 :: v_dual_bitop2_b32 v0, s19, v5 bitop3:0x54
	v_dual_lshlrev_b32 v7, 3, v4 :: v_dual_lshlrev_b32 v5, 3, v5
	s_mov_b32 s0, s18
	v_ashrrev_i32_e32 v1, 31, v0
	v_cmp_gt_i32_e32 vcc_lo, s4, v0
	s_delay_alu instid0(VALU_DEP_3)
	v_lshl_or_b32 v3, v3, 6, v7
	v_mov_b32_e32 v7, 0
	v_lshl_or_b32 v27, v25, 8, v5
	v_mul_u64_e32 v[16:17], s[0:1], v[0:1]
	v_add_nc_u32_e32 v0, s2, v8
	v_add_nc_u32_e32 v29, 0x800, v3
	v_dual_mov_b32 v5, v7 :: v_dual_ashrrev_i32 v3, 31, v2
	s_delay_alu instid0(VALU_DEP_3) | instskip(SKIP_1) | instid1(VALU_DEP_3)
	v_dual_lshlrev_b32 v31, 3, v6 :: v_dual_add_nc_u32 v20, 16, v0
	v_ashrrev_i32_e32 v1, 31, v0
	v_mul_u64_e32 v[18:19], s[26:27], v[4:5]
	v_lshl_add_u32 v5, v8, 6, 0x800
	v_add_nc_u32_e32 v8, s19, v6
	s_cmp_neq_f32 s6, 0
	v_lshlrev_b32_e32 v6, 3, v25
	v_mul_u64_e32 v[12:13], s[14:15], v[0:1]
	v_cmp_gt_i32_e64 s0, s4, v2
	v_dual_add_nc_u32 v10, 16, v8 :: v_dual_ashrrev_i32 v9, 31, v8
	v_ashrrev_i32_e32 v21, 31, v20
	s_cselect_b32 s31, -1, 0
	s_cmp_neq_f32 s7, 0
	s_delay_alu instid0(VALU_DEP_2)
	v_ashrrev_i32_e32 v11, 31, v10
	v_cmp_gt_i32_e64 s1, s4, v0
	v_mul_u64_e32 v[14:15], s[14:15], v[20:21]
	s_cselect_b32 s18, -1, 0
	v_cmp_le_i32_e64 s2, v8, v0
	s_or_b32 s18, s31, s18
	s_cmp_gt_i32 s5, 0
	v_lshlrev_b64_e32 v[2:3], 3, v[2:3]
	s_cselect_b32 s35, -1, 0
	s_cmp_neq_f32 s20, 0
	s_mov_b32 s15, s6
	s_cselect_b32 s19, -1, 0
	s_xor_b32 s14, s3, -1
	v_cmp_le_i32_e64 s3, v10, v0
	v_lshl_add_u64 v[0:1], v[16:17], 3, v[6:7]
	s_and_b32 s33, s1, s2
	v_cmp_le_i32_e64 s2, v8, v20
	s_or_b32 s31, s19, s14
	v_lshl_add_u64 v[2:3], v[18:19], 3, v[2:3]
	v_add_nc_u64_e32 v[0:1], s[16:17], v[0:1]
	s_and_b32 s34, s1, s3
	v_cmp_gt_i32_e64 s1, s4, v20
	v_cmp_le_i32_e64 s3, v10, v20
	v_add_nc_u64_e32 v[18:19], s[10:11], v[2:3]
	s_mov_b32 s14, s7
	s_lshl_b64 s[8:9], s[8:9], 3
	v_add_nc_u64_e32 v[16:17], 4, v[0:1]
	s_and_b32 s4, s1, s2
	s_and_b32 s1, s1, s3
	s_mov_b32 s2, s20
	s_mov_b32 s3, s20
	;; [unrolled: 1-line block ×3, first 2 shown]
	s_and_b32 s35, s18, s35
	s_lshl_b64 s[10:11], s[28:29], 3
	s_lshl_b64 s[16:17], s[26:27], 6
	s_xor_b32 s26, vcc_lo, -1
	s_branch .LBB97_6
.LBB97_5:                               ;   in Loop: Header=BB97_6 Depth=1
	s_wait_xcnt 0x0
	s_or_b32 exec_lo, exec_lo, s18
	s_add_co_i32 s22, s22, 0x10000
	s_delay_alu instid0(SALU_CYCLE_1)
	s_cmp_lt_u32 s22, s30
	s_cbranch_scc0 .LBB97_35
.LBB97_6:                               ; =>This Loop Header: Depth=1
                                        ;     Child Loop BB97_9 Depth 2
	v_dual_mov_b32 v34, 0 :: v_dual_mov_b32 v36, 0
	v_dual_mov_b32 v30, 0 :: v_dual_mov_b32 v32, 0
	;; [unrolled: 1-line block ×4, first 2 shown]
	s_and_not1_b32 vcc_lo, exec_lo, s35
	s_cbranch_vccnz .LBB97_15
; %bb.7:                                ;   in Loop: Header=BB97_6 Depth=1
	v_mad_nc_u64_u32 v[20:21], s8, s22, v[16:17]
	v_mad_nc_u64_u32 v[22:23], s10, s22, v[18:19]
	v_dual_mov_b32 v24, 0 :: v_dual_mov_b32 v6, 0
	v_dual_mov_b32 v28, 0 :: v_dual_mov_b32 v26, 0
	;; [unrolled: 1-line block ×4, first 2 shown]
	s_mov_b32 s18, 0
	v_mad_u32 v21, s9, s22, v21
	v_mad_u32 v23, s11, s22, v23
	s_branch .LBB97_9
.LBB97_8:                               ;   in Loop: Header=BB97_9 Depth=2
	s_wait_xcnt 0x0
	s_or_b32 exec_lo, exec_lo, s19
	s_wait_loadcnt 0x0
	ds_store_b64 v29, v[0:1]
	s_wait_dscnt 0x0
	s_barrier_signal -1
	s_barrier_wait -1
	ds_load_b128 v[38:41], v5
	ds_load_b128 v[42:45], v5 offset:16
	ds_load_b128 v[46:49], v5 offset:32
	;; [unrolled: 1-line block ×3, first 2 shown]
	ds_load_2addr_b64 v[50:53], v31 offset1:16
	v_add_nc_u64_e32 v[20:21], 64, v[20:21]
	v_add_nc_u64_e32 v[22:23], s[16:17], v[22:23]
	s_add_co_i32 s18, s18, 8
	s_delay_alu instid0(SALU_CYCLE_1) | instskip(SKIP_2) | instid1(VALU_DEP_1)
	s_cmp_lt_i32 s18, s5
	s_wait_dscnt 0x0
	v_dual_mul_f32 v33, v39, v51 :: v_dual_mul_f32 v35, v38, v51
	v_dual_fma_f32 v33, v38, v50, -v33 :: v_dual_fmac_f32 v35, v39, v50
	s_delay_alu instid0(VALU_DEP_1) | instskip(SKIP_1) | instid1(VALU_DEP_1)
	v_dual_add_f32 v54, v34, v33 :: v_dual_add_f32 v55, v36, v35
	v_dual_mul_f32 v33, v39, v53 :: v_dual_mul_f32 v34, v38, v53
	v_dual_fma_f32 v33, v38, v52, -v33 :: v_dual_fmac_f32 v34, v39, v52
	s_delay_alu instid0(VALU_DEP_1) | instskip(SKIP_3) | instid1(VALU_DEP_1)
	v_dual_add_f32 v30, v30, v33 :: v_dual_add_f32 v56, v32, v34
	ds_load_b128 v[32:35], v5 offset:1024
	s_wait_dscnt 0x0
	v_dual_mul_f32 v36, v33, v51 :: v_dual_mul_f32 v37, v32, v51
	v_dual_fma_f32 v36, v32, v50, -v36 :: v_dual_fmac_f32 v37, v33, v50
	s_delay_alu instid0(VALU_DEP_1) | instskip(SKIP_1) | instid1(VALU_DEP_1)
	v_dual_add_f32 v26, v26, v36 :: v_dual_add_f32 v28, v28, v37
	v_mul_f32_e32 v36, v33, v53
	v_dual_fma_f32 v36, v32, v52, -v36 :: v_dual_mul_f32 v32, v32, v53
	s_delay_alu instid0(VALU_DEP_1) | instskip(SKIP_3) | instid1(VALU_DEP_1)
	v_add_f32_e32 v6, v6, v36
	ds_load_2addr_b64 v[36:39], v31 offset0:32 offset1:48
	s_wait_dscnt 0x0
	v_dual_fmac_f32 v32, v33, v52 :: v_dual_mul_f32 v33, v40, v37
	v_dual_add_f32 v24, v24, v32 :: v_dual_mul_f32 v32, v41, v37
	s_delay_alu instid0(VALU_DEP_1) | instskip(NEXT) | instid1(VALU_DEP_1)
	v_dual_fmac_f32 v33, v41, v36 :: v_dual_fma_f32 v32, v40, v36, -v32
	v_dual_add_f32 v50, v54, v32 :: v_dual_mul_f32 v32, v41, v39
	s_delay_alu instid0(VALU_DEP_1) | instskip(NEXT) | instid1(VALU_DEP_1)
	v_dual_add_f32 v51, v55, v33 :: v_dual_fma_f32 v32, v40, v38, -v32
	v_dual_mul_f32 v33, v40, v39 :: v_dual_add_f32 v30, v30, v32
	s_delay_alu instid0(VALU_DEP_1) | instskip(NEXT) | instid1(VALU_DEP_1)
	v_dual_fmac_f32 v33, v41, v38 :: v_dual_mul_f32 v32, v35, v37
	v_dual_add_f32 v40, v56, v33 :: v_dual_fma_f32 v32, v34, v36, -v32
	v_mul_f32_e32 v33, v34, v37
	s_delay_alu instid0(VALU_DEP_2) | instskip(NEXT) | instid1(VALU_DEP_1)
	v_dual_add_f32 v26, v26, v32 :: v_dual_mul_f32 v32, v35, v39
	v_dual_fmac_f32 v33, v35, v36 :: v_dual_fma_f32 v32, v34, v38, -v32
	s_delay_alu instid0(VALU_DEP_1) | instskip(NEXT) | instid1(VALU_DEP_1)
	v_dual_add_f32 v28, v28, v33 :: v_dual_mul_f32 v33, v34, v39
	v_dual_add_f32 v6, v6, v32 :: v_dual_fmac_f32 v33, v35, v38
	s_delay_alu instid0(VALU_DEP_1) | instskip(SKIP_3) | instid1(VALU_DEP_1)
	v_add_f32_e32 v24, v24, v33
	ds_load_2addr_b64 v[32:35], v31 offset0:64 offset1:80
	s_wait_dscnt 0x0
	v_dual_mul_f32 v36, v43, v33 :: v_dual_mul_f32 v37, v42, v33
	v_dual_fma_f32 v36, v42, v32, -v36 :: v_dual_fmac_f32 v37, v43, v32
	s_delay_alu instid0(VALU_DEP_1) | instskip(SKIP_1) | instid1(VALU_DEP_1)
	v_dual_add_f32 v41, v50, v36 :: v_dual_add_f32 v50, v51, v37
	v_dual_mul_f32 v36, v43, v35 :: v_dual_mul_f32 v37, v42, v35
	v_dual_fma_f32 v36, v42, v34, -v36 :: v_dual_fmac_f32 v37, v43, v34
	s_delay_alu instid0(VALU_DEP_1) | instskip(SKIP_3) | instid1(VALU_DEP_1)
	v_dual_add_f32 v30, v30, v36 :: v_dual_add_f32 v40, v40, v37
	ds_load_b128 v[36:39], v5 offset:1040
	s_wait_dscnt 0x0
	v_dual_mul_f32 v42, v37, v33 :: v_dual_mul_f32 v33, v36, v33
	v_dual_fma_f32 v42, v36, v32, -v42 :: v_dual_fmac_f32 v33, v37, v32
	s_delay_alu instid0(VALU_DEP_1) | instskip(NEXT) | instid1(VALU_DEP_2)
	v_dual_mul_f32 v32, v37, v35 :: v_dual_add_f32 v26, v26, v42
	v_add_f32_e32 v28, v28, v33
	s_delay_alu instid0(VALU_DEP_2) | instskip(NEXT) | instid1(VALU_DEP_1)
	v_dual_mul_f32 v33, v36, v35 :: v_dual_fma_f32 v32, v36, v34, -v32
	v_dual_fmac_f32 v33, v37, v34 :: v_dual_add_f32 v6, v6, v32
	s_delay_alu instid0(VALU_DEP_1) | instskip(SKIP_3) | instid1(VALU_DEP_1)
	v_add_f32_e32 v24, v24, v33
	ds_load_2addr_b64 v[32:35], v31 offset0:96 offset1:112
	s_wait_dscnt 0x0
	v_dual_mul_f32 v36, v45, v33 :: v_dual_mul_f32 v37, v44, v33
	v_dual_mul_f32 v42, v44, v35 :: v_dual_fma_f32 v36, v44, v32, -v36
	s_delay_alu instid0(VALU_DEP_1) | instskip(NEXT) | instid1(VALU_DEP_1)
	v_dual_fmac_f32 v37, v45, v32 :: v_dual_fmac_f32 v42, v45, v34
	v_dual_add_f32 v36, v41, v36 :: v_dual_add_f32 v37, v50, v37
	s_delay_alu instid0(VALU_DEP_2) | instskip(NEXT) | instid1(VALU_DEP_1)
	v_dual_mul_f32 v41, v45, v35 :: v_dual_add_f32 v40, v40, v42
	v_fma_f32 v41, v44, v34, -v41
	s_delay_alu instid0(VALU_DEP_1) | instskip(SKIP_1) | instid1(VALU_DEP_1)
	v_add_f32_e32 v30, v30, v41
	v_dual_mul_f32 v41, v39, v33 :: v_dual_mul_f32 v33, v38, v33
	v_fmac_f32_e32 v33, v39, v32
	s_delay_alu instid0(VALU_DEP_2) | instskip(NEXT) | instid1(VALU_DEP_2)
	v_dual_fma_f32 v41, v38, v32, -v41 :: v_dual_mul_f32 v32, v39, v35
	v_dual_add_f32 v28, v28, v33 :: v_dual_mul_f32 v33, v38, v35
	s_delay_alu instid0(VALU_DEP_2) | instskip(NEXT) | instid1(VALU_DEP_2)
	v_fma_f32 v32, v38, v34, -v32
	v_dual_add_f32 v26, v26, v41 :: v_dual_fmac_f32 v33, v39, v34
	s_delay_alu instid0(VALU_DEP_1) | instskip(SKIP_3) | instid1(VALU_DEP_1)
	v_dual_add_f32 v6, v6, v32 :: v_dual_add_f32 v24, v24, v33
	ds_load_2addr_b64 v[32:35], v31 offset0:128 offset1:144
	s_wait_dscnt 0x0
	v_dual_mul_f32 v38, v47, v33 :: v_dual_mul_f32 v39, v46, v33
	v_dual_fma_f32 v38, v46, v32, -v38 :: v_dual_fmac_f32 v39, v47, v32
	s_delay_alu instid0(VALU_DEP_1) | instskip(SKIP_1) | instid1(VALU_DEP_1)
	v_dual_add_f32 v41, v36, v38 :: v_dual_add_f32 v42, v37, v39
	v_dual_mul_f32 v36, v47, v35 :: v_dual_mul_f32 v37, v46, v35
	v_dual_fma_f32 v36, v46, v34, -v36 :: v_dual_fmac_f32 v37, v47, v34
	s_delay_alu instid0(VALU_DEP_1) | instskip(SKIP_3) | instid1(VALU_DEP_1)
	v_dual_add_f32 v30, v30, v36 :: v_dual_add_f32 v40, v40, v37
	ds_load_b128 v[36:39], v5 offset:1056
	s_wait_dscnt 0x0
	v_dual_mul_f32 v43, v37, v33 :: v_dual_mul_f32 v33, v36, v33
	v_dual_fma_f32 v43, v36, v32, -v43 :: v_dual_fmac_f32 v33, v37, v32
	v_mul_f32_e32 v32, v37, v35
	s_delay_alu instid0(VALU_DEP_2) | instskip(NEXT) | instid1(VALU_DEP_2)
	v_dual_add_f32 v26, v26, v43 :: v_dual_add_f32 v28, v28, v33
	v_dual_mul_f32 v33, v36, v35 :: v_dual_fma_f32 v32, v36, v34, -v32
	s_delay_alu instid0(VALU_DEP_1) | instskip(NEXT) | instid1(VALU_DEP_1)
	v_dual_fmac_f32 v33, v37, v34 :: v_dual_add_f32 v6, v6, v32
	v_add_f32_e32 v24, v24, v33
	ds_load_2addr_b64 v[32:35], v31 offset0:160 offset1:176
	s_wait_dscnt 0x0
	v_dual_mul_f32 v36, v49, v33 :: v_dual_mul_f32 v37, v48, v33
	s_delay_alu instid0(VALU_DEP_1) | instskip(NEXT) | instid1(VALU_DEP_1)
	v_dual_fma_f32 v36, v48, v32, -v36 :: v_dual_fmac_f32 v37, v49, v32
	v_dual_add_f32 v36, v41, v36 :: v_dual_add_f32 v37, v42, v37
	v_dual_mul_f32 v41, v49, v35 :: v_dual_mul_f32 v42, v48, v35
	s_delay_alu instid0(VALU_DEP_1) | instskip(NEXT) | instid1(VALU_DEP_1)
	v_dual_fma_f32 v41, v48, v34, -v41 :: v_dual_fmac_f32 v42, v49, v34
	v_dual_add_f32 v30, v30, v41 :: v_dual_add_f32 v40, v40, v42
	v_dual_mul_f32 v41, v39, v33 :: v_dual_mul_f32 v33, v38, v33
	s_delay_alu instid0(VALU_DEP_1) | instskip(NEXT) | instid1(VALU_DEP_2)
	v_fmac_f32_e32 v33, v39, v32
	v_dual_fma_f32 v41, v38, v32, -v41 :: v_dual_mul_f32 v32, v39, v35
	s_delay_alu instid0(VALU_DEP_2) | instskip(NEXT) | instid1(VALU_DEP_2)
	v_dual_add_f32 v28, v28, v33 :: v_dual_mul_f32 v33, v38, v35
	v_fma_f32 v32, v38, v34, -v32
	s_delay_alu instid0(VALU_DEP_2) | instskip(NEXT) | instid1(VALU_DEP_1)
	v_dual_add_f32 v26, v26, v41 :: v_dual_fmac_f32 v33, v39, v34
	v_dual_add_f32 v6, v6, v32 :: v_dual_add_f32 v24, v24, v33
	ds_load_2addr_b64 v[32:35], v31 offset0:192 offset1:208
	s_wait_dscnt 0x0
	v_dual_mul_f32 v38, v1, v33 :: v_dual_mul_f32 v39, v0, v33
	s_delay_alu instid0(VALU_DEP_1) | instskip(NEXT) | instid1(VALU_DEP_1)
	v_dual_fma_f32 v38, v0, v32, -v38 :: v_dual_fmac_f32 v39, v1, v32
	v_dual_add_f32 v44, v36, v38 :: v_dual_add_f32 v45, v37, v39
	v_mul_f32_e32 v36, v1, v35
	s_delay_alu instid0(VALU_DEP_1) | instskip(NEXT) | instid1(VALU_DEP_1)
	v_dual_fma_f32 v36, v0, v34, -v36 :: v_dual_mul_f32 v0, v0, v35
	v_dual_fmac_f32 v0, v1, v34 :: v_dual_add_f32 v1, v30, v36
	ds_load_b128 v[36:39], v5 offset:1072
	s_wait_dscnt 0x0
	v_dual_mul_f32 v30, v37, v33 :: v_dual_mul_f32 v33, v36, v33
	s_delay_alu instid0(VALU_DEP_1)
	v_fma_f32 v30, v36, v32, -v30
	v_add_f32_e32 v0, v40, v0
	ds_load_2addr_b64 v[40:43], v31 offset0:224 offset1:240
	v_dual_fmac_f32 v33, v37, v32 :: v_dual_mul_f32 v32, v36, v35
	v_dual_add_f32 v26, v26, v30 :: v_dual_mul_f32 v30, v37, v35
	s_wait_dscnt 0x0
	s_delay_alu instid0(VALU_DEP_2) | instskip(SKIP_1) | instid1(VALU_DEP_2)
	v_dual_add_f32 v28, v28, v33 :: v_dual_fmac_f32 v32, v37, v34
	s_barrier_signal -1
	v_fma_f32 v30, v36, v34, -v30
	s_barrier_wait -1
	s_delay_alu instid0(VALU_DEP_1) | instskip(SKIP_1) | instid1(VALU_DEP_1)
	v_dual_add_f32 v24, v24, v32 :: v_dual_add_f32 v6, v6, v30
	v_dual_mul_f32 v30, v3, v41 :: v_dual_mul_f32 v32, v2, v41
	v_dual_fma_f32 v30, v2, v40, -v30 :: v_dual_fmac_f32 v32, v3, v40
	s_delay_alu instid0(VALU_DEP_1) | instskip(SKIP_1) | instid1(VALU_DEP_1)
	v_dual_add_f32 v34, v44, v30 :: v_dual_add_f32 v36, v45, v32
	v_mul_f32_e32 v30, v3, v43
	v_dual_fma_f32 v30, v2, v42, -v30 :: v_dual_mul_f32 v2, v2, v43
	s_delay_alu instid0(VALU_DEP_1) | instskip(NEXT) | instid1(VALU_DEP_1)
	v_fmac_f32_e32 v2, v3, v42
	v_dual_add_f32 v32, v0, v2 :: v_dual_mul_f32 v0, v39, v41
	s_delay_alu instid0(VALU_DEP_3) | instskip(NEXT) | instid1(VALU_DEP_1)
	v_dual_add_f32 v30, v1, v30 :: v_dual_mul_f32 v1, v38, v41
	v_dual_fma_f32 v0, v38, v40, -v0 :: v_dual_fmac_f32 v1, v39, v40
	s_delay_alu instid0(VALU_DEP_1) | instskip(NEXT) | instid1(VALU_DEP_2)
	v_dual_add_f32 v26, v26, v0 :: v_dual_mul_f32 v0, v39, v43
	v_dual_add_f32 v28, v28, v1 :: v_dual_mul_f32 v1, v38, v43
	s_delay_alu instid0(VALU_DEP_1) | instskip(NEXT) | instid1(VALU_DEP_1)
	v_dual_fma_f32 v0, v38, v42, -v0 :: v_dual_fmac_f32 v1, v39, v42
	v_dual_add_f32 v6, v6, v0 :: v_dual_add_f32 v24, v24, v1
	s_cbranch_scc0 .LBB97_15
.LBB97_9:                               ;   Parent Loop BB97_6 Depth=1
                                        ; =>  This Inner Loop Header: Depth=2
	v_add_nc_u32_e32 v0, s18, v25
	s_delay_alu instid0(VALU_DEP_1) | instskip(SKIP_1) | instid1(SALU_CYCLE_1)
	v_cmp_le_i32_e32 vcc_lo, s5, v0
	s_or_b32 s19, s26, vcc_lo
	s_and_saveexec_b32 s27, s19
	s_delay_alu instid0(SALU_CYCLE_1)
	s_xor_b32 s19, exec_lo, s27
; %bb.10:                               ;   in Loop: Header=BB97_9 Depth=2
	ds_store_b32 v27, v7
; %bb.11:                               ;   in Loop: Header=BB97_9 Depth=2
	s_or_saveexec_b32 s19, s19
	v_dual_mov_b32 v0, 0 :: v_dual_mov_b32 v2, 0
	s_xor_b32 exec_lo, exec_lo, s19
	s_cbranch_execz .LBB97_13
; %bb.12:                               ;   in Loop: Header=BB97_9 Depth=2
	global_load_b64 v[38:39], v[20:21], off offset:-4
	s_wait_loadcnt 0x0
	v_xor_b32_e32 v2, 0x80000000, v39
	ds_store_b32 v27, v38
.LBB97_13:                              ;   in Loop: Header=BB97_9 Depth=2
	s_wait_xcnt 0x0
	s_or_b32 exec_lo, exec_lo, s19
	v_add_nc_u32_e32 v1, s18, v4
	ds_store_b32 v27, v2 offset:4
	v_cmp_gt_i32_e32 vcc_lo, s5, v1
	v_mov_b32_e32 v1, 0
	s_and_b32 s27, vcc_lo, s0
	s_delay_alu instid0(SALU_CYCLE_1)
	s_and_saveexec_b32 s19, s27
	s_cbranch_execz .LBB97_8
; %bb.14:                               ;   in Loop: Header=BB97_9 Depth=2
	global_load_b64 v[0:1], v[22:23], off
	s_branch .LBB97_8
.LBB97_15:                              ;   in Loop: Header=BB97_6 Depth=1
	s_mul_u64 s[18:19], s[24:25], s[22:23]
	s_delay_alu instid0(SALU_CYCLE_1) | instskip(NEXT) | instid1(SALU_CYCLE_1)
	s_lshl_b64 s[18:19], s[18:19], 3
	s_add_nc_u64 s[18:19], s[12:13], s[18:19]
	s_delay_alu instid0(SALU_CYCLE_1)
	v_lshl_add_u64 v[0:1], v[12:13], 3, s[18:19]
	s_and_saveexec_b32 s27, s33
	s_cbranch_execz .LBB97_20
; %bb.16:                               ;   in Loop: Header=BB97_6 Depth=1
	v_mov_b64_e32 v[2:3], s[14:15]
	v_mov_b64_e32 v[20:21], s[6:7]
	s_and_b32 vcc_lo, exec_lo, s31
	s_mov_b32 s28, -1
	s_delay_alu instid0(VALU_DEP_2) | instskip(NEXT) | instid1(VALU_DEP_1)
	v_pk_mul_f32 v[2:3], v[36:37], v[2:3] op_sel_hi:[0,1]
	v_pk_fma_f32 v[22:23], v[34:35], v[20:21], v[2:3] op_sel_hi:[0,1,1]
	v_pk_fma_f32 v[2:3], v[34:35], v[20:21], v[2:3] neg_lo:[0,0,1] neg_hi:[0,0,1]
	v_lshl_add_u64 v[20:21], v[8:9], 3, v[0:1]
	s_delay_alu instid0(VALU_DEP_3)
	v_mov_b32_e32 v3, v23
	s_cbranch_vccz .LBB97_18
; %bb.17:                               ;   in Loop: Header=BB97_6 Depth=1
	global_load_b64 v[22:23], v[20:21], off
	v_mov_b64_e32 v[34:35], s[20:21]
	v_mov_b64_e32 v[36:37], s[2:3]
	s_mov_b32 s28, 0
	s_wait_loadcnt 0x0
	s_delay_alu instid0(VALU_DEP_2) | instskip(NEXT) | instid1(VALU_DEP_1)
	v_pk_mul_f32 v[34:35], v[22:23], v[34:35]
	v_pk_fma_f32 v[38:39], v[22:23], v[36:37], v[34:35] op_sel:[0,0,1] op_sel_hi:[1,1,0]
	v_pk_fma_f32 v[22:23], v[22:23], v[36:37], v[34:35] op_sel:[0,0,1] op_sel_hi:[1,1,0] neg_lo:[0,0,1] neg_hi:[0,0,1]
	s_delay_alu instid0(VALU_DEP_2) | instskip(NEXT) | instid1(VALU_DEP_1)
	v_mov_b32_e32 v23, v39
	v_pk_add_f32 v[22:23], v[2:3], v[22:23]
	global_store_b64 v[20:21], v[22:23], off
.LBB97_18:                              ;   in Loop: Header=BB97_6 Depth=1
	s_and_not1_b32 vcc_lo, exec_lo, s28
	s_cbranch_vccnz .LBB97_20
; %bb.19:                               ;   in Loop: Header=BB97_6 Depth=1
	global_store_b64 v[20:21], v[2:3], off
.LBB97_20:                              ;   in Loop: Header=BB97_6 Depth=1
	s_wait_xcnt 0x0
	s_or_b32 exec_lo, exec_lo, s27
	s_and_saveexec_b32 s27, s34
	s_cbranch_execz .LBB97_25
; %bb.21:                               ;   in Loop: Header=BB97_6 Depth=1
	v_mov_b64_e32 v[2:3], s[14:15]
	v_mov_b64_e32 v[20:21], s[6:7]
	v_lshl_add_u64 v[0:1], v[10:11], 3, v[0:1]
	s_and_not1_b32 vcc_lo, exec_lo, s31
	s_mov_b32 s28, -1
	s_delay_alu instid0(VALU_DEP_3) | instskip(NEXT) | instid1(VALU_DEP_1)
	v_pk_mul_f32 v[2:3], v[32:33], v[2:3] op_sel_hi:[0,1]
	v_pk_fma_f32 v[22:23], v[30:31], v[20:21], v[2:3] op_sel_hi:[0,1,1]
	v_pk_fma_f32 v[2:3], v[30:31], v[20:21], v[2:3] neg_lo:[0,0,1] neg_hi:[0,0,1]
	s_delay_alu instid0(VALU_DEP_2)
	v_mov_b32_e32 v3, v23
	s_cbranch_vccnz .LBB97_23
; %bb.22:                               ;   in Loop: Header=BB97_6 Depth=1
	global_load_b64 v[20:21], v[0:1], off
	v_mov_b64_e32 v[22:23], s[20:21]
	v_mov_b64_e32 v[32:33], s[2:3]
	s_mov_b32 s28, 0
	s_wait_loadcnt 0x0
	s_delay_alu instid0(VALU_DEP_2) | instskip(NEXT) | instid1(VALU_DEP_1)
	v_pk_mul_f32 v[22:23], v[20:21], v[22:23]
	v_pk_fma_f32 v[34:35], v[20:21], v[32:33], v[22:23] op_sel:[0,0,1] op_sel_hi:[1,1,0]
	v_pk_fma_f32 v[20:21], v[20:21], v[32:33], v[22:23] op_sel:[0,0,1] op_sel_hi:[1,1,0] neg_lo:[0,0,1] neg_hi:[0,0,1]
	s_delay_alu instid0(VALU_DEP_2) | instskip(NEXT) | instid1(VALU_DEP_1)
	v_mov_b32_e32 v21, v35
	v_pk_add_f32 v[20:21], v[2:3], v[20:21]
	global_store_b64 v[0:1], v[20:21], off
.LBB97_23:                              ;   in Loop: Header=BB97_6 Depth=1
	s_and_not1_b32 vcc_lo, exec_lo, s28
	s_cbranch_vccnz .LBB97_25
; %bb.24:                               ;   in Loop: Header=BB97_6 Depth=1
	global_store_b64 v[0:1], v[2:3], off
.LBB97_25:                              ;   in Loop: Header=BB97_6 Depth=1
	s_wait_xcnt 0x0
	s_or_b32 exec_lo, exec_lo, s27
	v_lshl_add_u64 v[0:1], v[14:15], 3, s[18:19]
	s_and_saveexec_b32 s18, s4
	s_cbranch_execz .LBB97_30
; %bb.26:                               ;   in Loop: Header=BB97_6 Depth=1
	v_mov_b64_e32 v[2:3], s[14:15]
	v_mov_b64_e32 v[20:21], s[6:7]
	s_and_not1_b32 vcc_lo, exec_lo, s31
	s_mov_b32 s19, -1
	s_delay_alu instid0(VALU_DEP_2) | instskip(NEXT) | instid1(VALU_DEP_1)
	v_pk_mul_f32 v[2:3], v[28:29], v[2:3] op_sel_hi:[0,1]
	v_pk_fma_f32 v[22:23], v[26:27], v[20:21], v[2:3] op_sel_hi:[0,1,1]
	v_pk_fma_f32 v[2:3], v[26:27], v[20:21], v[2:3] neg_lo:[0,0,1] neg_hi:[0,0,1]
	v_lshl_add_u64 v[20:21], v[8:9], 3, v[0:1]
	s_delay_alu instid0(VALU_DEP_3)
	v_mov_b32_e32 v3, v23
	s_cbranch_vccnz .LBB97_28
; %bb.27:                               ;   in Loop: Header=BB97_6 Depth=1
	global_load_b64 v[22:23], v[20:21], off
	v_mov_b64_e32 v[32:33], s[20:21]
	v_mov_b64_e32 v[34:35], s[2:3]
	s_mov_b32 s19, 0
	s_wait_loadcnt 0x0
	s_delay_alu instid0(VALU_DEP_2) | instskip(NEXT) | instid1(VALU_DEP_1)
	v_pk_mul_f32 v[32:33], v[22:23], v[32:33]
	v_pk_fma_f32 v[36:37], v[22:23], v[34:35], v[32:33] op_sel:[0,0,1] op_sel_hi:[1,1,0]
	v_pk_fma_f32 v[22:23], v[22:23], v[34:35], v[32:33] op_sel:[0,0,1] op_sel_hi:[1,1,0] neg_lo:[0,0,1] neg_hi:[0,0,1]
	s_delay_alu instid0(VALU_DEP_2) | instskip(NEXT) | instid1(VALU_DEP_1)
	v_mov_b32_e32 v23, v37
	v_pk_add_f32 v[22:23], v[2:3], v[22:23]
	global_store_b64 v[20:21], v[22:23], off
.LBB97_28:                              ;   in Loop: Header=BB97_6 Depth=1
	s_and_not1_b32 vcc_lo, exec_lo, s19
	s_cbranch_vccnz .LBB97_30
; %bb.29:                               ;   in Loop: Header=BB97_6 Depth=1
	global_store_b64 v[20:21], v[2:3], off
.LBB97_30:                              ;   in Loop: Header=BB97_6 Depth=1
	s_wait_xcnt 0x0
	s_or_b32 exec_lo, exec_lo, s18
	s_and_saveexec_b32 s18, s1
	s_cbranch_execz .LBB97_5
; %bb.31:                               ;   in Loop: Header=BB97_6 Depth=1
	v_mov_b64_e32 v[2:3], s[14:15]
	v_mov_b64_e32 v[20:21], s[6:7]
	v_lshl_add_u64 v[0:1], v[10:11], 3, v[0:1]
	s_and_not1_b32 vcc_lo, exec_lo, s31
	s_mov_b32 s19, -1
	s_delay_alu instid0(VALU_DEP_3) | instskip(NEXT) | instid1(VALU_DEP_1)
	v_pk_mul_f32 v[2:3], v[24:25], v[2:3] op_sel_hi:[0,1]
	v_pk_fma_f32 v[22:23], v[6:7], v[20:21], v[2:3] op_sel_hi:[0,1,1]
	v_pk_fma_f32 v[2:3], v[6:7], v[20:21], v[2:3] neg_lo:[0,0,1] neg_hi:[0,0,1]
	s_delay_alu instid0(VALU_DEP_2)
	v_mov_b32_e32 v3, v23
	s_cbranch_vccnz .LBB97_33
; %bb.32:                               ;   in Loop: Header=BB97_6 Depth=1
	global_load_b64 v[20:21], v[0:1], off
	v_mov_b64_e32 v[22:23], s[20:21]
	v_mov_b64_e32 v[32:33], s[2:3]
	s_mov_b32 s19, 0
	s_wait_loadcnt 0x0
	s_delay_alu instid0(VALU_DEP_2) | instskip(NEXT) | instid1(VALU_DEP_1)
	v_pk_mul_f32 v[22:23], v[20:21], v[22:23]
	v_pk_fma_f32 v[34:35], v[20:21], v[32:33], v[22:23] op_sel:[0,0,1] op_sel_hi:[1,1,0]
	v_pk_fma_f32 v[20:21], v[20:21], v[32:33], v[22:23] op_sel:[0,0,1] op_sel_hi:[1,1,0] neg_lo:[0,0,1] neg_hi:[0,0,1]
	s_delay_alu instid0(VALU_DEP_2) | instskip(NEXT) | instid1(VALU_DEP_1)
	v_mov_b32_e32 v21, v35
	v_pk_add_f32 v[20:21], v[2:3], v[20:21]
	global_store_b64 v[0:1], v[20:21], off
.LBB97_33:                              ;   in Loop: Header=BB97_6 Depth=1
	s_and_not1_b32 vcc_lo, exec_lo, s19
	s_cbranch_vccnz .LBB97_5
; %bb.34:                               ;   in Loop: Header=BB97_6 Depth=1
	global_store_b64 v[0:1], v[2:3], off
	s_branch .LBB97_5
.LBB97_35:
	s_endpgm
	.section	.rodata,"a",@progbits
	.p2align	6, 0x0
	.amdhsa_kernel _ZL29rocblas_internal_gemmt_kernelIiLi16ELi32ELi8ELc67ELc84ELc85ELb1ELb0E19rocblas_complex_numIfES1_PKS1_PS1_EviT_T9_T10_S5_lS7_S5_lS6_T11_S5_li
		.amdhsa_group_segment_fixed_size 4096
		.amdhsa_private_segment_fixed_size 0
		.amdhsa_kernarg_size 100
		.amdhsa_user_sgpr_count 2
		.amdhsa_user_sgpr_dispatch_ptr 0
		.amdhsa_user_sgpr_queue_ptr 0
		.amdhsa_user_sgpr_kernarg_segment_ptr 1
		.amdhsa_user_sgpr_dispatch_id 0
		.amdhsa_user_sgpr_kernarg_preload_length 0
		.amdhsa_user_sgpr_kernarg_preload_offset 0
		.amdhsa_user_sgpr_private_segment_size 0
		.amdhsa_wavefront_size32 1
		.amdhsa_uses_dynamic_stack 0
		.amdhsa_enable_private_segment 0
		.amdhsa_system_sgpr_workgroup_id_x 1
		.amdhsa_system_sgpr_workgroup_id_y 1
		.amdhsa_system_sgpr_workgroup_id_z 1
		.amdhsa_system_sgpr_workgroup_info 0
		.amdhsa_system_vgpr_workitem_id 1
		.amdhsa_next_free_vgpr 57
		.amdhsa_next_free_sgpr 36
		.amdhsa_named_barrier_count 0
		.amdhsa_reserve_vcc 1
		.amdhsa_float_round_mode_32 0
		.amdhsa_float_round_mode_16_64 0
		.amdhsa_float_denorm_mode_32 3
		.amdhsa_float_denorm_mode_16_64 3
		.amdhsa_fp16_overflow 0
		.amdhsa_memory_ordered 1
		.amdhsa_forward_progress 1
		.amdhsa_inst_pref_size 26
		.amdhsa_round_robin_scheduling 0
		.amdhsa_exception_fp_ieee_invalid_op 0
		.amdhsa_exception_fp_denorm_src 0
		.amdhsa_exception_fp_ieee_div_zero 0
		.amdhsa_exception_fp_ieee_overflow 0
		.amdhsa_exception_fp_ieee_underflow 0
		.amdhsa_exception_fp_ieee_inexact 0
		.amdhsa_exception_int_div_zero 0
	.end_amdhsa_kernel
	.section	.text._ZL29rocblas_internal_gemmt_kernelIiLi16ELi32ELi8ELc67ELc84ELc85ELb1ELb0E19rocblas_complex_numIfES1_PKS1_PS1_EviT_T9_T10_S5_lS7_S5_lS6_T11_S5_li,"axG",@progbits,_ZL29rocblas_internal_gemmt_kernelIiLi16ELi32ELi8ELc67ELc84ELc85ELb1ELb0E19rocblas_complex_numIfES1_PKS1_PS1_EviT_T9_T10_S5_lS7_S5_lS6_T11_S5_li,comdat
.Lfunc_end97:
	.size	_ZL29rocblas_internal_gemmt_kernelIiLi16ELi32ELi8ELc67ELc84ELc85ELb1ELb0E19rocblas_complex_numIfES1_PKS1_PS1_EviT_T9_T10_S5_lS7_S5_lS6_T11_S5_li, .Lfunc_end97-_ZL29rocblas_internal_gemmt_kernelIiLi16ELi32ELi8ELc67ELc84ELc85ELb1ELb0E19rocblas_complex_numIfES1_PKS1_PS1_EviT_T9_T10_S5_lS7_S5_lS6_T11_S5_li
                                        ; -- End function
	.set _ZL29rocblas_internal_gemmt_kernelIiLi16ELi32ELi8ELc67ELc84ELc85ELb1ELb0E19rocblas_complex_numIfES1_PKS1_PS1_EviT_T9_T10_S5_lS7_S5_lS6_T11_S5_li.num_vgpr, 57
	.set _ZL29rocblas_internal_gemmt_kernelIiLi16ELi32ELi8ELc67ELc84ELc85ELb1ELb0E19rocblas_complex_numIfES1_PKS1_PS1_EviT_T9_T10_S5_lS7_S5_lS6_T11_S5_li.num_agpr, 0
	.set _ZL29rocblas_internal_gemmt_kernelIiLi16ELi32ELi8ELc67ELc84ELc85ELb1ELb0E19rocblas_complex_numIfES1_PKS1_PS1_EviT_T9_T10_S5_lS7_S5_lS6_T11_S5_li.numbered_sgpr, 36
	.set _ZL29rocblas_internal_gemmt_kernelIiLi16ELi32ELi8ELc67ELc84ELc85ELb1ELb0E19rocblas_complex_numIfES1_PKS1_PS1_EviT_T9_T10_S5_lS7_S5_lS6_T11_S5_li.num_named_barrier, 0
	.set _ZL29rocblas_internal_gemmt_kernelIiLi16ELi32ELi8ELc67ELc84ELc85ELb1ELb0E19rocblas_complex_numIfES1_PKS1_PS1_EviT_T9_T10_S5_lS7_S5_lS6_T11_S5_li.private_seg_size, 0
	.set _ZL29rocblas_internal_gemmt_kernelIiLi16ELi32ELi8ELc67ELc84ELc85ELb1ELb0E19rocblas_complex_numIfES1_PKS1_PS1_EviT_T9_T10_S5_lS7_S5_lS6_T11_S5_li.uses_vcc, 1
	.set _ZL29rocblas_internal_gemmt_kernelIiLi16ELi32ELi8ELc67ELc84ELc85ELb1ELb0E19rocblas_complex_numIfES1_PKS1_PS1_EviT_T9_T10_S5_lS7_S5_lS6_T11_S5_li.uses_flat_scratch, 0
	.set _ZL29rocblas_internal_gemmt_kernelIiLi16ELi32ELi8ELc67ELc84ELc85ELb1ELb0E19rocblas_complex_numIfES1_PKS1_PS1_EviT_T9_T10_S5_lS7_S5_lS6_T11_S5_li.has_dyn_sized_stack, 0
	.set _ZL29rocblas_internal_gemmt_kernelIiLi16ELi32ELi8ELc67ELc84ELc85ELb1ELb0E19rocblas_complex_numIfES1_PKS1_PS1_EviT_T9_T10_S5_lS7_S5_lS6_T11_S5_li.has_recursion, 0
	.set _ZL29rocblas_internal_gemmt_kernelIiLi16ELi32ELi8ELc67ELc84ELc85ELb1ELb0E19rocblas_complex_numIfES1_PKS1_PS1_EviT_T9_T10_S5_lS7_S5_lS6_T11_S5_li.has_indirect_call, 0
	.section	.AMDGPU.csdata,"",@progbits
; Kernel info:
; codeLenInByte = 3244
; TotalNumSgprs: 38
; NumVgprs: 57
; ScratchSize: 0
; MemoryBound: 0
; FloatMode: 240
; IeeeMode: 1
; LDSByteSize: 4096 bytes/workgroup (compile time only)
; SGPRBlocks: 0
; VGPRBlocks: 3
; NumSGPRsForWavesPerEU: 38
; NumVGPRsForWavesPerEU: 57
; NamedBarCnt: 0
; Occupancy: 16
; WaveLimiterHint : 0
; COMPUTE_PGM_RSRC2:SCRATCH_EN: 0
; COMPUTE_PGM_RSRC2:USER_SGPR: 2
; COMPUTE_PGM_RSRC2:TRAP_HANDLER: 0
; COMPUTE_PGM_RSRC2:TGID_X_EN: 1
; COMPUTE_PGM_RSRC2:TGID_Y_EN: 1
; COMPUTE_PGM_RSRC2:TGID_Z_EN: 1
; COMPUTE_PGM_RSRC2:TIDIG_COMP_CNT: 1
	.section	.text._ZL29rocblas_internal_gemmt_kernelIiLi16ELi32ELi8ELc67ELc67ELc85ELb1ELb1E19rocblas_complex_numIfES1_PKS1_PS1_EviT_T9_T10_S5_lS7_S5_lS6_T11_S5_li,"axG",@progbits,_ZL29rocblas_internal_gemmt_kernelIiLi16ELi32ELi8ELc67ELc67ELc85ELb1ELb1E19rocblas_complex_numIfES1_PKS1_PS1_EviT_T9_T10_S5_lS7_S5_lS6_T11_S5_li,comdat
	.globl	_ZL29rocblas_internal_gemmt_kernelIiLi16ELi32ELi8ELc67ELc67ELc85ELb1ELb1E19rocblas_complex_numIfES1_PKS1_PS1_EviT_T9_T10_S5_lS7_S5_lS6_T11_S5_li ; -- Begin function _ZL29rocblas_internal_gemmt_kernelIiLi16ELi32ELi8ELc67ELc67ELc85ELb1ELb1E19rocblas_complex_numIfES1_PKS1_PS1_EviT_T9_T10_S5_lS7_S5_lS6_T11_S5_li
	.p2align	8
	.type	_ZL29rocblas_internal_gemmt_kernelIiLi16ELi32ELi8ELc67ELc67ELc85ELb1ELb1E19rocblas_complex_numIfES1_PKS1_PS1_EviT_T9_T10_S5_lS7_S5_lS6_T11_S5_li,@function
_ZL29rocblas_internal_gemmt_kernelIiLi16ELi32ELi8ELc67ELc67ELc85ELb1ELb1E19rocblas_complex_numIfES1_PKS1_PS1_EviT_T9_T10_S5_lS7_S5_lS6_T11_S5_li: ; @_ZL29rocblas_internal_gemmt_kernelIiLi16ELi32ELi8ELc67ELc67ELc85ELb1ELb1E19rocblas_complex_numIfES1_PKS1_PS1_EviT_T9_T10_S5_lS7_S5_lS6_T11_S5_li
; %bb.0:
	s_clause 0x1
	s_load_b64 s[20:21], s[0:1], 0x40
	s_load_b128 s[4:7], s[0:1], 0x0
	s_wait_kmcnt 0x0
	s_cmp_neq_f32 s20, 1.0
	s_cselect_b32 s2, -1, 0
	s_and_b32 s3, s21, 0x7fffffff
	s_delay_alu instid0(SALU_CYCLE_1) | instskip(SKIP_3) | instid1(SALU_CYCLE_1)
	s_cmp_eq_u32 s3, 0
	s_cselect_b32 s30, -1, 0
	s_cmp_lg_u32 s3, 0
	s_cselect_b32 s3, -1, 0
	s_or_b32 s2, s2, s3
	s_delay_alu instid0(SALU_CYCLE_1)
	s_and_b32 vcc_lo, exec_lo, s2
	s_cbranch_vccnz .LBB98_2
; %bb.1:
	s_cmp_lg_u32 s5, 0
	s_cselect_b32 s2, -1, 0
	s_cmp_neq_f32 s6, 0
	s_cselect_b32 s3, -1, 0
	s_cmp_neq_f32 s7, 0
	s_cselect_b32 s8, -1, 0
	s_delay_alu instid0(SALU_CYCLE_1) | instskip(NEXT) | instid1(SALU_CYCLE_1)
	s_or_b32 s3, s3, s8
	s_and_b32 s2, s2, s3
.LBB98_2:
	s_delay_alu instid0(SALU_CYCLE_1)
	s_and_not1_b32 vcc_lo, exec_lo, s2
	s_cbranch_vccnz .LBB98_37
; %bb.3:
	s_load_b32 s19, s[0:1], 0x60
	s_bfe_u32 s2, ttmp6, 0x40014
	s_lshr_b32 s3, ttmp7, 16
	s_add_co_i32 s2, s2, 1
	s_bfe_u32 s9, ttmp6, 0x40008
	s_mul_i32 s8, s3, s2
	s_getreg_b32 s2, hwreg(HW_REG_IB_STS2, 6, 4)
	s_add_co_i32 s9, s9, s8
	s_cmp_eq_u32 s2, 0
	s_mov_b32 s23, 0
	s_cselect_b32 s22, s3, s9
	s_wait_kmcnt 0x0
	s_cmp_ge_u32 s22, s19
	s_cbranch_scc1 .LBB98_37
; %bb.4:
	s_clause 0x2
	s_load_b96 s[16:18], s[0:1], 0x10
	s_load_b32 s26, s[0:1], 0x30
	s_load_b96 s[12:14], s[0:1], 0x48
	v_and_b32_e32 v6, 0x3ff, v0
	v_bfe_u32 v8, v0, 10, 10
	s_clause 0x2
	s_load_b128 s[8:11], s[0:1], 0x20
	s_load_b64 s[28:29], s[0:1], 0x38
	s_load_b64 s[24:25], s[0:1], 0x58
	s_wait_xcnt 0x0
	s_bfe_u32 s1, ttmp6, 0x4000c
	s_bfe_u32 s3, ttmp6, 0x40010
	s_and_b32 s31, ttmp7, 0xffff
	v_lshl_add_u32 v1, v8, 4, v6
	s_add_co_i32 s1, s1, 1
	s_add_co_i32 s3, s3, 1
	s_and_b32 s0, ttmp6, 15
	s_mul_i32 s1, ttmp9, s1
	s_mul_i32 s33, s31, s3
	s_bfe_u32 s34, ttmp6, 0x40004
	v_dual_lshrrev_b32 v25, 5, v1 :: v_dual_bitop2_b32 v4, 7, v0 bitop3:0x40
	s_add_co_i32 s0, s0, s1
	s_add_co_i32 s34, s34, s33
	s_wait_kmcnt 0x0
	s_ashr_i32 s3, s18, 31
	s_ashr_i32 s27, s26, 31
	;; [unrolled: 1-line block ×3, first 2 shown]
	v_dual_mov_b32 v7, 0 :: v_dual_lshlrev_b32 v9, 3, v4
	s_cmp_eq_u32 s2, 0
	v_dual_lshrrev_b32 v1, 3, v1 :: v_dual_bitop2_b32 v3, 31, v1 bitop3:0x40
	s_cselect_b32 s0, ttmp9, s0
	s_cselect_b32 s1, s31, s34
	s_lshl_b32 s31, s0, 5
	v_mov_b32_e32 v5, v7
	s_lshl_b32 s1, s1, 5
	s_delay_alu instid0(SALU_CYCLE_1) | instskip(SKIP_1) | instid1(VALU_DEP_3)
	v_dual_add_nc_u32 v2, s1, v1 :: v_dual_bitop2_b32 v0, s31, v3 bitop3:0x54
	v_lshlrev_b32_e32 v3, 3, v3
	v_mul_u64_e32 v[16:17], s[26:27], v[4:5]
	v_lshl_or_b32 v9, v1, 6, v9
	s_delay_alu instid0(VALU_DEP_4)
	v_ashrrev_i32_e32 v1, 31, v0
	v_dual_add_nc_u32 v18, s1, v8 :: v_dual_lshlrev_b32 v29, 3, v6
	s_mov_b32 s2, s18
	v_cmp_gt_i32_e32 vcc_lo, s4, v0
	v_lshl_or_b32 v5, v25, 8, v3
	v_ashrrev_i32_e32 v3, 31, v2
	v_mul_u64_e32 v[0:1], s[2:3], v[0:1]
	v_dual_add_nc_u32 v20, 16, v18 :: v_dual_ashrrev_i32 v19, 31, v18
	v_lshl_add_u32 v31, v8, 6, 0x800
	v_add_nc_u32_e32 v8, s31, v6
	s_cmp_neq_f32 s6, 0
	s_delay_alu instid0(VALU_DEP_3)
	v_ashrrev_i32_e32 v21, 31, v20
	v_mul_u64_e32 v[12:13], s[14:15], v[18:19]
	v_add_nc_u32_e32 v27, 0x800, v9
	s_cselect_b32 s0, -1, 0
	s_cmp_neq_f32 s7, 0
	v_mul_u64_e32 v[14:15], s[14:15], v[20:21]
	v_dual_add_nc_u32 v10, 16, v8 :: v_dual_ashrrev_i32 v9, 31, v8
	s_cselect_b32 s18, -1, 0
	v_lshlrev_b32_e32 v6, 3, v25
	s_or_b32 s34, s0, s18
	v_cmp_gt_i32_e64 s0, s4, v2
	v_lshlrev_b64_e32 v[2:3], 3, v[2:3]
	v_ashrrev_i32_e32 v11, 31, v10
	s_cmp_gt_i32 s5, 0
	v_cmp_gt_i32_e64 s1, s4, v18
	s_cselect_b32 s35, -1, 0
	s_cmp_neq_f32 s20, 0
	v_cmp_le_i32_e64 s2, v8, v18
	v_lshl_add_u64 v[2:3], v[16:17], 3, v[2:3]
	v_cmp_le_i32_e64 s3, v10, v18
	s_cselect_b32 s18, -1, 0
	s_xor_b32 s30, s30, -1
	s_lshl_b64 s[8:9], s[8:9], 3
	v_add_nc_u64_e32 v[2:3], s[10:11], v[2:3]
	s_or_b32 s18, s18, s30
	v_lshl_add_u64 v[0:1], v[0:1], 3, v[6:7]
	s_and_b32 s30, s1, s2
	s_and_b32 s31, s1, s3
	v_cmp_gt_i32_e64 s1, s4, v20
	v_cmp_le_i32_e64 s2, v8, v20
	v_cmp_le_i32_e64 s3, v10, v20
	v_add_nc_u64_e32 v[16:17], s[16:17], v[0:1]
	v_add_nc_u64_e32 v[18:19], 4, v[2:3]
	s_mov_b32 s10, s7
	s_and_b32 s4, s1, s2
	s_and_b32 s33, s1, s3
	s_mov_b32 s2, s20
	s_mov_b32 s3, s20
	s_mov_b32 s20, s21
	s_mov_b32 s11, s6
	s_lshl_b64 s[14:15], s[28:29], 3
	s_and_b32 s28, s34, s35
	s_lshl_b64 s[16:17], s[26:27], 6
	s_xor_b32 s26, vcc_lo, -1
	s_xor_b32 s27, s0, -1
	s_branch .LBB98_6
.LBB98_5:                               ;   in Loop: Header=BB98_6 Depth=1
	s_wait_xcnt 0x0
	s_or_b32 exec_lo, exec_lo, s0
	s_add_co_i32 s22, s22, 0x10000
	s_delay_alu instid0(SALU_CYCLE_1)
	s_cmp_lt_u32 s22, s19
	s_cbranch_scc0 .LBB98_37
.LBB98_6:                               ; =>This Loop Header: Depth=1
                                        ;     Child Loop BB98_9 Depth 2
	v_dual_mov_b32 v34, 0 :: v_dual_mov_b32 v36, 0
	v_dual_mov_b32 v30, 0 :: v_dual_mov_b32 v32, 0
	;; [unrolled: 1-line block ×4, first 2 shown]
	s_and_not1_b32 vcc_lo, exec_lo, s28
	s_cbranch_vccnz .LBB98_17
; %bb.7:                                ;   in Loop: Header=BB98_6 Depth=1
	v_mad_nc_u64_u32 v[20:21], s8, s22, v[16:17]
	v_mad_nc_u64_u32 v[22:23], s14, s22, v[18:19]
	v_dual_mov_b32 v24, 0 :: v_dual_mov_b32 v6, 0
	v_dual_mov_b32 v28, 0 :: v_dual_mov_b32 v26, 0
	;; [unrolled: 1-line block ×4, first 2 shown]
	s_mov_b32 s0, 0
	v_mad_u32 v21, s9, s22, v21
	v_mad_u32 v23, s15, s22, v23
	s_branch .LBB98_9
.LBB98_8:                               ;   in Loop: Header=BB98_9 Depth=2
	s_wait_xcnt 0x0
	s_or_b32 exec_lo, exec_lo, s1
	ds_store_b32 v27, v0 offset:4
	s_wait_dscnt 0x0
	s_barrier_signal -1
	s_barrier_wait -1
	ds_load_b128 v[38:41], v31
	ds_load_b128 v[42:45], v31 offset:16
	ds_load_b128 v[46:49], v31 offset:32
	;; [unrolled: 1-line block ×3, first 2 shown]
	ds_load_2addr_b64 v[50:53], v29 offset1:16
	v_add_nc_u64_e32 v[20:21], 64, v[20:21]
	v_add_nc_u64_e32 v[22:23], s[16:17], v[22:23]
	s_add_co_i32 s0, s0, 8
	s_delay_alu instid0(SALU_CYCLE_1) | instskip(SKIP_2) | instid1(VALU_DEP_1)
	s_cmp_lt_i32 s0, s5
	s_wait_dscnt 0x0
	v_dual_mul_f32 v33, v39, v51 :: v_dual_mul_f32 v35, v38, v51
	v_dual_fma_f32 v33, v38, v50, -v33 :: v_dual_fmac_f32 v35, v39, v50
	s_delay_alu instid0(VALU_DEP_1) | instskip(SKIP_1) | instid1(VALU_DEP_1)
	v_dual_add_f32 v54, v34, v33 :: v_dual_add_f32 v55, v36, v35
	v_dual_mul_f32 v33, v39, v53 :: v_dual_mul_f32 v34, v38, v53
	v_dual_fma_f32 v33, v38, v52, -v33 :: v_dual_fmac_f32 v34, v39, v52
	s_delay_alu instid0(VALU_DEP_1) | instskip(SKIP_3) | instid1(VALU_DEP_1)
	v_dual_add_f32 v30, v30, v33 :: v_dual_add_f32 v56, v32, v34
	ds_load_b128 v[32:35], v31 offset:1024
	s_wait_dscnt 0x0
	v_dual_mul_f32 v36, v33, v51 :: v_dual_mul_f32 v37, v32, v51
	v_dual_fma_f32 v36, v32, v50, -v36 :: v_dual_fmac_f32 v37, v33, v50
	s_delay_alu instid0(VALU_DEP_1) | instskip(SKIP_1) | instid1(VALU_DEP_1)
	v_dual_add_f32 v26, v26, v36 :: v_dual_add_f32 v28, v28, v37
	v_mul_f32_e32 v36, v33, v53
	v_dual_fma_f32 v36, v32, v52, -v36 :: v_dual_mul_f32 v32, v32, v53
	s_delay_alu instid0(VALU_DEP_1) | instskip(SKIP_3) | instid1(VALU_DEP_1)
	v_add_f32_e32 v6, v6, v36
	ds_load_2addr_b64 v[36:39], v29 offset0:32 offset1:48
	s_wait_dscnt 0x0
	v_dual_fmac_f32 v32, v33, v52 :: v_dual_mul_f32 v33, v40, v37
	v_dual_add_f32 v24, v24, v32 :: v_dual_mul_f32 v32, v41, v37
	s_delay_alu instid0(VALU_DEP_1) | instskip(NEXT) | instid1(VALU_DEP_1)
	v_dual_fmac_f32 v33, v41, v36 :: v_dual_fma_f32 v32, v40, v36, -v32
	v_dual_add_f32 v50, v54, v32 :: v_dual_mul_f32 v32, v41, v39
	s_delay_alu instid0(VALU_DEP_1) | instskip(NEXT) | instid1(VALU_DEP_1)
	v_dual_add_f32 v51, v55, v33 :: v_dual_fma_f32 v32, v40, v38, -v32
	v_dual_mul_f32 v33, v40, v39 :: v_dual_add_f32 v30, v30, v32
	s_delay_alu instid0(VALU_DEP_1) | instskip(NEXT) | instid1(VALU_DEP_1)
	v_dual_fmac_f32 v33, v41, v38 :: v_dual_mul_f32 v32, v35, v37
	v_dual_add_f32 v40, v56, v33 :: v_dual_fma_f32 v32, v34, v36, -v32
	v_mul_f32_e32 v33, v34, v37
	s_delay_alu instid0(VALU_DEP_2) | instskip(NEXT) | instid1(VALU_DEP_1)
	v_dual_add_f32 v26, v26, v32 :: v_dual_mul_f32 v32, v35, v39
	v_dual_fmac_f32 v33, v35, v36 :: v_dual_fma_f32 v32, v34, v38, -v32
	s_delay_alu instid0(VALU_DEP_1) | instskip(NEXT) | instid1(VALU_DEP_1)
	v_dual_add_f32 v28, v28, v33 :: v_dual_mul_f32 v33, v34, v39
	v_dual_add_f32 v6, v6, v32 :: v_dual_fmac_f32 v33, v35, v38
	s_delay_alu instid0(VALU_DEP_1) | instskip(SKIP_3) | instid1(VALU_DEP_1)
	v_add_f32_e32 v24, v24, v33
	ds_load_2addr_b64 v[32:35], v29 offset0:64 offset1:80
	s_wait_dscnt 0x0
	v_dual_mul_f32 v36, v43, v33 :: v_dual_mul_f32 v37, v42, v33
	v_dual_fma_f32 v36, v42, v32, -v36 :: v_dual_fmac_f32 v37, v43, v32
	s_delay_alu instid0(VALU_DEP_1) | instskip(SKIP_1) | instid1(VALU_DEP_1)
	v_dual_add_f32 v41, v50, v36 :: v_dual_add_f32 v50, v51, v37
	v_dual_mul_f32 v36, v43, v35 :: v_dual_mul_f32 v37, v42, v35
	v_dual_fma_f32 v36, v42, v34, -v36 :: v_dual_fmac_f32 v37, v43, v34
	s_delay_alu instid0(VALU_DEP_1) | instskip(SKIP_3) | instid1(VALU_DEP_1)
	v_dual_add_f32 v30, v30, v36 :: v_dual_add_f32 v40, v40, v37
	ds_load_b128 v[36:39], v31 offset:1040
	s_wait_dscnt 0x0
	v_dual_mul_f32 v42, v37, v33 :: v_dual_mul_f32 v33, v36, v33
	v_dual_fma_f32 v42, v36, v32, -v42 :: v_dual_fmac_f32 v33, v37, v32
	s_delay_alu instid0(VALU_DEP_1) | instskip(NEXT) | instid1(VALU_DEP_2)
	v_dual_mul_f32 v32, v37, v35 :: v_dual_add_f32 v26, v26, v42
	v_add_f32_e32 v28, v28, v33
	s_delay_alu instid0(VALU_DEP_2) | instskip(NEXT) | instid1(VALU_DEP_1)
	v_dual_mul_f32 v33, v36, v35 :: v_dual_fma_f32 v32, v36, v34, -v32
	v_dual_fmac_f32 v33, v37, v34 :: v_dual_add_f32 v6, v6, v32
	s_delay_alu instid0(VALU_DEP_1) | instskip(SKIP_3) | instid1(VALU_DEP_1)
	v_add_f32_e32 v24, v24, v33
	ds_load_2addr_b64 v[32:35], v29 offset0:96 offset1:112
	s_wait_dscnt 0x0
	v_dual_mul_f32 v36, v45, v33 :: v_dual_mul_f32 v37, v44, v33
	v_dual_mul_f32 v42, v44, v35 :: v_dual_fma_f32 v36, v44, v32, -v36
	s_delay_alu instid0(VALU_DEP_1) | instskip(NEXT) | instid1(VALU_DEP_1)
	v_dual_fmac_f32 v37, v45, v32 :: v_dual_fmac_f32 v42, v45, v34
	v_dual_add_f32 v36, v41, v36 :: v_dual_add_f32 v37, v50, v37
	s_delay_alu instid0(VALU_DEP_2) | instskip(NEXT) | instid1(VALU_DEP_1)
	v_dual_mul_f32 v41, v45, v35 :: v_dual_add_f32 v40, v40, v42
	v_fma_f32 v41, v44, v34, -v41
	s_delay_alu instid0(VALU_DEP_1) | instskip(SKIP_1) | instid1(VALU_DEP_1)
	v_add_f32_e32 v30, v30, v41
	v_dual_mul_f32 v41, v39, v33 :: v_dual_mul_f32 v33, v38, v33
	v_fmac_f32_e32 v33, v39, v32
	s_delay_alu instid0(VALU_DEP_2) | instskip(NEXT) | instid1(VALU_DEP_2)
	v_dual_fma_f32 v41, v38, v32, -v41 :: v_dual_mul_f32 v32, v39, v35
	v_dual_add_f32 v28, v28, v33 :: v_dual_mul_f32 v33, v38, v35
	s_delay_alu instid0(VALU_DEP_2) | instskip(NEXT) | instid1(VALU_DEP_2)
	v_fma_f32 v32, v38, v34, -v32
	v_dual_add_f32 v26, v26, v41 :: v_dual_fmac_f32 v33, v39, v34
	s_delay_alu instid0(VALU_DEP_1) | instskip(SKIP_3) | instid1(VALU_DEP_1)
	v_dual_add_f32 v6, v6, v32 :: v_dual_add_f32 v24, v24, v33
	ds_load_2addr_b64 v[32:35], v29 offset0:128 offset1:144
	s_wait_dscnt 0x0
	v_dual_mul_f32 v38, v47, v33 :: v_dual_mul_f32 v39, v46, v33
	v_dual_fma_f32 v38, v46, v32, -v38 :: v_dual_fmac_f32 v39, v47, v32
	s_delay_alu instid0(VALU_DEP_1) | instskip(SKIP_1) | instid1(VALU_DEP_1)
	v_dual_add_f32 v41, v36, v38 :: v_dual_add_f32 v42, v37, v39
	v_dual_mul_f32 v36, v47, v35 :: v_dual_mul_f32 v37, v46, v35
	v_dual_fma_f32 v36, v46, v34, -v36 :: v_dual_fmac_f32 v37, v47, v34
	s_delay_alu instid0(VALU_DEP_1) | instskip(SKIP_3) | instid1(VALU_DEP_1)
	v_dual_add_f32 v30, v30, v36 :: v_dual_add_f32 v40, v40, v37
	ds_load_b128 v[36:39], v31 offset:1056
	s_wait_dscnt 0x0
	v_dual_mul_f32 v43, v37, v33 :: v_dual_mul_f32 v33, v36, v33
	v_dual_fma_f32 v43, v36, v32, -v43 :: v_dual_fmac_f32 v33, v37, v32
	v_mul_f32_e32 v32, v37, v35
	s_delay_alu instid0(VALU_DEP_2) | instskip(NEXT) | instid1(VALU_DEP_2)
	v_dual_add_f32 v26, v26, v43 :: v_dual_add_f32 v28, v28, v33
	v_dual_mul_f32 v33, v36, v35 :: v_dual_fma_f32 v32, v36, v34, -v32
	s_delay_alu instid0(VALU_DEP_1) | instskip(NEXT) | instid1(VALU_DEP_1)
	v_dual_fmac_f32 v33, v37, v34 :: v_dual_add_f32 v6, v6, v32
	v_add_f32_e32 v24, v24, v33
	ds_load_2addr_b64 v[32:35], v29 offset0:160 offset1:176
	s_wait_dscnt 0x0
	v_dual_mul_f32 v36, v49, v33 :: v_dual_mul_f32 v37, v48, v33
	s_delay_alu instid0(VALU_DEP_1) | instskip(NEXT) | instid1(VALU_DEP_1)
	v_dual_fma_f32 v36, v48, v32, -v36 :: v_dual_fmac_f32 v37, v49, v32
	v_dual_add_f32 v36, v41, v36 :: v_dual_add_f32 v37, v42, v37
	v_dual_mul_f32 v41, v49, v35 :: v_dual_mul_f32 v42, v48, v35
	s_delay_alu instid0(VALU_DEP_1) | instskip(NEXT) | instid1(VALU_DEP_1)
	v_dual_fma_f32 v41, v48, v34, -v41 :: v_dual_fmac_f32 v42, v49, v34
	v_dual_add_f32 v30, v30, v41 :: v_dual_add_f32 v40, v40, v42
	v_dual_mul_f32 v41, v39, v33 :: v_dual_mul_f32 v33, v38, v33
	s_delay_alu instid0(VALU_DEP_1) | instskip(NEXT) | instid1(VALU_DEP_2)
	v_fmac_f32_e32 v33, v39, v32
	v_dual_fma_f32 v41, v38, v32, -v41 :: v_dual_mul_f32 v32, v39, v35
	s_delay_alu instid0(VALU_DEP_2) | instskip(NEXT) | instid1(VALU_DEP_2)
	v_dual_add_f32 v28, v28, v33 :: v_dual_mul_f32 v33, v38, v35
	v_fma_f32 v32, v38, v34, -v32
	s_delay_alu instid0(VALU_DEP_2) | instskip(NEXT) | instid1(VALU_DEP_1)
	v_dual_add_f32 v26, v26, v41 :: v_dual_fmac_f32 v33, v39, v34
	v_dual_add_f32 v6, v6, v32 :: v_dual_add_f32 v24, v24, v33
	ds_load_2addr_b64 v[32:35], v29 offset0:192 offset1:208
	s_wait_dscnt 0x0
	v_dual_mul_f32 v38, v1, v33 :: v_dual_mul_f32 v39, v0, v33
	s_delay_alu instid0(VALU_DEP_1) | instskip(NEXT) | instid1(VALU_DEP_1)
	v_dual_fma_f32 v38, v0, v32, -v38 :: v_dual_fmac_f32 v39, v1, v32
	v_dual_add_f32 v44, v36, v38 :: v_dual_add_f32 v45, v37, v39
	v_mul_f32_e32 v36, v1, v35
	s_delay_alu instid0(VALU_DEP_1) | instskip(NEXT) | instid1(VALU_DEP_1)
	v_dual_fma_f32 v36, v0, v34, -v36 :: v_dual_mul_f32 v0, v0, v35
	v_dual_fmac_f32 v0, v1, v34 :: v_dual_add_f32 v1, v30, v36
	ds_load_b128 v[36:39], v31 offset:1072
	s_wait_dscnt 0x0
	v_dual_mul_f32 v30, v37, v33 :: v_dual_mul_f32 v33, v36, v33
	s_delay_alu instid0(VALU_DEP_1)
	v_fma_f32 v30, v36, v32, -v30
	v_add_f32_e32 v0, v40, v0
	ds_load_2addr_b64 v[40:43], v29 offset0:224 offset1:240
	v_dual_fmac_f32 v33, v37, v32 :: v_dual_mul_f32 v32, v36, v35
	v_dual_add_f32 v26, v26, v30 :: v_dual_mul_f32 v30, v37, v35
	s_wait_dscnt 0x0
	s_delay_alu instid0(VALU_DEP_2) | instskip(SKIP_1) | instid1(VALU_DEP_2)
	v_dual_add_f32 v28, v28, v33 :: v_dual_fmac_f32 v32, v37, v34
	s_barrier_signal -1
	v_fma_f32 v30, v36, v34, -v30
	s_barrier_wait -1
	s_delay_alu instid0(VALU_DEP_1) | instskip(SKIP_1) | instid1(VALU_DEP_1)
	v_dual_add_f32 v24, v24, v32 :: v_dual_add_f32 v6, v6, v30
	v_dual_mul_f32 v30, v3, v41 :: v_dual_mul_f32 v32, v2, v41
	v_dual_fma_f32 v30, v2, v40, -v30 :: v_dual_fmac_f32 v32, v3, v40
	s_delay_alu instid0(VALU_DEP_1) | instskip(SKIP_1) | instid1(VALU_DEP_1)
	v_dual_add_f32 v34, v44, v30 :: v_dual_add_f32 v36, v45, v32
	v_mul_f32_e32 v30, v3, v43
	v_dual_fma_f32 v30, v2, v42, -v30 :: v_dual_mul_f32 v2, v2, v43
	s_delay_alu instid0(VALU_DEP_1) | instskip(NEXT) | instid1(VALU_DEP_1)
	v_fmac_f32_e32 v2, v3, v42
	v_dual_add_f32 v32, v0, v2 :: v_dual_mul_f32 v0, v39, v41
	s_delay_alu instid0(VALU_DEP_3) | instskip(NEXT) | instid1(VALU_DEP_1)
	v_dual_add_f32 v30, v1, v30 :: v_dual_mul_f32 v1, v38, v41
	v_dual_fma_f32 v0, v38, v40, -v0 :: v_dual_fmac_f32 v1, v39, v40
	s_delay_alu instid0(VALU_DEP_1) | instskip(NEXT) | instid1(VALU_DEP_2)
	v_dual_add_f32 v26, v26, v0 :: v_dual_mul_f32 v0, v39, v43
	v_dual_add_f32 v28, v28, v1 :: v_dual_mul_f32 v1, v38, v43
	s_delay_alu instid0(VALU_DEP_1) | instskip(NEXT) | instid1(VALU_DEP_1)
	v_dual_fma_f32 v0, v38, v42, -v0 :: v_dual_fmac_f32 v1, v39, v42
	v_dual_add_f32 v6, v6, v0 :: v_dual_add_f32 v24, v24, v1
	s_cbranch_scc0 .LBB98_17
.LBB98_9:                               ;   Parent Loop BB98_6 Depth=1
                                        ; =>  This Inner Loop Header: Depth=2
	v_add_nc_u32_e32 v0, s0, v25
	s_delay_alu instid0(VALU_DEP_1) | instskip(SKIP_1) | instid1(SALU_CYCLE_1)
	v_cmp_le_i32_e32 vcc_lo, s5, v0
	s_or_b32 s1, s26, vcc_lo
	s_and_saveexec_b32 s29, s1
	s_delay_alu instid0(SALU_CYCLE_1)
	s_xor_b32 s1, exec_lo, s29
; %bb.10:                               ;   in Loop: Header=BB98_9 Depth=2
	ds_store_b32 v5, v7
; %bb.11:                               ;   in Loop: Header=BB98_9 Depth=2
	s_or_saveexec_b32 s1, s1
	v_mov_b32_e32 v0, 0
	s_xor_b32 exec_lo, exec_lo, s1
	s_cbranch_execz .LBB98_13
; %bb.12:                               ;   in Loop: Header=BB98_9 Depth=2
	global_load_b64 v[2:3], v[20:21], off
	s_wait_loadcnt 0x0
	v_xor_b32_e32 v0, 0x80000000, v3
	ds_store_b32 v5, v2
.LBB98_13:                              ;   in Loop: Header=BB98_9 Depth=2
	s_wait_xcnt 0x0
	s_or_b32 exec_lo, exec_lo, s1
	v_add_nc_u32_e32 v1, s0, v4
	ds_store_b32 v5, v0 offset:4
	v_cmp_le_i32_e32 vcc_lo, s5, v1
	s_or_b32 s1, vcc_lo, s27
	s_delay_alu instid0(SALU_CYCLE_1) | instskip(NEXT) | instid1(SALU_CYCLE_1)
	s_and_saveexec_b32 s29, s1
	s_xor_b32 s1, exec_lo, s29
; %bb.14:                               ;   in Loop: Header=BB98_9 Depth=2
	ds_store_b32 v27, v7
; %bb.15:                               ;   in Loop: Header=BB98_9 Depth=2
	s_or_saveexec_b32 s1, s1
	v_mov_b32_e32 v0, 0
	s_xor_b32 exec_lo, exec_lo, s1
	s_cbranch_execz .LBB98_8
; %bb.16:                               ;   in Loop: Header=BB98_9 Depth=2
	global_load_b64 v[2:3], v[22:23], off offset:-4
	s_wait_loadcnt 0x0
	v_xor_b32_e32 v0, 0x80000000, v3
	ds_store_b32 v27, v2
	s_branch .LBB98_8
.LBB98_17:                              ;   in Loop: Header=BB98_6 Depth=1
	s_mul_u64 s[0:1], s[24:25], s[22:23]
	s_delay_alu instid0(SALU_CYCLE_1) | instskip(NEXT) | instid1(SALU_CYCLE_1)
	s_lshl_b64 s[0:1], s[0:1], 3
	s_add_nc_u64 s[0:1], s[12:13], s[0:1]
	s_delay_alu instid0(SALU_CYCLE_1)
	v_lshl_add_u64 v[0:1], v[12:13], 3, s[0:1]
	s_and_saveexec_b32 s29, s30
	s_cbranch_execz .LBB98_22
; %bb.18:                               ;   in Loop: Header=BB98_6 Depth=1
	v_mov_b64_e32 v[2:3], s[10:11]
	v_mov_b64_e32 v[20:21], s[6:7]
	s_and_b32 vcc_lo, exec_lo, s18
	s_mov_b32 s34, -1
	s_delay_alu instid0(VALU_DEP_2) | instskip(NEXT) | instid1(VALU_DEP_1)
	v_pk_mul_f32 v[2:3], v[36:37], v[2:3] op_sel_hi:[0,1]
	v_pk_fma_f32 v[22:23], v[34:35], v[20:21], v[2:3] op_sel_hi:[0,1,1]
	v_pk_fma_f32 v[2:3], v[34:35], v[20:21], v[2:3] neg_lo:[0,0,1] neg_hi:[0,0,1]
	v_lshl_add_u64 v[20:21], v[8:9], 3, v[0:1]
	s_delay_alu instid0(VALU_DEP_3)
	v_mov_b32_e32 v3, v23
	s_cbranch_vccz .LBB98_20
; %bb.19:                               ;   in Loop: Header=BB98_6 Depth=1
	global_load_b64 v[22:23], v[20:21], off
	v_mov_b64_e32 v[34:35], s[20:21]
	v_mov_b64_e32 v[36:37], s[2:3]
	s_mov_b32 s34, 0
	s_wait_loadcnt 0x0
	s_delay_alu instid0(VALU_DEP_2) | instskip(NEXT) | instid1(VALU_DEP_1)
	v_pk_mul_f32 v[34:35], v[22:23], v[34:35]
	v_pk_fma_f32 v[38:39], v[22:23], v[36:37], v[34:35] op_sel:[0,0,1] op_sel_hi:[1,1,0]
	v_pk_fma_f32 v[22:23], v[22:23], v[36:37], v[34:35] op_sel:[0,0,1] op_sel_hi:[1,1,0] neg_lo:[0,0,1] neg_hi:[0,0,1]
	s_delay_alu instid0(VALU_DEP_2) | instskip(NEXT) | instid1(VALU_DEP_1)
	v_mov_b32_e32 v23, v39
	v_pk_add_f32 v[22:23], v[2:3], v[22:23]
	global_store_b64 v[20:21], v[22:23], off
.LBB98_20:                              ;   in Loop: Header=BB98_6 Depth=1
	s_and_not1_b32 vcc_lo, exec_lo, s34
	s_cbranch_vccnz .LBB98_22
; %bb.21:                               ;   in Loop: Header=BB98_6 Depth=1
	global_store_b64 v[20:21], v[2:3], off
.LBB98_22:                              ;   in Loop: Header=BB98_6 Depth=1
	s_wait_xcnt 0x0
	s_or_b32 exec_lo, exec_lo, s29
	s_and_saveexec_b32 s29, s31
	s_cbranch_execz .LBB98_27
; %bb.23:                               ;   in Loop: Header=BB98_6 Depth=1
	v_mov_b64_e32 v[2:3], s[10:11]
	v_mov_b64_e32 v[20:21], s[6:7]
	v_lshl_add_u64 v[0:1], v[10:11], 3, v[0:1]
	s_and_not1_b32 vcc_lo, exec_lo, s18
	s_mov_b32 s34, -1
	s_delay_alu instid0(VALU_DEP_3) | instskip(NEXT) | instid1(VALU_DEP_1)
	v_pk_mul_f32 v[2:3], v[32:33], v[2:3] op_sel_hi:[0,1]
	v_pk_fma_f32 v[22:23], v[30:31], v[20:21], v[2:3] op_sel_hi:[0,1,1]
	v_pk_fma_f32 v[2:3], v[30:31], v[20:21], v[2:3] neg_lo:[0,0,1] neg_hi:[0,0,1]
	s_delay_alu instid0(VALU_DEP_2)
	v_mov_b32_e32 v3, v23
	s_cbranch_vccnz .LBB98_25
; %bb.24:                               ;   in Loop: Header=BB98_6 Depth=1
	global_load_b64 v[20:21], v[0:1], off
	v_mov_b64_e32 v[22:23], s[20:21]
	v_mov_b64_e32 v[32:33], s[2:3]
	s_mov_b32 s34, 0
	s_wait_loadcnt 0x0
	s_delay_alu instid0(VALU_DEP_2) | instskip(NEXT) | instid1(VALU_DEP_1)
	v_pk_mul_f32 v[22:23], v[20:21], v[22:23]
	v_pk_fma_f32 v[34:35], v[20:21], v[32:33], v[22:23] op_sel:[0,0,1] op_sel_hi:[1,1,0]
	v_pk_fma_f32 v[20:21], v[20:21], v[32:33], v[22:23] op_sel:[0,0,1] op_sel_hi:[1,1,0] neg_lo:[0,0,1] neg_hi:[0,0,1]
	s_delay_alu instid0(VALU_DEP_2) | instskip(NEXT) | instid1(VALU_DEP_1)
	v_mov_b32_e32 v21, v35
	v_pk_add_f32 v[20:21], v[2:3], v[20:21]
	global_store_b64 v[0:1], v[20:21], off
.LBB98_25:                              ;   in Loop: Header=BB98_6 Depth=1
	s_and_not1_b32 vcc_lo, exec_lo, s34
	s_cbranch_vccnz .LBB98_27
; %bb.26:                               ;   in Loop: Header=BB98_6 Depth=1
	global_store_b64 v[0:1], v[2:3], off
.LBB98_27:                              ;   in Loop: Header=BB98_6 Depth=1
	s_wait_xcnt 0x0
	s_or_b32 exec_lo, exec_lo, s29
	v_lshl_add_u64 v[0:1], v[14:15], 3, s[0:1]
	s_and_saveexec_b32 s0, s4
	s_cbranch_execz .LBB98_32
; %bb.28:                               ;   in Loop: Header=BB98_6 Depth=1
	v_mov_b64_e32 v[2:3], s[10:11]
	v_mov_b64_e32 v[20:21], s[6:7]
	s_and_not1_b32 vcc_lo, exec_lo, s18
	s_mov_b32 s1, -1
	s_delay_alu instid0(VALU_DEP_2) | instskip(NEXT) | instid1(VALU_DEP_1)
	v_pk_mul_f32 v[2:3], v[28:29], v[2:3] op_sel_hi:[0,1]
	v_pk_fma_f32 v[22:23], v[26:27], v[20:21], v[2:3] op_sel_hi:[0,1,1]
	v_pk_fma_f32 v[2:3], v[26:27], v[20:21], v[2:3] neg_lo:[0,0,1] neg_hi:[0,0,1]
	v_lshl_add_u64 v[20:21], v[8:9], 3, v[0:1]
	s_delay_alu instid0(VALU_DEP_3)
	v_mov_b32_e32 v3, v23
	s_cbranch_vccnz .LBB98_30
; %bb.29:                               ;   in Loop: Header=BB98_6 Depth=1
	global_load_b64 v[22:23], v[20:21], off
	v_mov_b64_e32 v[32:33], s[20:21]
	v_mov_b64_e32 v[34:35], s[2:3]
	s_mov_b32 s1, 0
	s_wait_loadcnt 0x0
	s_delay_alu instid0(VALU_DEP_2) | instskip(NEXT) | instid1(VALU_DEP_1)
	v_pk_mul_f32 v[32:33], v[22:23], v[32:33]
	v_pk_fma_f32 v[36:37], v[22:23], v[34:35], v[32:33] op_sel:[0,0,1] op_sel_hi:[1,1,0]
	v_pk_fma_f32 v[22:23], v[22:23], v[34:35], v[32:33] op_sel:[0,0,1] op_sel_hi:[1,1,0] neg_lo:[0,0,1] neg_hi:[0,0,1]
	s_delay_alu instid0(VALU_DEP_2) | instskip(NEXT) | instid1(VALU_DEP_1)
	v_mov_b32_e32 v23, v37
	v_pk_add_f32 v[22:23], v[2:3], v[22:23]
	global_store_b64 v[20:21], v[22:23], off
.LBB98_30:                              ;   in Loop: Header=BB98_6 Depth=1
	s_and_not1_b32 vcc_lo, exec_lo, s1
	s_cbranch_vccnz .LBB98_32
; %bb.31:                               ;   in Loop: Header=BB98_6 Depth=1
	global_store_b64 v[20:21], v[2:3], off
.LBB98_32:                              ;   in Loop: Header=BB98_6 Depth=1
	s_wait_xcnt 0x0
	s_or_b32 exec_lo, exec_lo, s0
	s_and_saveexec_b32 s0, s33
	s_cbranch_execz .LBB98_5
; %bb.33:                               ;   in Loop: Header=BB98_6 Depth=1
	v_mov_b64_e32 v[2:3], s[10:11]
	v_mov_b64_e32 v[20:21], s[6:7]
	v_lshl_add_u64 v[0:1], v[10:11], 3, v[0:1]
	s_and_not1_b32 vcc_lo, exec_lo, s18
	s_mov_b32 s1, -1
	s_delay_alu instid0(VALU_DEP_3) | instskip(NEXT) | instid1(VALU_DEP_1)
	v_pk_mul_f32 v[2:3], v[24:25], v[2:3] op_sel_hi:[0,1]
	v_pk_fma_f32 v[22:23], v[6:7], v[20:21], v[2:3] op_sel_hi:[0,1,1]
	v_pk_fma_f32 v[2:3], v[6:7], v[20:21], v[2:3] neg_lo:[0,0,1] neg_hi:[0,0,1]
	s_delay_alu instid0(VALU_DEP_2)
	v_mov_b32_e32 v3, v23
	s_cbranch_vccnz .LBB98_35
; %bb.34:                               ;   in Loop: Header=BB98_6 Depth=1
	global_load_b64 v[20:21], v[0:1], off
	v_mov_b64_e32 v[22:23], s[20:21]
	v_mov_b64_e32 v[32:33], s[2:3]
	s_mov_b32 s1, 0
	s_wait_loadcnt 0x0
	s_delay_alu instid0(VALU_DEP_2) | instskip(NEXT) | instid1(VALU_DEP_1)
	v_pk_mul_f32 v[22:23], v[20:21], v[22:23]
	v_pk_fma_f32 v[34:35], v[20:21], v[32:33], v[22:23] op_sel:[0,0,1] op_sel_hi:[1,1,0]
	v_pk_fma_f32 v[20:21], v[20:21], v[32:33], v[22:23] op_sel:[0,0,1] op_sel_hi:[1,1,0] neg_lo:[0,0,1] neg_hi:[0,0,1]
	s_delay_alu instid0(VALU_DEP_2) | instskip(NEXT) | instid1(VALU_DEP_1)
	v_mov_b32_e32 v21, v35
	v_pk_add_f32 v[20:21], v[2:3], v[20:21]
	global_store_b64 v[0:1], v[20:21], off
.LBB98_35:                              ;   in Loop: Header=BB98_6 Depth=1
	s_and_not1_b32 vcc_lo, exec_lo, s1
	s_cbranch_vccnz .LBB98_5
; %bb.36:                               ;   in Loop: Header=BB98_6 Depth=1
	global_store_b64 v[0:1], v[2:3], off
	s_branch .LBB98_5
.LBB98_37:
	s_endpgm
	.section	.rodata,"a",@progbits
	.p2align	6, 0x0
	.amdhsa_kernel _ZL29rocblas_internal_gemmt_kernelIiLi16ELi32ELi8ELc67ELc67ELc85ELb1ELb1E19rocblas_complex_numIfES1_PKS1_PS1_EviT_T9_T10_S5_lS7_S5_lS6_T11_S5_li
		.amdhsa_group_segment_fixed_size 4096
		.amdhsa_private_segment_fixed_size 0
		.amdhsa_kernarg_size 100
		.amdhsa_user_sgpr_count 2
		.amdhsa_user_sgpr_dispatch_ptr 0
		.amdhsa_user_sgpr_queue_ptr 0
		.amdhsa_user_sgpr_kernarg_segment_ptr 1
		.amdhsa_user_sgpr_dispatch_id 0
		.amdhsa_user_sgpr_kernarg_preload_length 0
		.amdhsa_user_sgpr_kernarg_preload_offset 0
		.amdhsa_user_sgpr_private_segment_size 0
		.amdhsa_wavefront_size32 1
		.amdhsa_uses_dynamic_stack 0
		.amdhsa_enable_private_segment 0
		.amdhsa_system_sgpr_workgroup_id_x 1
		.amdhsa_system_sgpr_workgroup_id_y 1
		.amdhsa_system_sgpr_workgroup_id_z 1
		.amdhsa_system_sgpr_workgroup_info 0
		.amdhsa_system_vgpr_workitem_id 1
		.amdhsa_next_free_vgpr 57
		.amdhsa_next_free_sgpr 36
		.amdhsa_named_barrier_count 0
		.amdhsa_reserve_vcc 1
		.amdhsa_float_round_mode_32 0
		.amdhsa_float_round_mode_16_64 0
		.amdhsa_float_denorm_mode_32 3
		.amdhsa_float_denorm_mode_16_64 3
		.amdhsa_fp16_overflow 0
		.amdhsa_memory_ordered 1
		.amdhsa_forward_progress 1
		.amdhsa_inst_pref_size 26
		.amdhsa_round_robin_scheduling 0
		.amdhsa_exception_fp_ieee_invalid_op 0
		.amdhsa_exception_fp_denorm_src 0
		.amdhsa_exception_fp_ieee_div_zero 0
		.amdhsa_exception_fp_ieee_overflow 0
		.amdhsa_exception_fp_ieee_underflow 0
		.amdhsa_exception_fp_ieee_inexact 0
		.amdhsa_exception_int_div_zero 0
	.end_amdhsa_kernel
	.section	.text._ZL29rocblas_internal_gemmt_kernelIiLi16ELi32ELi8ELc67ELc67ELc85ELb1ELb1E19rocblas_complex_numIfES1_PKS1_PS1_EviT_T9_T10_S5_lS7_S5_lS6_T11_S5_li,"axG",@progbits,_ZL29rocblas_internal_gemmt_kernelIiLi16ELi32ELi8ELc67ELc67ELc85ELb1ELb1E19rocblas_complex_numIfES1_PKS1_PS1_EviT_T9_T10_S5_lS7_S5_lS6_T11_S5_li,comdat
.Lfunc_end98:
	.size	_ZL29rocblas_internal_gemmt_kernelIiLi16ELi32ELi8ELc67ELc67ELc85ELb1ELb1E19rocblas_complex_numIfES1_PKS1_PS1_EviT_T9_T10_S5_lS7_S5_lS6_T11_S5_li, .Lfunc_end98-_ZL29rocblas_internal_gemmt_kernelIiLi16ELi32ELi8ELc67ELc67ELc85ELb1ELb1E19rocblas_complex_numIfES1_PKS1_PS1_EviT_T9_T10_S5_lS7_S5_lS6_T11_S5_li
                                        ; -- End function
	.set _ZL29rocblas_internal_gemmt_kernelIiLi16ELi32ELi8ELc67ELc67ELc85ELb1ELb1E19rocblas_complex_numIfES1_PKS1_PS1_EviT_T9_T10_S5_lS7_S5_lS6_T11_S5_li.num_vgpr, 57
	.set _ZL29rocblas_internal_gemmt_kernelIiLi16ELi32ELi8ELc67ELc67ELc85ELb1ELb1E19rocblas_complex_numIfES1_PKS1_PS1_EviT_T9_T10_S5_lS7_S5_lS6_T11_S5_li.num_agpr, 0
	.set _ZL29rocblas_internal_gemmt_kernelIiLi16ELi32ELi8ELc67ELc67ELc85ELb1ELb1E19rocblas_complex_numIfES1_PKS1_PS1_EviT_T9_T10_S5_lS7_S5_lS6_T11_S5_li.numbered_sgpr, 36
	.set _ZL29rocblas_internal_gemmt_kernelIiLi16ELi32ELi8ELc67ELc67ELc85ELb1ELb1E19rocblas_complex_numIfES1_PKS1_PS1_EviT_T9_T10_S5_lS7_S5_lS6_T11_S5_li.num_named_barrier, 0
	.set _ZL29rocblas_internal_gemmt_kernelIiLi16ELi32ELi8ELc67ELc67ELc85ELb1ELb1E19rocblas_complex_numIfES1_PKS1_PS1_EviT_T9_T10_S5_lS7_S5_lS6_T11_S5_li.private_seg_size, 0
	.set _ZL29rocblas_internal_gemmt_kernelIiLi16ELi32ELi8ELc67ELc67ELc85ELb1ELb1E19rocblas_complex_numIfES1_PKS1_PS1_EviT_T9_T10_S5_lS7_S5_lS6_T11_S5_li.uses_vcc, 1
	.set _ZL29rocblas_internal_gemmt_kernelIiLi16ELi32ELi8ELc67ELc67ELc85ELb1ELb1E19rocblas_complex_numIfES1_PKS1_PS1_EviT_T9_T10_S5_lS7_S5_lS6_T11_S5_li.uses_flat_scratch, 0
	.set _ZL29rocblas_internal_gemmt_kernelIiLi16ELi32ELi8ELc67ELc67ELc85ELb1ELb1E19rocblas_complex_numIfES1_PKS1_PS1_EviT_T9_T10_S5_lS7_S5_lS6_T11_S5_li.has_dyn_sized_stack, 0
	.set _ZL29rocblas_internal_gemmt_kernelIiLi16ELi32ELi8ELc67ELc67ELc85ELb1ELb1E19rocblas_complex_numIfES1_PKS1_PS1_EviT_T9_T10_S5_lS7_S5_lS6_T11_S5_li.has_recursion, 0
	.set _ZL29rocblas_internal_gemmt_kernelIiLi16ELi32ELi8ELc67ELc67ELc85ELb1ELb1E19rocblas_complex_numIfES1_PKS1_PS1_EviT_T9_T10_S5_lS7_S5_lS6_T11_S5_li.has_indirect_call, 0
	.section	.AMDGPU.csdata,"",@progbits
; Kernel info:
; codeLenInByte = 3272
; TotalNumSgprs: 38
; NumVgprs: 57
; ScratchSize: 0
; MemoryBound: 0
; FloatMode: 240
; IeeeMode: 1
; LDSByteSize: 4096 bytes/workgroup (compile time only)
; SGPRBlocks: 0
; VGPRBlocks: 3
; NumSGPRsForWavesPerEU: 38
; NumVGPRsForWavesPerEU: 57
; NamedBarCnt: 0
; Occupancy: 16
; WaveLimiterHint : 0
; COMPUTE_PGM_RSRC2:SCRATCH_EN: 0
; COMPUTE_PGM_RSRC2:USER_SGPR: 2
; COMPUTE_PGM_RSRC2:TRAP_HANDLER: 0
; COMPUTE_PGM_RSRC2:TGID_X_EN: 1
; COMPUTE_PGM_RSRC2:TGID_Y_EN: 1
; COMPUTE_PGM_RSRC2:TGID_Z_EN: 1
; COMPUTE_PGM_RSRC2:TIDIG_COMP_CNT: 1
	.section	.text._ZL29rocblas_internal_gemmt_kernelIiLi16ELi32ELi8ELc78ELc78ELc76ELb0ELb0E19rocblas_complex_numIfES1_PKS1_PS1_EviT_T9_T10_S5_lS7_S5_lS6_T11_S5_li,"axG",@progbits,_ZL29rocblas_internal_gemmt_kernelIiLi16ELi32ELi8ELc78ELc78ELc76ELb0ELb0E19rocblas_complex_numIfES1_PKS1_PS1_EviT_T9_T10_S5_lS7_S5_lS6_T11_S5_li,comdat
	.globl	_ZL29rocblas_internal_gemmt_kernelIiLi16ELi32ELi8ELc78ELc78ELc76ELb0ELb0E19rocblas_complex_numIfES1_PKS1_PS1_EviT_T9_T10_S5_lS7_S5_lS6_T11_S5_li ; -- Begin function _ZL29rocblas_internal_gemmt_kernelIiLi16ELi32ELi8ELc78ELc78ELc76ELb0ELb0E19rocblas_complex_numIfES1_PKS1_PS1_EviT_T9_T10_S5_lS7_S5_lS6_T11_S5_li
	.p2align	8
	.type	_ZL29rocblas_internal_gemmt_kernelIiLi16ELi32ELi8ELc78ELc78ELc76ELb0ELb0E19rocblas_complex_numIfES1_PKS1_PS1_EviT_T9_T10_S5_lS7_S5_lS6_T11_S5_li,@function
_ZL29rocblas_internal_gemmt_kernelIiLi16ELi32ELi8ELc78ELc78ELc76ELb0ELb0E19rocblas_complex_numIfES1_PKS1_PS1_EviT_T9_T10_S5_lS7_S5_lS6_T11_S5_li: ; @_ZL29rocblas_internal_gemmt_kernelIiLi16ELi32ELi8ELc78ELc78ELc76ELb0ELb0E19rocblas_complex_numIfES1_PKS1_PS1_EviT_T9_T10_S5_lS7_S5_lS6_T11_S5_li
; %bb.0:
	s_clause 0x1
	s_load_b64 s[20:21], s[0:1], 0x40
	s_load_b128 s[4:7], s[0:1], 0x0
	s_wait_kmcnt 0x0
	s_cmp_neq_f32 s20, 1.0
	s_cselect_b32 s2, -1, 0
	s_and_b32 s3, s21, 0x7fffffff
	s_delay_alu instid0(SALU_CYCLE_1) | instskip(SKIP_3) | instid1(SALU_CYCLE_1)
	s_cmp_eq_u32 s3, 0
	s_cselect_b32 s29, -1, 0
	s_cmp_lg_u32 s3, 0
	s_cselect_b32 s3, -1, 0
	s_or_b32 s2, s2, s3
	s_delay_alu instid0(SALU_CYCLE_1)
	s_and_b32 vcc_lo, exec_lo, s2
	s_cbranch_vccnz .LBB99_2
; %bb.1:
	s_cmp_lg_u32 s5, 0
	s_cselect_b32 s2, -1, 0
	s_cmp_neq_f32 s6, 0
	s_cselect_b32 s3, -1, 0
	s_cmp_neq_f32 s7, 0
	s_cselect_b32 s8, -1, 0
	s_delay_alu instid0(SALU_CYCLE_1) | instskip(NEXT) | instid1(SALU_CYCLE_1)
	s_or_b32 s3, s3, s8
	s_and_b32 s2, s2, s3
.LBB99_2:
	s_delay_alu instid0(SALU_CYCLE_1)
	s_and_not1_b32 vcc_lo, exec_lo, s2
	s_cbranch_vccnz .LBB99_33
; %bb.3:
	s_load_b32 s28, s[0:1], 0x60
	s_bfe_u32 s2, ttmp6, 0x40014
	s_lshr_b32 s3, ttmp7, 16
	s_add_co_i32 s2, s2, 1
	s_bfe_u32 s8, ttmp6, 0x40008
	s_mul_i32 s2, s3, s2
	s_getreg_b32 s30, hwreg(HW_REG_IB_STS2, 6, 4)
	s_add_co_i32 s8, s8, s2
	s_cmp_eq_u32 s30, 0
	s_mov_b32 s23, 0
	s_cselect_b32 s22, s3, s8
	s_wait_kmcnt 0x0
	s_cmp_ge_u32 s22, s28
	s_cbranch_scc1 .LBB99_33
; %bb.4:
	s_clause 0x2
	s_load_b96 s[16:18], s[0:1], 0x10
	s_load_b32 s2, s[0:1], 0x30
	s_load_b96 s[12:14], s[0:1], 0x48
	v_and_b32_e32 v1, 0x3ff, v0
	v_bfe_u32 v3, v0, 10, 10
	s_clause 0x2
	s_load_b128 s[8:11], s[0:1], 0x20
	s_load_b64 s[26:27], s[0:1], 0x38
	s_load_b64 s[24:25], s[0:1], 0x58
	s_wait_xcnt 0x0
	s_bfe_u32 s1, ttmp6, 0x4000c
	s_bfe_u32 s3, ttmp6, 0x40010
	s_and_b32 s31, ttmp7, 0xffff
	s_add_co_i32 s1, s1, 1
	s_add_co_i32 s3, s3, 1
	v_lshl_add_u32 v2, v3, 4, v1
	s_and_b32 s0, ttmp6, 15
	s_bfe_u32 s33, ttmp6, 0x40004
	s_mul_i32 s1, ttmp9, s1
	s_mul_i32 s34, s31, s3
	s_add_co_i32 s0, s0, s1
	s_add_co_i32 s33, s33, s34
	v_dual_lshrrev_b32 v4, 5, v2 :: v_dual_bitop2_b32 v23, 7, v0 bitop3:0x40
	s_wait_kmcnt 0x0
	s_ashr_i32 s19, s18, 31
	s_ashr_i32 s3, s2, 31
	;; [unrolled: 1-line block ×3, first 2 shown]
	s_cmp_eq_u32 s30, 0
	v_dual_lshrrev_b32 v7, 3, v2 :: v_dual_bitop2_b32 v5, 31, v2 bitop3:0x40
	s_cselect_b32 s0, ttmp9, s0
	s_cselect_b32 s1, s31, s33
	s_lshl_b32 s30, s0, 5
	s_lshl_b32 s31, s1, 5
	v_dual_lshlrev_b32 v5, 3, v5 :: v_dual_bitop2_b32 v0, s30, v5 bitop3:0x54
	v_lshlrev_b32_e32 v2, 3, v23
	v_add_nc_u32_e32 v14, s31, v3
	v_add_nc_u32_e32 v6, s31, v7
	s_cmp_neq_f32 s6, 0
	v_lshl_or_b32 v25, v4, 8, v5
	v_mov_b32_e32 v5, 0
	v_lshl_or_b32 v8, v7, 6, v2
	v_add_nc_u32_e32 v20, 16, v14
	v_dual_ashrrev_i32 v7, 31, v6 :: v_dual_lshlrev_b32 v29, 3, v1
	s_delay_alu instid0(VALU_DEP_4) | instskip(SKIP_2) | instid1(VALU_DEP_2)
	v_mul_u64_e32 v[16:17], s[18:19], v[4:5]
	s_cselect_b32 s0, -1, 0
	s_cmp_neq_f32 s7, 0
	v_mul_u64_e32 v[18:19], s[2:3], v[6:7]
	v_ashrrev_i32_e32 v21, 31, v20
	v_add_nc_u32_e32 v27, 0x800, v8
	s_cselect_b32 s1, -1, 0
	v_lshl_add_u32 v31, v3, 6, 0x800
	s_or_b32 s34, s0, s1
	v_cmp_gt_i32_e64 s1, s4, v6
	v_dual_add_nc_u32 v6, s30, v1 :: v_dual_ashrrev_i32 v15, 31, v14
	v_mul_u64_e32 v[12:13], s[14:15], v[20:21]
	v_ashrrev_i32_e32 v1, 31, v0
	s_cmp_gt_i32 s5, 0
	s_delay_alu instid0(VALU_DEP_3)
	v_add_nc_u32_e32 v10, 16, v6
	v_mul_u64_e32 v[8:9], s[14:15], v[14:15]
	v_cmp_gt_i32_e64 s0, s4, v0
	v_lshlrev_b64_e32 v[0:1], 3, v[0:1]
	s_cselect_b32 s35, -1, 0
	s_cmp_neq_f32 s20, 0
	v_dual_ashrrev_i32 v7, 31, v6 :: v_dual_mov_b32 v3, v5
	v_cmp_le_i32_e32 vcc_lo, v14, v6
	s_cselect_b32 s3, -1, 0
	s_xor_b32 s29, s29, -1
	v_cmp_gt_i32_e64 s2, s4, v6
	s_or_b32 s29, s3, s29
	v_cmp_le_i32_e64 s3, v14, v10
	v_cmp_gt_i32_e64 s4, s4, v10
	v_ashrrev_i32_e32 v11, 31, v10
	s_and_b32 s30, vcc_lo, s2
	v_lshl_add_u64 v[0:1], v[16:17], 3, v[0:1]
	v_cmp_le_i32_e32 vcc_lo, v20, v6
	s_and_b32 s31, s3, s4
	v_lshl_add_u64 v[2:3], v[18:19], 3, v[2:3]
	v_cmp_le_i32_e64 s3, v20, v10
	v_add_nc_u64_e32 v[14:15], s[16:17], v[0:1]
	s_and_b32 s33, vcc_lo, s2
	s_mov_b32 s2, s20
	v_add_nc_u64_e32 v[16:17], s[10:11], v[2:3]
	s_and_b32 s4, s3, s4
	s_mov_b32 s3, s20
	s_mov_b32 s20, s21
	;; [unrolled: 1-line block ×4, first 2 shown]
	s_and_b32 s34, s34, s35
	s_lshl_b64 s[8:9], s[8:9], 3
	s_lshl_b64 s[10:11], s[18:19], 6
	;; [unrolled: 1-line block ×3, first 2 shown]
	s_branch .LBB99_6
.LBB99_5:                               ;   in Loop: Header=BB99_6 Depth=1
	s_wait_xcnt 0x0
	s_or_b32 exec_lo, exec_lo, s18
	s_add_co_i32 s22, s22, 0x10000
	s_delay_alu instid0(SALU_CYCLE_1)
	s_cmp_lt_u32 s22, s28
	s_cbranch_scc0 .LBB99_33
.LBB99_6:                               ; =>This Loop Header: Depth=1
                                        ;     Child Loop BB99_9 Depth 2
	v_dual_mov_b32 v34, 0 :: v_dual_mov_b32 v36, 0
	v_dual_mov_b32 v30, 0 :: v_dual_mov_b32 v32, 0
	;; [unrolled: 1-line block ×4, first 2 shown]
	s_and_not1_b32 vcc_lo, exec_lo, s34
	s_cbranch_vccnz .LBB99_13
; %bb.7:                                ;   in Loop: Header=BB99_6 Depth=1
	v_mad_nc_u64_u32 v[18:19], s8, s22, v[14:15]
	v_mad_nc_u64_u32 v[20:21], s16, s22, v[16:17]
	v_dual_mov_b32 v24, 0 :: v_dual_mov_b32 v22, 0
	v_dual_mov_b32 v28, 0 :: v_dual_mov_b32 v26, 0
	;; [unrolled: 1-line block ×4, first 2 shown]
	s_mov_b32 s18, 0
	v_mad_u32 v19, s9, s22, v19
	v_mad_u32 v21, s17, s22, v21
	s_branch .LBB99_9
.LBB99_8:                               ;   in Loop: Header=BB99_9 Depth=2
	s_wait_xcnt 0x0
	s_or_b32 exec_lo, exec_lo, s19
	s_wait_loadcnt 0x0
	ds_store_b64 v27, v[2:3]
	s_wait_dscnt 0x0
	s_barrier_signal -1
	s_barrier_wait -1
	ds_load_b128 v[38:41], v31
	ds_load_b128 v[42:45], v31 offset:16
	ds_load_b128 v[46:49], v31 offset:32
	;; [unrolled: 1-line block ×3, first 2 shown]
	ds_load_2addr_b64 v[50:53], v29 offset1:16
	v_add_nc_u64_e32 v[18:19], s[10:11], v[18:19]
	v_add_nc_u64_e32 v[20:21], 64, v[20:21]
	s_add_co_i32 s18, s18, 8
	s_delay_alu instid0(SALU_CYCLE_1) | instskip(SKIP_2) | instid1(VALU_DEP_1)
	s_cmp_lt_i32 s18, s5
	s_wait_dscnt 0x0
	v_dual_mul_f32 v5, v39, v51 :: v_dual_mul_f32 v33, v38, v51
	v_fmac_f32_e32 v33, v39, v50
	s_delay_alu instid0(VALU_DEP_1) | instskip(NEXT) | instid1(VALU_DEP_1)
	v_dual_fma_f32 v5, v38, v50, -v5 :: v_dual_add_f32 v54, v36, v33
	v_add_f32_e32 v5, v34, v5
	v_dual_mul_f32 v33, v39, v53 :: v_dual_mul_f32 v34, v38, v53
	s_delay_alu instid0(VALU_DEP_1) | instskip(NEXT) | instid1(VALU_DEP_1)
	v_dual_fma_f32 v33, v38, v52, -v33 :: v_dual_fmac_f32 v34, v39, v52
	v_dual_add_f32 v30, v30, v33 :: v_dual_add_f32 v55, v32, v34
	ds_load_b128 v[32:35], v31 offset:1024
	s_wait_dscnt 0x0
	v_dual_mul_f32 v36, v33, v51 :: v_dual_mul_f32 v37, v32, v51
	s_delay_alu instid0(VALU_DEP_1) | instskip(NEXT) | instid1(VALU_DEP_1)
	v_dual_fma_f32 v36, v32, v50, -v36 :: v_dual_fmac_f32 v37, v33, v50
	v_dual_add_f32 v26, v26, v36 :: v_dual_add_f32 v28, v28, v37
	v_mul_f32_e32 v36, v33, v53
	s_delay_alu instid0(VALU_DEP_1) | instskip(NEXT) | instid1(VALU_DEP_1)
	v_dual_fma_f32 v36, v32, v52, -v36 :: v_dual_mul_f32 v32, v32, v53
	v_add_f32_e32 v22, v22, v36
	ds_load_2addr_b64 v[36:39], v29 offset0:32 offset1:48
	s_wait_dscnt 0x0
	v_dual_fmac_f32 v32, v33, v52 :: v_dual_mul_f32 v33, v40, v37
	s_delay_alu instid0(VALU_DEP_1) | instskip(NEXT) | instid1(VALU_DEP_1)
	v_dual_add_f32 v24, v24, v32 :: v_dual_mul_f32 v32, v41, v37
	v_dual_fmac_f32 v33, v41, v36 :: v_dual_fma_f32 v32, v40, v36, -v32
	s_delay_alu instid0(VALU_DEP_1) | instskip(NEXT) | instid1(VALU_DEP_2)
	v_add_f32_e32 v5, v5, v32
	v_dual_mul_f32 v32, v41, v39 :: v_dual_add_f32 v50, v54, v33
	s_delay_alu instid0(VALU_DEP_1) | instskip(NEXT) | instid1(VALU_DEP_1)
	v_dual_fma_f32 v32, v40, v38, -v32 :: v_dual_mul_f32 v33, v40, v39
	v_dual_add_f32 v30, v30, v32 :: v_dual_fmac_f32 v33, v41, v38
	v_mul_f32_e32 v32, v35, v37
	s_delay_alu instid0(VALU_DEP_1) | instskip(SKIP_1) | instid1(VALU_DEP_2)
	v_dual_add_f32 v40, v55, v33 :: v_dual_fma_f32 v32, v34, v36, -v32
	v_mul_f32_e32 v33, v34, v37
	v_dual_add_f32 v26, v26, v32 :: v_dual_mul_f32 v32, v35, v39
	s_delay_alu instid0(VALU_DEP_1) | instskip(NEXT) | instid1(VALU_DEP_1)
	v_dual_fmac_f32 v33, v35, v36 :: v_dual_fma_f32 v32, v34, v38, -v32
	v_dual_add_f32 v28, v28, v33 :: v_dual_mul_f32 v33, v34, v39
	s_delay_alu instid0(VALU_DEP_1) | instskip(NEXT) | instid1(VALU_DEP_1)
	v_dual_add_f32 v22, v22, v32 :: v_dual_fmac_f32 v33, v35, v38
	v_add_f32_e32 v24, v24, v33
	ds_load_2addr_b64 v[32:35], v29 offset0:64 offset1:80
	s_wait_dscnt 0x0
	v_dual_mul_f32 v36, v43, v33 :: v_dual_mul_f32 v37, v42, v33
	s_delay_alu instid0(VALU_DEP_1) | instskip(NEXT) | instid1(VALU_DEP_1)
	v_dual_fma_f32 v36, v42, v32, -v36 :: v_dual_fmac_f32 v37, v43, v32
	v_dual_add_f32 v5, v5, v36 :: v_dual_add_f32 v41, v50, v37
	v_dual_mul_f32 v36, v43, v35 :: v_dual_mul_f32 v37, v42, v35
	s_delay_alu instid0(VALU_DEP_1) | instskip(NEXT) | instid1(VALU_DEP_1)
	v_dual_fma_f32 v36, v42, v34, -v36 :: v_dual_fmac_f32 v37, v43, v34
	v_dual_add_f32 v30, v30, v36 :: v_dual_add_f32 v40, v40, v37
	ds_load_b128 v[36:39], v31 offset:1040
	s_wait_dscnt 0x0
	v_dual_mul_f32 v42, v37, v33 :: v_dual_mul_f32 v33, v36, v33
	s_delay_alu instid0(VALU_DEP_1) | instskip(NEXT) | instid1(VALU_DEP_1)
	v_dual_fma_f32 v42, v36, v32, -v42 :: v_dual_fmac_f32 v33, v37, v32
	v_dual_mul_f32 v32, v37, v35 :: v_dual_add_f32 v26, v26, v42
	s_delay_alu instid0(VALU_DEP_2) | instskip(NEXT) | instid1(VALU_DEP_2)
	v_add_f32_e32 v28, v28, v33
	v_dual_mul_f32 v33, v36, v35 :: v_dual_fma_f32 v32, v36, v34, -v32
	s_delay_alu instid0(VALU_DEP_1) | instskip(NEXT) | instid1(VALU_DEP_1)
	v_dual_fmac_f32 v33, v37, v34 :: v_dual_add_f32 v22, v22, v32
	v_add_f32_e32 v24, v24, v33
	ds_load_2addr_b64 v[32:35], v29 offset0:96 offset1:112
	s_wait_dscnt 0x0
	v_dual_mul_f32 v36, v45, v33 :: v_dual_mul_f32 v37, v44, v33
	s_delay_alu instid0(VALU_DEP_1) | instskip(NEXT) | instid1(VALU_DEP_1)
	v_dual_fma_f32 v36, v44, v32, -v36 :: v_dual_fmac_f32 v37, v45, v32
	v_add_f32_e32 v5, v5, v36
	s_delay_alu instid0(VALU_DEP_2) | instskip(NEXT) | instid1(VALU_DEP_1)
	v_dual_add_f32 v36, v41, v37 :: v_dual_mul_f32 v41, v44, v35
	v_dual_mul_f32 v37, v45, v35 :: v_dual_fmac_f32 v41, v45, v34
	s_delay_alu instid0(VALU_DEP_1) | instskip(NEXT) | instid1(VALU_DEP_1)
	v_fma_f32 v37, v44, v34, -v37
	v_add_f32_e32 v30, v30, v37
	s_delay_alu instid0(VALU_DEP_3) | instskip(SKIP_1) | instid1(VALU_DEP_1)
	v_add_f32_e32 v37, v40, v41
	v_dual_mul_f32 v40, v39, v33 :: v_dual_mul_f32 v33, v38, v33
	v_dual_fma_f32 v40, v38, v32, -v40 :: v_dual_fmac_f32 v33, v39, v32
	s_delay_alu instid0(VALU_DEP_1) | instskip(NEXT) | instid1(VALU_DEP_2)
	v_dual_mul_f32 v32, v39, v35 :: v_dual_add_f32 v26, v26, v40
	v_dual_add_f32 v28, v28, v33 :: v_dual_mul_f32 v33, v38, v35
	s_delay_alu instid0(VALU_DEP_1) | instskip(NEXT) | instid1(VALU_DEP_1)
	v_dual_fma_f32 v32, v38, v34, -v32 :: v_dual_fmac_f32 v33, v39, v34
	v_dual_add_f32 v22, v22, v32 :: v_dual_add_f32 v24, v24, v33
	ds_load_2addr_b64 v[32:35], v29 offset0:128 offset1:144
	s_wait_dscnt 0x0
	v_dual_mul_f32 v38, v47, v33 :: v_dual_mul_f32 v39, v46, v33
	s_delay_alu instid0(VALU_DEP_1) | instskip(NEXT) | instid1(VALU_DEP_1)
	v_dual_fma_f32 v38, v46, v32, -v38 :: v_dual_fmac_f32 v39, v47, v32
	v_dual_add_f32 v5, v5, v38 :: v_dual_add_f32 v40, v36, v39
	v_dual_mul_f32 v36, v47, v35 :: v_dual_mul_f32 v38, v46, v35
	s_delay_alu instid0(VALU_DEP_1) | instskip(NEXT) | instid1(VALU_DEP_1)
	v_dual_fma_f32 v36, v46, v34, -v36 :: v_dual_fmac_f32 v38, v47, v34
	v_dual_add_f32 v30, v30, v36 :: v_dual_add_f32 v41, v37, v38
	ds_load_b128 v[36:39], v31 offset:1056
	s_wait_dscnt 0x0
	v_dual_mul_f32 v42, v37, v33 :: v_dual_mul_f32 v33, v36, v33
	s_delay_alu instid0(VALU_DEP_1) | instskip(NEXT) | instid1(VALU_DEP_1)
	v_dual_fma_f32 v42, v36, v32, -v42 :: v_dual_fmac_f32 v33, v37, v32
	v_dual_mul_f32 v32, v37, v35 :: v_dual_add_f32 v26, v26, v42
	s_delay_alu instid0(VALU_DEP_2) | instskip(NEXT) | instid1(VALU_DEP_2)
	v_add_f32_e32 v28, v28, v33
	v_dual_mul_f32 v33, v36, v35 :: v_dual_fma_f32 v32, v36, v34, -v32
	s_delay_alu instid0(VALU_DEP_1) | instskip(NEXT) | instid1(VALU_DEP_1)
	v_dual_fmac_f32 v33, v37, v34 :: v_dual_add_f32 v22, v22, v32
	v_add_f32_e32 v24, v24, v33
	ds_load_2addr_b64 v[32:35], v29 offset0:160 offset1:176
	s_wait_dscnt 0x0
	v_dual_mul_f32 v36, v49, v33 :: v_dual_mul_f32 v37, v48, v33
	s_delay_alu instid0(VALU_DEP_1) | instskip(NEXT) | instid1(VALU_DEP_1)
	v_dual_fma_f32 v36, v48, v32, -v36 :: v_dual_fmac_f32 v37, v49, v32
	v_dual_add_f32 v5, v5, v36 :: v_dual_add_f32 v36, v40, v37
	v_dual_mul_f32 v37, v49, v35 :: v_dual_mul_f32 v40, v48, v35
	s_delay_alu instid0(VALU_DEP_1) | instskip(NEXT) | instid1(VALU_DEP_1)
	v_dual_fma_f32 v37, v48, v34, -v37 :: v_dual_fmac_f32 v40, v49, v34
	v_dual_add_f32 v30, v30, v37 :: v_dual_add_f32 v37, v41, v40
	v_dual_mul_f32 v40, v39, v33 :: v_dual_mul_f32 v33, v38, v33
	s_delay_alu instid0(VALU_DEP_1) | instskip(NEXT) | instid1(VALU_DEP_1)
	v_dual_fma_f32 v40, v38, v32, -v40 :: v_dual_fmac_f32 v33, v39, v32
	v_dual_mul_f32 v32, v39, v35 :: v_dual_add_f32 v26, v26, v40
	s_delay_alu instid0(VALU_DEP_2) | instskip(NEXT) | instid1(VALU_DEP_2)
	v_dual_add_f32 v28, v28, v33 :: v_dual_mul_f32 v33, v38, v35
	v_fma_f32 v32, v38, v34, -v32
	ds_load_2addr_b64 v[40:43], v29 offset0:224 offset1:240
	v_dual_fmac_f32 v33, v39, v34 :: v_dual_add_f32 v22, v22, v32
	s_delay_alu instid0(VALU_DEP_1) | instskip(SKIP_3) | instid1(VALU_DEP_1)
	v_add_f32_e32 v24, v24, v33
	ds_load_2addr_b64 v[32:35], v29 offset0:192 offset1:208
	s_wait_dscnt 0x0
	v_dual_mul_f32 v38, v1, v33 :: v_dual_mul_f32 v39, v0, v33
	v_dual_fma_f32 v38, v0, v32, -v38 :: v_dual_fmac_f32 v39, v1, v32
	s_delay_alu instid0(VALU_DEP_1) | instskip(SKIP_1) | instid1(VALU_DEP_1)
	v_dual_add_f32 v5, v5, v38 :: v_dual_add_f32 v44, v36, v39
	v_mul_f32_e32 v36, v1, v35
	v_dual_fma_f32 v36, v0, v34, -v36 :: v_dual_mul_f32 v0, v0, v35
	s_delay_alu instid0(VALU_DEP_1) | instskip(NEXT) | instid1(VALU_DEP_1)
	v_fmac_f32_e32 v0, v1, v34
	v_add_f32_e32 v0, v37, v0
	s_delay_alu instid0(VALU_DEP_3)
	v_add_f32_e32 v1, v30, v36
	ds_load_b128 v[36:39], v31 offset:1072
	s_wait_dscnt 0x0
	s_barrier_signal -1
	s_barrier_wait -1
	v_dual_mul_f32 v30, v37, v33 :: v_dual_mul_f32 v33, v36, v33
	s_delay_alu instid0(VALU_DEP_1) | instskip(NEXT) | instid1(VALU_DEP_1)
	v_dual_fma_f32 v30, v36, v32, -v30 :: v_dual_fmac_f32 v33, v37, v32
	v_dual_mul_f32 v32, v36, v35 :: v_dual_add_f32 v26, v26, v30
	s_delay_alu instid0(VALU_DEP_2) | instskip(NEXT) | instid1(VALU_DEP_1)
	v_dual_add_f32 v28, v28, v33 :: v_dual_mul_f32 v30, v37, v35
	v_dual_fmac_f32 v32, v37, v34 :: v_dual_fma_f32 v30, v36, v34, -v30
	s_delay_alu instid0(VALU_DEP_1) | instskip(NEXT) | instid1(VALU_DEP_2)
	v_dual_add_f32 v24, v24, v32 :: v_dual_mul_f32 v32, v2, v41
	v_dual_add_f32 v22, v22, v30 :: v_dual_mul_f32 v30, v3, v41
	s_delay_alu instid0(VALU_DEP_1) | instskip(NEXT) | instid1(VALU_DEP_1)
	v_dual_fmac_f32 v32, v3, v40 :: v_dual_fma_f32 v30, v2, v40, -v30
	v_dual_add_f32 v36, v44, v32 :: v_dual_add_f32 v34, v5, v30
	v_mul_f32_e32 v5, v3, v43
	s_delay_alu instid0(VALU_DEP_1) | instskip(NEXT) | instid1(VALU_DEP_1)
	v_dual_fma_f32 v5, v2, v42, -v5 :: v_dual_mul_f32 v2, v2, v43
	v_dual_fmac_f32 v2, v3, v42 :: v_dual_add_f32 v30, v1, v5
	s_delay_alu instid0(VALU_DEP_1) | instskip(NEXT) | instid1(VALU_DEP_1)
	v_dual_mul_f32 v1, v38, v41 :: v_dual_add_f32 v32, v0, v2
	v_dual_mul_f32 v0, v39, v41 :: v_dual_fmac_f32 v1, v39, v40
	s_delay_alu instid0(VALU_DEP_1) | instskip(SKIP_1) | instid1(VALU_DEP_2)
	v_dual_fma_f32 v0, v38, v40, -v0 :: v_dual_add_f32 v28, v28, v1
	v_mul_f32_e32 v1, v38, v43
	v_dual_add_f32 v26, v26, v0 :: v_dual_mul_f32 v0, v39, v43
	s_delay_alu instid0(VALU_DEP_1) | instskip(NEXT) | instid1(VALU_DEP_1)
	v_dual_fmac_f32 v1, v39, v42 :: v_dual_fma_f32 v0, v38, v42, -v0
	v_dual_add_f32 v24, v24, v1 :: v_dual_add_f32 v22, v22, v0
	s_cbranch_scc0 .LBB99_13
.LBB99_9:                               ;   Parent Loop BB99_6 Depth=1
                                        ; =>  This Inner Loop Header: Depth=2
	v_dual_mov_b32 v1, 0 :: v_dual_add_nc_u32 v0, s18, v4
	s_delay_alu instid0(VALU_DEP_1) | instskip(SKIP_2) | instid1(SALU_CYCLE_1)
	v_cmp_gt_i32_e32 vcc_lo, s5, v0
	v_mov_b32_e32 v0, 0
	s_and_b32 s26, s0, vcc_lo
	s_and_saveexec_b32 s19, s26
	s_cbranch_execz .LBB99_11
; %bb.10:                               ;   in Loop: Header=BB99_9 Depth=2
	global_load_b64 v[0:1], v[18:19], off
.LBB99_11:                              ;   in Loop: Header=BB99_9 Depth=2
	s_wait_xcnt 0x0
	s_or_b32 exec_lo, exec_lo, s19
	v_dual_mov_b32 v3, 0 :: v_dual_add_nc_u32 v2, s18, v23
	s_wait_loadcnt 0x0
	ds_store_b64 v25, v[0:1]
	v_cmp_gt_i32_e32 vcc_lo, s5, v2
	v_mov_b32_e32 v2, 0
	s_and_b32 s26, vcc_lo, s1
	s_delay_alu instid0(SALU_CYCLE_1)
	s_and_saveexec_b32 s19, s26
	s_cbranch_execz .LBB99_8
; %bb.12:                               ;   in Loop: Header=BB99_9 Depth=2
	global_load_b64 v[2:3], v[20:21], off
	s_branch .LBB99_8
.LBB99_13:                              ;   in Loop: Header=BB99_6 Depth=1
	s_mul_u64 s[18:19], s[24:25], s[22:23]
	s_delay_alu instid0(SALU_CYCLE_1) | instskip(NEXT) | instid1(SALU_CYCLE_1)
	s_lshl_b64 s[18:19], s[18:19], 3
	s_add_nc_u64 s[18:19], s[12:13], s[18:19]
	s_delay_alu instid0(SALU_CYCLE_1)
	v_lshl_add_u64 v[0:1], v[8:9], 3, s[18:19]
	s_and_saveexec_b32 s26, s30
	s_cbranch_execz .LBB99_18
; %bb.14:                               ;   in Loop: Header=BB99_6 Depth=1
	v_mov_b64_e32 v[2:3], s[14:15]
	v_mov_b64_e32 v[18:19], s[6:7]
	s_and_b32 vcc_lo, exec_lo, s29
	s_mov_b32 s27, -1
	s_delay_alu instid0(VALU_DEP_2) | instskip(NEXT) | instid1(VALU_DEP_1)
	v_pk_mul_f32 v[2:3], v[36:37], v[2:3] op_sel_hi:[0,1]
	v_pk_fma_f32 v[20:21], v[34:35], v[18:19], v[2:3] op_sel_hi:[0,1,1]
	v_pk_fma_f32 v[2:3], v[34:35], v[18:19], v[2:3] neg_lo:[0,0,1] neg_hi:[0,0,1]
	v_lshl_add_u64 v[18:19], v[6:7], 3, v[0:1]
	s_delay_alu instid0(VALU_DEP_3)
	v_mov_b32_e32 v3, v21
	s_cbranch_vccz .LBB99_16
; %bb.15:                               ;   in Loop: Header=BB99_6 Depth=1
	global_load_b64 v[20:21], v[18:19], off
	v_mov_b64_e32 v[34:35], s[20:21]
	v_mov_b64_e32 v[36:37], s[2:3]
	s_mov_b32 s27, 0
	s_wait_loadcnt 0x0
	s_delay_alu instid0(VALU_DEP_2) | instskip(NEXT) | instid1(VALU_DEP_1)
	v_pk_mul_f32 v[34:35], v[20:21], v[34:35]
	v_pk_fma_f32 v[38:39], v[20:21], v[36:37], v[34:35] op_sel:[0,0,1] op_sel_hi:[1,1,0]
	v_pk_fma_f32 v[20:21], v[20:21], v[36:37], v[34:35] op_sel:[0,0,1] op_sel_hi:[1,1,0] neg_lo:[0,0,1] neg_hi:[0,0,1]
	s_delay_alu instid0(VALU_DEP_2) | instskip(NEXT) | instid1(VALU_DEP_1)
	v_mov_b32_e32 v21, v39
	v_pk_add_f32 v[20:21], v[2:3], v[20:21]
	global_store_b64 v[18:19], v[20:21], off
.LBB99_16:                              ;   in Loop: Header=BB99_6 Depth=1
	s_and_not1_b32 vcc_lo, exec_lo, s27
	s_cbranch_vccnz .LBB99_18
; %bb.17:                               ;   in Loop: Header=BB99_6 Depth=1
	global_store_b64 v[18:19], v[2:3], off
.LBB99_18:                              ;   in Loop: Header=BB99_6 Depth=1
	s_wait_xcnt 0x0
	s_or_b32 exec_lo, exec_lo, s26
	s_and_saveexec_b32 s26, s31
	s_cbranch_execz .LBB99_23
; %bb.19:                               ;   in Loop: Header=BB99_6 Depth=1
	v_mov_b64_e32 v[2:3], s[14:15]
	v_mov_b64_e32 v[18:19], s[6:7]
	v_lshl_add_u64 v[0:1], v[10:11], 3, v[0:1]
	s_and_not1_b32 vcc_lo, exec_lo, s29
	s_mov_b32 s27, -1
	s_delay_alu instid0(VALU_DEP_3) | instskip(NEXT) | instid1(VALU_DEP_1)
	v_pk_mul_f32 v[2:3], v[32:33], v[2:3] op_sel_hi:[0,1]
	v_pk_fma_f32 v[20:21], v[30:31], v[18:19], v[2:3] op_sel_hi:[0,1,1]
	v_pk_fma_f32 v[2:3], v[30:31], v[18:19], v[2:3] neg_lo:[0,0,1] neg_hi:[0,0,1]
	s_delay_alu instid0(VALU_DEP_2)
	v_mov_b32_e32 v3, v21
	s_cbranch_vccnz .LBB99_21
; %bb.20:                               ;   in Loop: Header=BB99_6 Depth=1
	global_load_b64 v[18:19], v[0:1], off
	v_mov_b64_e32 v[20:21], s[20:21]
	v_mov_b64_e32 v[32:33], s[2:3]
	s_mov_b32 s27, 0
	s_wait_loadcnt 0x0
	s_delay_alu instid0(VALU_DEP_2) | instskip(NEXT) | instid1(VALU_DEP_1)
	v_pk_mul_f32 v[20:21], v[18:19], v[20:21]
	v_pk_fma_f32 v[34:35], v[18:19], v[32:33], v[20:21] op_sel:[0,0,1] op_sel_hi:[1,1,0]
	v_pk_fma_f32 v[18:19], v[18:19], v[32:33], v[20:21] op_sel:[0,0,1] op_sel_hi:[1,1,0] neg_lo:[0,0,1] neg_hi:[0,0,1]
	s_delay_alu instid0(VALU_DEP_2) | instskip(NEXT) | instid1(VALU_DEP_1)
	v_mov_b32_e32 v19, v35
	v_pk_add_f32 v[18:19], v[2:3], v[18:19]
	global_store_b64 v[0:1], v[18:19], off
.LBB99_21:                              ;   in Loop: Header=BB99_6 Depth=1
	s_and_not1_b32 vcc_lo, exec_lo, s27
	s_cbranch_vccnz .LBB99_23
; %bb.22:                               ;   in Loop: Header=BB99_6 Depth=1
	global_store_b64 v[0:1], v[2:3], off
.LBB99_23:                              ;   in Loop: Header=BB99_6 Depth=1
	s_wait_xcnt 0x0
	s_or_b32 exec_lo, exec_lo, s26
	v_lshl_add_u64 v[0:1], v[12:13], 3, s[18:19]
	s_and_saveexec_b32 s18, s33
	s_cbranch_execz .LBB99_28
; %bb.24:                               ;   in Loop: Header=BB99_6 Depth=1
	v_mov_b64_e32 v[2:3], s[14:15]
	v_mov_b64_e32 v[18:19], s[6:7]
	s_and_not1_b32 vcc_lo, exec_lo, s29
	s_mov_b32 s19, -1
	s_delay_alu instid0(VALU_DEP_2) | instskip(NEXT) | instid1(VALU_DEP_1)
	v_pk_mul_f32 v[2:3], v[28:29], v[2:3] op_sel_hi:[0,1]
	v_pk_fma_f32 v[20:21], v[26:27], v[18:19], v[2:3] op_sel_hi:[0,1,1]
	v_pk_fma_f32 v[2:3], v[26:27], v[18:19], v[2:3] neg_lo:[0,0,1] neg_hi:[0,0,1]
	v_lshl_add_u64 v[18:19], v[6:7], 3, v[0:1]
	s_delay_alu instid0(VALU_DEP_3)
	v_mov_b32_e32 v3, v21
	s_cbranch_vccnz .LBB99_26
; %bb.25:                               ;   in Loop: Header=BB99_6 Depth=1
	global_load_b64 v[20:21], v[18:19], off
	v_mov_b64_e32 v[32:33], s[20:21]
	v_mov_b64_e32 v[34:35], s[2:3]
	s_mov_b32 s19, 0
	s_wait_loadcnt 0x0
	s_delay_alu instid0(VALU_DEP_2) | instskip(NEXT) | instid1(VALU_DEP_1)
	v_pk_mul_f32 v[32:33], v[20:21], v[32:33]
	v_pk_fma_f32 v[36:37], v[20:21], v[34:35], v[32:33] op_sel:[0,0,1] op_sel_hi:[1,1,0]
	v_pk_fma_f32 v[20:21], v[20:21], v[34:35], v[32:33] op_sel:[0,0,1] op_sel_hi:[1,1,0] neg_lo:[0,0,1] neg_hi:[0,0,1]
	s_delay_alu instid0(VALU_DEP_2) | instskip(NEXT) | instid1(VALU_DEP_1)
	v_mov_b32_e32 v21, v37
	v_pk_add_f32 v[20:21], v[2:3], v[20:21]
	global_store_b64 v[18:19], v[20:21], off
.LBB99_26:                              ;   in Loop: Header=BB99_6 Depth=1
	s_and_not1_b32 vcc_lo, exec_lo, s19
	s_cbranch_vccnz .LBB99_28
; %bb.27:                               ;   in Loop: Header=BB99_6 Depth=1
	global_store_b64 v[18:19], v[2:3], off
.LBB99_28:                              ;   in Loop: Header=BB99_6 Depth=1
	s_wait_xcnt 0x0
	s_or_b32 exec_lo, exec_lo, s18
	s_and_saveexec_b32 s18, s4
	s_cbranch_execz .LBB99_5
; %bb.29:                               ;   in Loop: Header=BB99_6 Depth=1
	v_mov_b64_e32 v[2:3], s[14:15]
	v_mov_b64_e32 v[18:19], s[6:7]
	v_lshl_add_u64 v[0:1], v[10:11], 3, v[0:1]
	s_and_not1_b32 vcc_lo, exec_lo, s29
	s_mov_b32 s19, -1
	s_delay_alu instid0(VALU_DEP_3) | instskip(NEXT) | instid1(VALU_DEP_1)
	v_pk_mul_f32 v[2:3], v[24:25], v[2:3] op_sel_hi:[0,1]
	v_pk_fma_f32 v[20:21], v[22:23], v[18:19], v[2:3] op_sel_hi:[0,1,1]
	v_pk_fma_f32 v[2:3], v[22:23], v[18:19], v[2:3] neg_lo:[0,0,1] neg_hi:[0,0,1]
	s_delay_alu instid0(VALU_DEP_2)
	v_mov_b32_e32 v3, v21
	s_cbranch_vccnz .LBB99_31
; %bb.30:                               ;   in Loop: Header=BB99_6 Depth=1
	global_load_b64 v[18:19], v[0:1], off
	v_mov_b64_e32 v[20:21], s[20:21]
	v_mov_b64_e32 v[32:33], s[2:3]
	s_mov_b32 s19, 0
	s_wait_loadcnt 0x0
	s_delay_alu instid0(VALU_DEP_2) | instskip(NEXT) | instid1(VALU_DEP_1)
	v_pk_mul_f32 v[20:21], v[18:19], v[20:21]
	v_pk_fma_f32 v[34:35], v[18:19], v[32:33], v[20:21] op_sel:[0,0,1] op_sel_hi:[1,1,0]
	v_pk_fma_f32 v[18:19], v[18:19], v[32:33], v[20:21] op_sel:[0,0,1] op_sel_hi:[1,1,0] neg_lo:[0,0,1] neg_hi:[0,0,1]
	s_delay_alu instid0(VALU_DEP_2) | instskip(NEXT) | instid1(VALU_DEP_1)
	v_mov_b32_e32 v19, v35
	v_pk_add_f32 v[18:19], v[2:3], v[18:19]
	global_store_b64 v[0:1], v[18:19], off
.LBB99_31:                              ;   in Loop: Header=BB99_6 Depth=1
	s_and_not1_b32 vcc_lo, exec_lo, s19
	s_cbranch_vccnz .LBB99_5
; %bb.32:                               ;   in Loop: Header=BB99_6 Depth=1
	global_store_b64 v[0:1], v[2:3], off
	s_branch .LBB99_5
.LBB99_33:
	s_endpgm
	.section	.rodata,"a",@progbits
	.p2align	6, 0x0
	.amdhsa_kernel _ZL29rocblas_internal_gemmt_kernelIiLi16ELi32ELi8ELc78ELc78ELc76ELb0ELb0E19rocblas_complex_numIfES1_PKS1_PS1_EviT_T9_T10_S5_lS7_S5_lS6_T11_S5_li
		.amdhsa_group_segment_fixed_size 4096
		.amdhsa_private_segment_fixed_size 0
		.amdhsa_kernarg_size 100
		.amdhsa_user_sgpr_count 2
		.amdhsa_user_sgpr_dispatch_ptr 0
		.amdhsa_user_sgpr_queue_ptr 0
		.amdhsa_user_sgpr_kernarg_segment_ptr 1
		.amdhsa_user_sgpr_dispatch_id 0
		.amdhsa_user_sgpr_kernarg_preload_length 0
		.amdhsa_user_sgpr_kernarg_preload_offset 0
		.amdhsa_user_sgpr_private_segment_size 0
		.amdhsa_wavefront_size32 1
		.amdhsa_uses_dynamic_stack 0
		.amdhsa_enable_private_segment 0
		.amdhsa_system_sgpr_workgroup_id_x 1
		.amdhsa_system_sgpr_workgroup_id_y 1
		.amdhsa_system_sgpr_workgroup_id_z 1
		.amdhsa_system_sgpr_workgroup_info 0
		.amdhsa_system_vgpr_workitem_id 1
		.amdhsa_next_free_vgpr 56
		.amdhsa_next_free_sgpr 36
		.amdhsa_named_barrier_count 0
		.amdhsa_reserve_vcc 1
		.amdhsa_float_round_mode_32 0
		.amdhsa_float_round_mode_16_64 0
		.amdhsa_float_denorm_mode_32 3
		.amdhsa_float_denorm_mode_16_64 3
		.amdhsa_fp16_overflow 0
		.amdhsa_memory_ordered 1
		.amdhsa_forward_progress 1
		.amdhsa_inst_pref_size 25
		.amdhsa_round_robin_scheduling 0
		.amdhsa_exception_fp_ieee_invalid_op 0
		.amdhsa_exception_fp_denorm_src 0
		.amdhsa_exception_fp_ieee_div_zero 0
		.amdhsa_exception_fp_ieee_overflow 0
		.amdhsa_exception_fp_ieee_underflow 0
		.amdhsa_exception_fp_ieee_inexact 0
		.amdhsa_exception_int_div_zero 0
	.end_amdhsa_kernel
	.section	.text._ZL29rocblas_internal_gemmt_kernelIiLi16ELi32ELi8ELc78ELc78ELc76ELb0ELb0E19rocblas_complex_numIfES1_PKS1_PS1_EviT_T9_T10_S5_lS7_S5_lS6_T11_S5_li,"axG",@progbits,_ZL29rocblas_internal_gemmt_kernelIiLi16ELi32ELi8ELc78ELc78ELc76ELb0ELb0E19rocblas_complex_numIfES1_PKS1_PS1_EviT_T9_T10_S5_lS7_S5_lS6_T11_S5_li,comdat
.Lfunc_end99:
	.size	_ZL29rocblas_internal_gemmt_kernelIiLi16ELi32ELi8ELc78ELc78ELc76ELb0ELb0E19rocblas_complex_numIfES1_PKS1_PS1_EviT_T9_T10_S5_lS7_S5_lS6_T11_S5_li, .Lfunc_end99-_ZL29rocblas_internal_gemmt_kernelIiLi16ELi32ELi8ELc78ELc78ELc76ELb0ELb0E19rocblas_complex_numIfES1_PKS1_PS1_EviT_T9_T10_S5_lS7_S5_lS6_T11_S5_li
                                        ; -- End function
	.set _ZL29rocblas_internal_gemmt_kernelIiLi16ELi32ELi8ELc78ELc78ELc76ELb0ELb0E19rocblas_complex_numIfES1_PKS1_PS1_EviT_T9_T10_S5_lS7_S5_lS6_T11_S5_li.num_vgpr, 56
	.set _ZL29rocblas_internal_gemmt_kernelIiLi16ELi32ELi8ELc78ELc78ELc76ELb0ELb0E19rocblas_complex_numIfES1_PKS1_PS1_EviT_T9_T10_S5_lS7_S5_lS6_T11_S5_li.num_agpr, 0
	.set _ZL29rocblas_internal_gemmt_kernelIiLi16ELi32ELi8ELc78ELc78ELc76ELb0ELb0E19rocblas_complex_numIfES1_PKS1_PS1_EviT_T9_T10_S5_lS7_S5_lS6_T11_S5_li.numbered_sgpr, 36
	.set _ZL29rocblas_internal_gemmt_kernelIiLi16ELi32ELi8ELc78ELc78ELc76ELb0ELb0E19rocblas_complex_numIfES1_PKS1_PS1_EviT_T9_T10_S5_lS7_S5_lS6_T11_S5_li.num_named_barrier, 0
	.set _ZL29rocblas_internal_gemmt_kernelIiLi16ELi32ELi8ELc78ELc78ELc76ELb0ELb0E19rocblas_complex_numIfES1_PKS1_PS1_EviT_T9_T10_S5_lS7_S5_lS6_T11_S5_li.private_seg_size, 0
	.set _ZL29rocblas_internal_gemmt_kernelIiLi16ELi32ELi8ELc78ELc78ELc76ELb0ELb0E19rocblas_complex_numIfES1_PKS1_PS1_EviT_T9_T10_S5_lS7_S5_lS6_T11_S5_li.uses_vcc, 1
	.set _ZL29rocblas_internal_gemmt_kernelIiLi16ELi32ELi8ELc78ELc78ELc76ELb0ELb0E19rocblas_complex_numIfES1_PKS1_PS1_EviT_T9_T10_S5_lS7_S5_lS6_T11_S5_li.uses_flat_scratch, 0
	.set _ZL29rocblas_internal_gemmt_kernelIiLi16ELi32ELi8ELc78ELc78ELc76ELb0ELb0E19rocblas_complex_numIfES1_PKS1_PS1_EviT_T9_T10_S5_lS7_S5_lS6_T11_S5_li.has_dyn_sized_stack, 0
	.set _ZL29rocblas_internal_gemmt_kernelIiLi16ELi32ELi8ELc78ELc78ELc76ELb0ELb0E19rocblas_complex_numIfES1_PKS1_PS1_EviT_T9_T10_S5_lS7_S5_lS6_T11_S5_li.has_recursion, 0
	.set _ZL29rocblas_internal_gemmt_kernelIiLi16ELi32ELi8ELc78ELc78ELc76ELb0ELb0E19rocblas_complex_numIfES1_PKS1_PS1_EviT_T9_T10_S5_lS7_S5_lS6_T11_S5_li.has_indirect_call, 0
	.section	.AMDGPU.csdata,"",@progbits
; Kernel info:
; codeLenInByte = 3168
; TotalNumSgprs: 38
; NumVgprs: 56
; ScratchSize: 0
; MemoryBound: 0
; FloatMode: 240
; IeeeMode: 1
; LDSByteSize: 4096 bytes/workgroup (compile time only)
; SGPRBlocks: 0
; VGPRBlocks: 3
; NumSGPRsForWavesPerEU: 38
; NumVGPRsForWavesPerEU: 56
; NamedBarCnt: 0
; Occupancy: 16
; WaveLimiterHint : 0
; COMPUTE_PGM_RSRC2:SCRATCH_EN: 0
; COMPUTE_PGM_RSRC2:USER_SGPR: 2
; COMPUTE_PGM_RSRC2:TRAP_HANDLER: 0
; COMPUTE_PGM_RSRC2:TGID_X_EN: 1
; COMPUTE_PGM_RSRC2:TGID_Y_EN: 1
; COMPUTE_PGM_RSRC2:TGID_Z_EN: 1
; COMPUTE_PGM_RSRC2:TIDIG_COMP_CNT: 1
	.section	.text._ZL29rocblas_internal_gemmt_kernelIiLi16ELi32ELi8ELc78ELc84ELc76ELb0ELb0E19rocblas_complex_numIfES1_PKS1_PS1_EviT_T9_T10_S5_lS7_S5_lS6_T11_S5_li,"axG",@progbits,_ZL29rocblas_internal_gemmt_kernelIiLi16ELi32ELi8ELc78ELc84ELc76ELb0ELb0E19rocblas_complex_numIfES1_PKS1_PS1_EviT_T9_T10_S5_lS7_S5_lS6_T11_S5_li,comdat
	.globl	_ZL29rocblas_internal_gemmt_kernelIiLi16ELi32ELi8ELc78ELc84ELc76ELb0ELb0E19rocblas_complex_numIfES1_PKS1_PS1_EviT_T9_T10_S5_lS7_S5_lS6_T11_S5_li ; -- Begin function _ZL29rocblas_internal_gemmt_kernelIiLi16ELi32ELi8ELc78ELc84ELc76ELb0ELb0E19rocblas_complex_numIfES1_PKS1_PS1_EviT_T9_T10_S5_lS7_S5_lS6_T11_S5_li
	.p2align	8
	.type	_ZL29rocblas_internal_gemmt_kernelIiLi16ELi32ELi8ELc78ELc84ELc76ELb0ELb0E19rocblas_complex_numIfES1_PKS1_PS1_EviT_T9_T10_S5_lS7_S5_lS6_T11_S5_li,@function
_ZL29rocblas_internal_gemmt_kernelIiLi16ELi32ELi8ELc78ELc84ELc76ELb0ELb0E19rocblas_complex_numIfES1_PKS1_PS1_EviT_T9_T10_S5_lS7_S5_lS6_T11_S5_li: ; @_ZL29rocblas_internal_gemmt_kernelIiLi16ELi32ELi8ELc78ELc84ELc76ELb0ELb0E19rocblas_complex_numIfES1_PKS1_PS1_EviT_T9_T10_S5_lS7_S5_lS6_T11_S5_li
; %bb.0:
	s_clause 0x1
	s_load_b64 s[20:21], s[0:1], 0x40
	s_load_b128 s[4:7], s[0:1], 0x0
	s_wait_kmcnt 0x0
	s_cmp_neq_f32 s20, 1.0
	s_cselect_b32 s2, -1, 0
	s_and_b32 s8, s21, 0x7fffffff
	s_delay_alu instid0(SALU_CYCLE_1) | instskip(SKIP_3) | instid1(SALU_CYCLE_1)
	s_cmp_eq_u32 s8, 0
	s_cselect_b32 s3, -1, 0
	s_cmp_lg_u32 s8, 0
	s_cselect_b32 s8, -1, 0
	s_or_b32 s2, s2, s8
	s_delay_alu instid0(SALU_CYCLE_1)
	s_and_b32 vcc_lo, exec_lo, s2
	s_cbranch_vccnz .LBB100_2
; %bb.1:
	s_cmp_lg_u32 s5, 0
	s_cselect_b32 s2, -1, 0
	s_cmp_neq_f32 s6, 0
	s_cselect_b32 s8, -1, 0
	s_cmp_neq_f32 s7, 0
	s_cselect_b32 s9, -1, 0
	s_delay_alu instid0(SALU_CYCLE_1) | instskip(NEXT) | instid1(SALU_CYCLE_1)
	s_or_b32 s8, s8, s9
	s_and_b32 s2, s2, s8
.LBB100_2:
	s_delay_alu instid0(SALU_CYCLE_1)
	s_and_not1_b32 vcc_lo, exec_lo, s2
	s_cbranch_vccnz .LBB100_33
; %bb.3:
	s_load_b32 s30, s[0:1], 0x60
	s_bfe_u32 s2, ttmp6, 0x40014
	s_lshr_b32 s8, ttmp7, 16
	s_add_co_i32 s2, s2, 1
	s_bfe_u32 s10, ttmp6, 0x40008
	s_mul_i32 s9, s8, s2
	s_getreg_b32 s2, hwreg(HW_REG_IB_STS2, 6, 4)
	s_add_co_i32 s10, s10, s9
	s_cmp_eq_u32 s2, 0
	s_mov_b32 s23, 0
	s_cselect_b32 s22, s8, s10
	s_wait_kmcnt 0x0
	s_cmp_ge_u32 s22, s30
	s_cbranch_scc1 .LBB100_33
; %bb.4:
	s_clause 0x2
	s_load_b96 s[16:18], s[0:1], 0x10
	s_load_b32 s26, s[0:1], 0x30
	s_load_b96 s[12:14], s[0:1], 0x48
	v_and_b32_e32 v1, 0x3ff, v0
	v_bfe_u32 v9, v0, 10, 10
	s_clause 0x2
	s_load_b128 s[8:11], s[0:1], 0x20
	s_load_b64 s[28:29], s[0:1], 0x38
	s_load_b64 s[24:25], s[0:1], 0x58
	s_wait_xcnt 0x0
	s_bfe_u32 s1, ttmp6, 0x4000c
	s_bfe_u32 s15, ttmp6, 0x40010
	s_and_b32 s31, ttmp7, 0xffff
	v_lshl_add_u32 v2, v9, 4, v1
	s_add_co_i32 s1, s1, 1
	s_add_co_i32 s15, s15, 1
	v_and_b32_e32 v6, 7, v0
	s_and_b32 s0, ttmp6, 15
	v_lshrrev_b32_e32 v4, 5, v2
	s_mul_i32 s1, ttmp9, s1
	s_mul_i32 s33, s31, s15
	s_bfe_u32 s34, ttmp6, 0x40004
	s_add_co_i32 s0, s0, s1
	s_add_co_i32 s34, s34, s33
	s_wait_kmcnt 0x0
	s_ashr_i32 s19, s18, 31
	s_ashr_i32 s27, s26, 31
	;; [unrolled: 1-line block ×3, first 2 shown]
	s_cmp_eq_u32 s2, 0
	v_dual_lshrrev_b32 v5, 3, v2 :: v_dual_bitop2_b32 v3, 31, v2 bitop3:0x40
	v_lshlrev_b32_e32 v7, 3, v6
	s_cselect_b32 s0, ttmp9, s0
	s_cselect_b32 s1, s31, s34
	s_lshl_b32 s2, s0, 5
	s_lshl_b32 s31, s1, 5
	s_delay_alu instid0(SALU_CYCLE_1) | instskip(SKIP_4) | instid1(VALU_DEP_3)
	v_dual_add_nc_u32 v2, s31, v5 :: v_dual_bitop2_b32 v0, s2, v3 bitop3:0x54
	v_lshlrev_b32_e32 v3, 3, v3
	v_lshl_or_b32 v7, v5, 6, v7
	v_dual_mov_b32 v5, 0 :: v_dual_add_nc_u32 v16, s31, v9
	s_cmp_neq_f32 s6, 0
	v_lshl_or_b32 v25, v4, 8, v3
	s_delay_alu instid0(VALU_DEP_3) | instskip(NEXT) | instid1(VALU_DEP_3)
	v_add_nc_u32_e32 v27, 0x800, v7
	v_dual_ashrrev_i32 v3, 31, v2 :: v_dual_mov_b32 v7, v5
	v_mul_u64_e32 v[18:19], s[18:19], v[4:5]
	v_dual_lshlrev_b32 v5, 3, v1 :: v_dual_add_nc_u32 v22, 16, v16
	v_dual_ashrrev_i32 v17, 31, v16 :: v_dual_add_nc_u32 v8, s2, v1
	s_delay_alu instid0(VALU_DEP_4) | instskip(SKIP_1) | instid1(VALU_DEP_3)
	v_mul_u64_e32 v[20:21], s[26:27], v[6:7]
	s_cselect_b32 s0, -1, 0
	v_ashrrev_i32_e32 v23, 31, v22
	s_delay_alu instid0(VALU_DEP_3)
	v_mul_u64_e32 v[10:11], s[14:15], v[16:17]
	v_add_nc_u32_e32 v12, 16, v8
	s_cmp_neq_f32 s7, 0
	v_ashrrev_i32_e32 v1, 31, v0
	v_mul_u64_e32 v[14:15], s[14:15], v[22:23]
	v_cmp_le_i32_e32 vcc_lo, v16, v8
	s_cselect_b32 s1, -1, 0
	v_cmp_gt_i32_e64 s2, s4, v8
	s_or_b32 s36, s0, s1
	v_cmp_gt_i32_e64 s0, s4, v0
	v_cmp_gt_i32_e64 s1, s4, v2
	v_lshlrev_b64_e32 v[0:1], 3, v[0:1]
	v_lshlrev_b64_e32 v[2:3], 3, v[2:3]
	s_cmp_gt_i32 s5, 0
	v_cmp_gt_i32_e64 s4, s4, v12
	s_cselect_b32 s37, -1, 0
	s_cmp_neq_f32 s20, 0
	v_lshl_add_u32 v7, v9, 6, 0x800
	v_ashrrev_i32_e32 v9, 31, v8
	v_ashrrev_i32_e32 v13, 31, v12
	s_cselect_b32 s31, -1, 0
	s_xor_b32 s14, s3, -1
	v_cmp_le_i32_e64 s3, v16, v12
	s_and_b32 s33, vcc_lo, s2
	v_lshl_add_u64 v[0:1], v[18:19], 3, v[0:1]
	v_cmp_le_i32_e32 vcc_lo, v22, v8
	s_or_b32 s31, s31, s14
	s_and_b32 s34, s3, s4
	v_cmp_le_i32_e64 s3, v22, v12
	v_lshl_add_u64 v[2:3], v[20:21], 3, v[2:3]
	v_add_nc_u64_e32 v[16:17], s[16:17], v[0:1]
	s_and_b32 s35, vcc_lo, s2
	s_mov_b32 s2, s20
	s_and_b32 s4, s3, s4
	v_add_nc_u64_e32 v[18:19], s[10:11], v[2:3]
	s_mov_b32 s3, s20
	s_mov_b32 s20, s21
	;; [unrolled: 1-line block ×4, first 2 shown]
	s_lshl_b64 s[8:9], s[8:9], 3
	s_and_b32 s36, s36, s37
	s_lshl_b64 s[10:11], s[18:19], 6
	s_lshl_b64 s[16:17], s[28:29], 3
	;; [unrolled: 1-line block ×3, first 2 shown]
	s_branch .LBB100_6
.LBB100_5:                              ;   in Loop: Header=BB100_6 Depth=1
	s_wait_xcnt 0x0
	s_or_b32 exec_lo, exec_lo, s26
	s_add_co_i32 s22, s22, 0x10000
	s_delay_alu instid0(SALU_CYCLE_1)
	s_cmp_lt_u32 s22, s30
	s_cbranch_scc0 .LBB100_33
.LBB100_6:                              ; =>This Loop Header: Depth=1
                                        ;     Child Loop BB100_9 Depth 2
	v_dual_mov_b32 v36, 0 :: v_dual_mov_b32 v38, 0
	v_dual_mov_b32 v32, 0 :: v_dual_mov_b32 v34, 0
	;; [unrolled: 1-line block ×4, first 2 shown]
	s_and_not1_b32 vcc_lo, exec_lo, s36
	s_cbranch_vccnz .LBB100_13
; %bb.7:                                ;   in Loop: Header=BB100_6 Depth=1
	v_mad_nc_u64_u32 v[20:21], s8, s22, v[16:17]
	v_mad_nc_u64_u32 v[22:23], s16, s22, v[18:19]
	v_dual_mov_b32 v26, 0 :: v_dual_mov_b32 v24, 0
	v_dual_mov_b32 v30, 0 :: v_dual_mov_b32 v28, 0
	;; [unrolled: 1-line block ×4, first 2 shown]
	s_mov_b32 s26, 0
	v_mad_u32 v21, s9, s22, v21
	v_mad_u32 v23, s17, s22, v23
	s_branch .LBB100_9
.LBB100_8:                              ;   in Loop: Header=BB100_9 Depth=2
	s_wait_xcnt 0x0
	s_or_b32 exec_lo, exec_lo, s27
	s_wait_loadcnt 0x0
	ds_store_b64 v27, v[2:3]
	s_wait_dscnt 0x0
	s_barrier_signal -1
	s_barrier_wait -1
	ds_load_b128 v[40:43], v7
	ds_load_b128 v[44:47], v7 offset:16
	ds_load_b128 v[48:51], v7 offset:32
	;; [unrolled: 1-line block ×3, first 2 shown]
	ds_load_2addr_b64 v[52:55], v5 offset1:16
	v_add_nc_u64_e32 v[20:21], s[10:11], v[20:21]
	v_add_nc_u64_e32 v[22:23], s[18:19], v[22:23]
	s_add_co_i32 s26, s26, 8
	s_delay_alu instid0(SALU_CYCLE_1) | instskip(SKIP_2) | instid1(VALU_DEP_1)
	s_cmp_lt_i32 s26, s5
	s_wait_dscnt 0x0
	v_dual_mul_f32 v29, v41, v53 :: v_dual_mul_f32 v31, v40, v53
	v_dual_fma_f32 v29, v40, v52, -v29 :: v_dual_fmac_f32 v31, v41, v52
	s_delay_alu instid0(VALU_DEP_1) | instskip(SKIP_1) | instid1(VALU_DEP_1)
	v_dual_add_f32 v36, v36, v29 :: v_dual_add_f32 v37, v38, v31
	v_dual_mul_f32 v29, v41, v55 :: v_dual_mul_f32 v31, v40, v55
	v_dual_fma_f32 v29, v40, v54, -v29 :: v_dual_fmac_f32 v31, v41, v54
	s_delay_alu instid0(VALU_DEP_1) | instskip(SKIP_3) | instid1(VALU_DEP_1)
	v_dual_add_f32 v38, v32, v29 :: v_dual_add_f32 v39, v34, v31
	ds_load_b128 v[32:35], v7 offset:1024
	s_wait_dscnt 0x0
	v_dual_mul_f32 v29, v33, v53 :: v_dual_mul_f32 v31, v32, v53
	v_dual_fma_f32 v29, v32, v52, -v29 :: v_dual_fmac_f32 v31, v33, v52
	s_delay_alu instid0(VALU_DEP_1) | instskip(SKIP_1) | instid1(VALU_DEP_1)
	v_dual_add_f32 v40, v28, v29 :: v_dual_add_f32 v41, v30, v31
	v_dual_mul_f32 v28, v33, v55 :: v_dual_mul_f32 v29, v32, v55
	v_dual_fma_f32 v28, v32, v54, -v28 :: v_dual_fmac_f32 v29, v33, v54
	s_delay_alu instid0(VALU_DEP_1) | instskip(SKIP_3) | instid1(VALU_DEP_1)
	v_dual_add_f32 v24, v24, v28 :: v_dual_add_f32 v26, v26, v29
	ds_load_2addr_b64 v[28:31], v5 offset0:32 offset1:48
	s_wait_dscnt 0x0
	v_dual_mul_f32 v32, v43, v29 :: v_dual_mul_f32 v33, v42, v29
	v_dual_fma_f32 v32, v42, v28, -v32 :: v_dual_fmac_f32 v33, v43, v28
	s_delay_alu instid0(VALU_DEP_1) | instskip(SKIP_1) | instid1(VALU_DEP_1)
	v_dual_add_f32 v32, v36, v32 :: v_dual_add_f32 v33, v37, v33
	v_dual_mul_f32 v36, v43, v31 :: v_dual_mul_f32 v37, v42, v31
	v_dual_fma_f32 v36, v42, v30, -v36 :: v_dual_fmac_f32 v37, v43, v30
	s_delay_alu instid0(VALU_DEP_1) | instskip(SKIP_1) | instid1(VALU_DEP_1)
	v_dual_add_f32 v36, v38, v36 :: v_dual_add_f32 v37, v39, v37
	v_dual_mul_f32 v38, v35, v29 :: v_dual_mul_f32 v29, v34, v29
	v_dual_fma_f32 v38, v34, v28, -v38 :: v_dual_fmac_f32 v29, v35, v28
	s_delay_alu instid0(VALU_DEP_1) | instskip(NEXT) | instid1(VALU_DEP_2)
	v_dual_mul_f32 v28, v35, v31 :: v_dual_add_f32 v38, v40, v38
	v_dual_add_f32 v39, v41, v29 :: v_dual_mul_f32 v29, v34, v31
	s_delay_alu instid0(VALU_DEP_1) | instskip(NEXT) | instid1(VALU_DEP_1)
	v_dual_fma_f32 v28, v34, v30, -v28 :: v_dual_fmac_f32 v29, v35, v30
	v_dual_add_f32 v24, v24, v28 :: v_dual_add_f32 v26, v26, v29
	ds_load_2addr_b64 v[28:31], v5 offset0:64 offset1:80
	s_wait_dscnt 0x0
	v_dual_mul_f32 v34, v45, v29 :: v_dual_mul_f32 v35, v44, v29
	s_delay_alu instid0(VALU_DEP_1) | instskip(NEXT) | instid1(VALU_DEP_1)
	v_dual_fma_f32 v34, v44, v28, -v34 :: v_dual_fmac_f32 v35, v45, v28
	v_dual_add_f32 v40, v32, v34 :: v_dual_add_f32 v41, v33, v35
	v_dual_mul_f32 v32, v45, v31 :: v_dual_mul_f32 v33, v44, v31
	s_delay_alu instid0(VALU_DEP_1) | instskip(NEXT) | instid1(VALU_DEP_1)
	v_dual_fma_f32 v32, v44, v30, -v32 :: v_dual_fmac_f32 v33, v45, v30
	v_dual_add_f32 v36, v36, v32 :: v_dual_add_f32 v37, v37, v33
	ds_load_b128 v[32:35], v7 offset:1040
	s_wait_dscnt 0x0
	v_dual_mul_f32 v42, v33, v29 :: v_dual_mul_f32 v29, v32, v29
	s_delay_alu instid0(VALU_DEP_1) | instskip(NEXT) | instid1(VALU_DEP_1)
	v_dual_fma_f32 v42, v32, v28, -v42 :: v_dual_fmac_f32 v29, v33, v28
	v_dual_mul_f32 v28, v33, v31 :: v_dual_add_f32 v38, v38, v42
	s_delay_alu instid0(VALU_DEP_2) | instskip(NEXT) | instid1(VALU_DEP_1)
	v_dual_add_f32 v39, v39, v29 :: v_dual_mul_f32 v29, v32, v31
	v_dual_fma_f32 v28, v32, v30, -v28 :: v_dual_fmac_f32 v29, v33, v30
	s_delay_alu instid0(VALU_DEP_1) | instskip(SKIP_3) | instid1(VALU_DEP_1)
	v_dual_add_f32 v24, v24, v28 :: v_dual_add_f32 v26, v26, v29
	ds_load_2addr_b64 v[28:31], v5 offset0:96 offset1:112
	s_wait_dscnt 0x0
	v_dual_mul_f32 v32, v47, v29 :: v_dual_mul_f32 v33, v46, v29
	v_dual_fma_f32 v32, v46, v28, -v32 :: v_dual_fmac_f32 v33, v47, v28
	s_delay_alu instid0(VALU_DEP_1) | instskip(SKIP_1) | instid1(VALU_DEP_1)
	v_dual_add_f32 v32, v40, v32 :: v_dual_add_f32 v33, v41, v33
	v_dual_mul_f32 v40, v47, v31 :: v_dual_mul_f32 v41, v46, v31
	v_dual_fma_f32 v40, v46, v30, -v40 :: v_dual_fmac_f32 v41, v47, v30
	s_delay_alu instid0(VALU_DEP_1) | instskip(SKIP_1) | instid1(VALU_DEP_1)
	v_dual_add_f32 v36, v36, v40 :: v_dual_add_f32 v37, v37, v41
	v_dual_mul_f32 v40, v35, v29 :: v_dual_mul_f32 v29, v34, v29
	v_dual_fma_f32 v40, v34, v28, -v40 :: v_dual_fmac_f32 v29, v35, v28
	s_delay_alu instid0(VALU_DEP_1) | instskip(NEXT) | instid1(VALU_DEP_2)
	v_dual_mul_f32 v28, v35, v31 :: v_dual_add_f32 v38, v38, v40
	v_dual_add_f32 v39, v39, v29 :: v_dual_mul_f32 v29, v34, v31
	s_delay_alu instid0(VALU_DEP_1) | instskip(NEXT) | instid1(VALU_DEP_1)
	v_dual_fma_f32 v28, v34, v30, -v28 :: v_dual_fmac_f32 v29, v35, v30
	v_dual_add_f32 v24, v24, v28 :: v_dual_add_f32 v26, v26, v29
	ds_load_2addr_b64 v[28:31], v5 offset0:128 offset1:144
	s_wait_dscnt 0x0
	v_dual_mul_f32 v34, v49, v29 :: v_dual_mul_f32 v35, v48, v29
	s_delay_alu instid0(VALU_DEP_1) | instskip(NEXT) | instid1(VALU_DEP_1)
	v_dual_fma_f32 v34, v48, v28, -v34 :: v_dual_fmac_f32 v35, v49, v28
	v_dual_add_f32 v40, v32, v34 :: v_dual_add_f32 v41, v33, v35
	v_dual_mul_f32 v32, v49, v31 :: v_dual_mul_f32 v33, v48, v31
	s_delay_alu instid0(VALU_DEP_1) | instskip(NEXT) | instid1(VALU_DEP_1)
	v_dual_fma_f32 v32, v48, v30, -v32 :: v_dual_fmac_f32 v33, v49, v30
	v_dual_add_f32 v36, v36, v32 :: v_dual_add_f32 v37, v37, v33
	ds_load_b128 v[32:35], v7 offset:1056
	s_wait_dscnt 0x0
	v_dual_mul_f32 v42, v33, v29 :: v_dual_mul_f32 v29, v32, v29
	s_delay_alu instid0(VALU_DEP_1) | instskip(NEXT) | instid1(VALU_DEP_1)
	v_dual_fma_f32 v42, v32, v28, -v42 :: v_dual_fmac_f32 v29, v33, v28
	v_dual_mul_f32 v28, v33, v31 :: v_dual_add_f32 v38, v38, v42
	s_delay_alu instid0(VALU_DEP_2) | instskip(NEXT) | instid1(VALU_DEP_1)
	v_dual_add_f32 v39, v39, v29 :: v_dual_mul_f32 v29, v32, v31
	v_dual_fma_f32 v28, v32, v30, -v28 :: v_dual_fmac_f32 v29, v33, v30
	s_delay_alu instid0(VALU_DEP_1) | instskip(SKIP_3) | instid1(VALU_DEP_1)
	v_dual_add_f32 v24, v24, v28 :: v_dual_add_f32 v26, v26, v29
	ds_load_2addr_b64 v[28:31], v5 offset0:160 offset1:176
	s_wait_dscnt 0x0
	v_dual_mul_f32 v32, v51, v29 :: v_dual_mul_f32 v33, v50, v29
	v_dual_fma_f32 v32, v50, v28, -v32 :: v_dual_fmac_f32 v33, v51, v28
	s_delay_alu instid0(VALU_DEP_1) | instskip(SKIP_1) | instid1(VALU_DEP_1)
	v_dual_add_f32 v32, v40, v32 :: v_dual_add_f32 v33, v41, v33
	v_dual_mul_f32 v40, v51, v31 :: v_dual_mul_f32 v41, v50, v31
	v_dual_fma_f32 v40, v50, v30, -v40 :: v_dual_fmac_f32 v41, v51, v30
	s_delay_alu instid0(VALU_DEP_1) | instskip(SKIP_1) | instid1(VALU_DEP_1)
	v_dual_add_f32 v36, v36, v40 :: v_dual_add_f32 v37, v37, v41
	v_dual_mul_f32 v40, v35, v29 :: v_dual_mul_f32 v29, v34, v29
	v_dual_fma_f32 v40, v34, v28, -v40 :: v_dual_fmac_f32 v29, v35, v28
	s_delay_alu instid0(VALU_DEP_1) | instskip(NEXT) | instid1(VALU_DEP_2)
	v_dual_mul_f32 v28, v35, v31 :: v_dual_add_f32 v42, v38, v40
	v_dual_add_f32 v43, v39, v29 :: v_dual_mul_f32 v29, v34, v31
	s_delay_alu instid0(VALU_DEP_2) | instskip(SKIP_2) | instid1(VALU_DEP_1)
	v_fma_f32 v28, v34, v30, -v28
	ds_load_b128 v[38:41], v7 offset:1072
	v_dual_fmac_f32 v29, v35, v30 :: v_dual_add_f32 v24, v24, v28
	v_add_f32_e32 v26, v26, v29
	ds_load_2addr_b64 v[28:31], v5 offset0:192 offset1:208
	s_wait_dscnt 0x0
	v_dual_mul_f32 v34, v1, v29 :: v_dual_mul_f32 v35, v0, v29
	s_delay_alu instid0(VALU_DEP_1) | instskip(NEXT) | instid1(VALU_DEP_1)
	v_dual_fma_f32 v34, v0, v28, -v34 :: v_dual_fmac_f32 v35, v1, v28
	v_dual_add_f32 v32, v32, v34 :: v_dual_add_f32 v33, v33, v35
	v_mul_f32_e32 v34, v1, v31
	s_delay_alu instid0(VALU_DEP_1) | instskip(NEXT) | instid1(VALU_DEP_1)
	v_dual_fma_f32 v34, v0, v30, -v34 :: v_dual_mul_f32 v0, v0, v31
	v_fmac_f32_e32 v0, v1, v30
	s_delay_alu instid0(VALU_DEP_2) | instskip(NEXT) | instid1(VALU_DEP_2)
	v_dual_add_f32 v1, v36, v34 :: v_dual_mul_f32 v34, v39, v29
	v_dual_mul_f32 v29, v38, v29 :: v_dual_add_f32 v0, v37, v0
	s_delay_alu instid0(VALU_DEP_1) | instskip(NEXT) | instid1(VALU_DEP_1)
	v_dual_fma_f32 v34, v38, v28, -v34 :: v_dual_fmac_f32 v29, v39, v28
	v_dual_add_f32 v28, v42, v34 :: v_dual_add_f32 v29, v43, v29
	ds_load_2addr_b64 v[42:45], v5 offset0:224 offset1:240
	v_dual_mul_f32 v34, v39, v31 :: v_dual_mul_f32 v31, v38, v31
	s_wait_dscnt 0x0
	s_barrier_signal -1
	s_barrier_wait -1
	s_delay_alu instid0(VALU_DEP_1) | instskip(NEXT) | instid1(VALU_DEP_1)
	v_dual_fma_f32 v34, v38, v30, -v34 :: v_dual_fmac_f32 v31, v39, v30
	v_dual_add_f32 v24, v24, v34 :: v_dual_add_f32 v26, v26, v31
	v_dual_mul_f32 v30, v3, v43 :: v_dual_mul_f32 v31, v2, v43
	s_delay_alu instid0(VALU_DEP_1) | instskip(NEXT) | instid1(VALU_DEP_1)
	v_dual_fma_f32 v30, v2, v42, -v30 :: v_dual_fmac_f32 v31, v3, v42
	v_dual_add_f32 v36, v32, v30 :: v_dual_add_f32 v38, v33, v31
	v_mul_f32_e32 v30, v3, v45
	s_delay_alu instid0(VALU_DEP_1) | instskip(NEXT) | instid1(VALU_DEP_1)
	v_dual_fma_f32 v30, v2, v44, -v30 :: v_dual_mul_f32 v2, v2, v45
	v_fmac_f32_e32 v2, v3, v44
	s_delay_alu instid0(VALU_DEP_1) | instskip(NEXT) | instid1(VALU_DEP_3)
	v_add_f32_e32 v34, v0, v2
	v_add_f32_e32 v32, v1, v30
	v_dual_mul_f32 v0, v41, v43 :: v_dual_mul_f32 v1, v40, v43
	s_delay_alu instid0(VALU_DEP_1) | instskip(NEXT) | instid1(VALU_DEP_1)
	v_dual_fma_f32 v0, v40, v42, -v0 :: v_dual_fmac_f32 v1, v41, v42
	v_dual_add_f32 v28, v28, v0 :: v_dual_add_f32 v30, v29, v1
	v_dual_mul_f32 v0, v41, v45 :: v_dual_mul_f32 v1, v40, v45
	s_delay_alu instid0(VALU_DEP_1) | instskip(NEXT) | instid1(VALU_DEP_1)
	v_dual_fma_f32 v0, v40, v44, -v0 :: v_dual_fmac_f32 v1, v41, v44
	v_dual_add_f32 v24, v24, v0 :: v_dual_add_f32 v26, v26, v1
	s_cbranch_scc0 .LBB100_13
.LBB100_9:                              ;   Parent Loop BB100_6 Depth=1
                                        ; =>  This Inner Loop Header: Depth=2
	v_dual_mov_b32 v1, 0 :: v_dual_add_nc_u32 v0, s26, v4
	s_delay_alu instid0(VALU_DEP_1) | instskip(SKIP_2) | instid1(SALU_CYCLE_1)
	v_cmp_gt_i32_e32 vcc_lo, s5, v0
	v_mov_b32_e32 v0, 0
	s_and_b32 s28, s0, vcc_lo
	s_and_saveexec_b32 s27, s28
	s_cbranch_execz .LBB100_11
; %bb.10:                               ;   in Loop: Header=BB100_9 Depth=2
	global_load_b64 v[0:1], v[20:21], off
.LBB100_11:                             ;   in Loop: Header=BB100_9 Depth=2
	s_wait_xcnt 0x0
	s_or_b32 exec_lo, exec_lo, s27
	v_dual_mov_b32 v3, 0 :: v_dual_add_nc_u32 v2, s26, v6
	s_wait_loadcnt 0x0
	ds_store_b64 v25, v[0:1]
	v_cmp_gt_i32_e32 vcc_lo, s5, v2
	v_mov_b32_e32 v2, 0
	s_and_b32 s28, vcc_lo, s1
	s_delay_alu instid0(SALU_CYCLE_1)
	s_and_saveexec_b32 s27, s28
	s_cbranch_execz .LBB100_8
; %bb.12:                               ;   in Loop: Header=BB100_9 Depth=2
	global_load_b64 v[2:3], v[22:23], off
	s_branch .LBB100_8
.LBB100_13:                             ;   in Loop: Header=BB100_6 Depth=1
	s_mul_u64 s[26:27], s[24:25], s[22:23]
	s_delay_alu instid0(SALU_CYCLE_1) | instskip(NEXT) | instid1(SALU_CYCLE_1)
	s_lshl_b64 s[26:27], s[26:27], 3
	s_add_nc_u64 s[26:27], s[12:13], s[26:27]
	s_delay_alu instid0(SALU_CYCLE_1)
	v_lshl_add_u64 v[0:1], v[10:11], 3, s[26:27]
	s_and_saveexec_b32 s28, s33
	s_cbranch_execz .LBB100_18
; %bb.14:                               ;   in Loop: Header=BB100_6 Depth=1
	v_mov_b64_e32 v[2:3], s[14:15]
	v_mov_b64_e32 v[20:21], s[6:7]
	s_and_b32 vcc_lo, exec_lo, s31
	s_mov_b32 s29, -1
	s_delay_alu instid0(VALU_DEP_2) | instskip(NEXT) | instid1(VALU_DEP_1)
	v_pk_mul_f32 v[2:3], v[38:39], v[2:3] op_sel_hi:[0,1]
	v_pk_fma_f32 v[22:23], v[36:37], v[20:21], v[2:3] op_sel_hi:[0,1,1]
	v_pk_fma_f32 v[2:3], v[36:37], v[20:21], v[2:3] neg_lo:[0,0,1] neg_hi:[0,0,1]
	v_lshl_add_u64 v[20:21], v[8:9], 3, v[0:1]
	s_delay_alu instid0(VALU_DEP_3)
	v_mov_b32_e32 v3, v23
	s_cbranch_vccz .LBB100_16
; %bb.15:                               ;   in Loop: Header=BB100_6 Depth=1
	global_load_b64 v[22:23], v[20:21], off
	v_mov_b64_e32 v[36:37], s[20:21]
	v_mov_b64_e32 v[38:39], s[2:3]
	s_mov_b32 s29, 0
	s_wait_loadcnt 0x0
	s_delay_alu instid0(VALU_DEP_2) | instskip(NEXT) | instid1(VALU_DEP_1)
	v_pk_mul_f32 v[36:37], v[22:23], v[36:37]
	v_pk_fma_f32 v[40:41], v[22:23], v[38:39], v[36:37] op_sel:[0,0,1] op_sel_hi:[1,1,0]
	v_pk_fma_f32 v[22:23], v[22:23], v[38:39], v[36:37] op_sel:[0,0,1] op_sel_hi:[1,1,0] neg_lo:[0,0,1] neg_hi:[0,0,1]
	s_delay_alu instid0(VALU_DEP_2) | instskip(NEXT) | instid1(VALU_DEP_1)
	v_mov_b32_e32 v23, v41
	v_pk_add_f32 v[22:23], v[2:3], v[22:23]
	global_store_b64 v[20:21], v[22:23], off
.LBB100_16:                             ;   in Loop: Header=BB100_6 Depth=1
	s_and_not1_b32 vcc_lo, exec_lo, s29
	s_cbranch_vccnz .LBB100_18
; %bb.17:                               ;   in Loop: Header=BB100_6 Depth=1
	global_store_b64 v[20:21], v[2:3], off
.LBB100_18:                             ;   in Loop: Header=BB100_6 Depth=1
	s_wait_xcnt 0x0
	s_or_b32 exec_lo, exec_lo, s28
	s_and_saveexec_b32 s28, s34
	s_cbranch_execz .LBB100_23
; %bb.19:                               ;   in Loop: Header=BB100_6 Depth=1
	v_mov_b64_e32 v[2:3], s[14:15]
	v_mov_b64_e32 v[20:21], s[6:7]
	v_lshl_add_u64 v[0:1], v[12:13], 3, v[0:1]
	s_and_not1_b32 vcc_lo, exec_lo, s31
	s_mov_b32 s29, -1
	s_delay_alu instid0(VALU_DEP_3) | instskip(NEXT) | instid1(VALU_DEP_1)
	v_pk_mul_f32 v[2:3], v[34:35], v[2:3] op_sel_hi:[0,1]
	v_pk_fma_f32 v[22:23], v[32:33], v[20:21], v[2:3] op_sel_hi:[0,1,1]
	v_pk_fma_f32 v[2:3], v[32:33], v[20:21], v[2:3] neg_lo:[0,0,1] neg_hi:[0,0,1]
	s_delay_alu instid0(VALU_DEP_2)
	v_mov_b32_e32 v3, v23
	s_cbranch_vccnz .LBB100_21
; %bb.20:                               ;   in Loop: Header=BB100_6 Depth=1
	global_load_b64 v[20:21], v[0:1], off
	v_mov_b64_e32 v[22:23], s[20:21]
	v_mov_b64_e32 v[32:33], s[2:3]
	s_mov_b32 s29, 0
	s_wait_loadcnt 0x0
	s_delay_alu instid0(VALU_DEP_2) | instskip(NEXT) | instid1(VALU_DEP_1)
	v_pk_mul_f32 v[22:23], v[20:21], v[22:23]
	v_pk_fma_f32 v[34:35], v[20:21], v[32:33], v[22:23] op_sel:[0,0,1] op_sel_hi:[1,1,0]
	v_pk_fma_f32 v[20:21], v[20:21], v[32:33], v[22:23] op_sel:[0,0,1] op_sel_hi:[1,1,0] neg_lo:[0,0,1] neg_hi:[0,0,1]
	s_delay_alu instid0(VALU_DEP_2) | instskip(NEXT) | instid1(VALU_DEP_1)
	v_mov_b32_e32 v21, v35
	v_pk_add_f32 v[20:21], v[2:3], v[20:21]
	global_store_b64 v[0:1], v[20:21], off
.LBB100_21:                             ;   in Loop: Header=BB100_6 Depth=1
	s_and_not1_b32 vcc_lo, exec_lo, s29
	s_cbranch_vccnz .LBB100_23
; %bb.22:                               ;   in Loop: Header=BB100_6 Depth=1
	global_store_b64 v[0:1], v[2:3], off
.LBB100_23:                             ;   in Loop: Header=BB100_6 Depth=1
	s_wait_xcnt 0x0
	s_or_b32 exec_lo, exec_lo, s28
	v_lshl_add_u64 v[0:1], v[14:15], 3, s[26:27]
	s_and_saveexec_b32 s26, s35
	s_cbranch_execz .LBB100_28
; %bb.24:                               ;   in Loop: Header=BB100_6 Depth=1
	v_mov_b64_e32 v[2:3], s[14:15]
	v_mov_b64_e32 v[20:21], s[6:7]
	s_and_not1_b32 vcc_lo, exec_lo, s31
	s_mov_b32 s27, -1
	s_delay_alu instid0(VALU_DEP_2) | instskip(NEXT) | instid1(VALU_DEP_1)
	v_pk_mul_f32 v[2:3], v[30:31], v[2:3] op_sel_hi:[0,1]
	v_pk_fma_f32 v[22:23], v[28:29], v[20:21], v[2:3] op_sel_hi:[0,1,1]
	v_pk_fma_f32 v[2:3], v[28:29], v[20:21], v[2:3] neg_lo:[0,0,1] neg_hi:[0,0,1]
	v_lshl_add_u64 v[20:21], v[8:9], 3, v[0:1]
	s_delay_alu instid0(VALU_DEP_3)
	v_mov_b32_e32 v3, v23
	s_cbranch_vccnz .LBB100_26
; %bb.25:                               ;   in Loop: Header=BB100_6 Depth=1
	global_load_b64 v[22:23], v[20:21], off
	v_mov_b64_e32 v[28:29], s[20:21]
	v_mov_b64_e32 v[30:31], s[2:3]
	s_mov_b32 s27, 0
	s_wait_loadcnt 0x0
	s_delay_alu instid0(VALU_DEP_2) | instskip(NEXT) | instid1(VALU_DEP_1)
	v_pk_mul_f32 v[28:29], v[22:23], v[28:29]
	v_pk_fma_f32 v[32:33], v[22:23], v[30:31], v[28:29] op_sel:[0,0,1] op_sel_hi:[1,1,0]
	v_pk_fma_f32 v[22:23], v[22:23], v[30:31], v[28:29] op_sel:[0,0,1] op_sel_hi:[1,1,0] neg_lo:[0,0,1] neg_hi:[0,0,1]
	s_delay_alu instid0(VALU_DEP_2) | instskip(NEXT) | instid1(VALU_DEP_1)
	v_mov_b32_e32 v23, v33
	v_pk_add_f32 v[22:23], v[2:3], v[22:23]
	global_store_b64 v[20:21], v[22:23], off
.LBB100_26:                             ;   in Loop: Header=BB100_6 Depth=1
	s_and_not1_b32 vcc_lo, exec_lo, s27
	s_cbranch_vccnz .LBB100_28
; %bb.27:                               ;   in Loop: Header=BB100_6 Depth=1
	global_store_b64 v[20:21], v[2:3], off
.LBB100_28:                             ;   in Loop: Header=BB100_6 Depth=1
	s_wait_xcnt 0x0
	s_or_b32 exec_lo, exec_lo, s26
	s_and_saveexec_b32 s26, s4
	s_cbranch_execz .LBB100_5
; %bb.29:                               ;   in Loop: Header=BB100_6 Depth=1
	v_mov_b64_e32 v[2:3], s[14:15]
	v_mov_b64_e32 v[20:21], s[6:7]
	v_lshl_add_u64 v[0:1], v[12:13], 3, v[0:1]
	s_and_not1_b32 vcc_lo, exec_lo, s31
	s_mov_b32 s27, -1
	s_delay_alu instid0(VALU_DEP_3) | instskip(NEXT) | instid1(VALU_DEP_1)
	v_pk_mul_f32 v[2:3], v[26:27], v[2:3] op_sel_hi:[0,1]
	v_pk_fma_f32 v[22:23], v[24:25], v[20:21], v[2:3] op_sel_hi:[0,1,1]
	v_pk_fma_f32 v[2:3], v[24:25], v[20:21], v[2:3] neg_lo:[0,0,1] neg_hi:[0,0,1]
	s_delay_alu instid0(VALU_DEP_2)
	v_mov_b32_e32 v3, v23
	s_cbranch_vccnz .LBB100_31
; %bb.30:                               ;   in Loop: Header=BB100_6 Depth=1
	global_load_b64 v[20:21], v[0:1], off
	v_mov_b64_e32 v[22:23], s[20:21]
	v_mov_b64_e32 v[28:29], s[2:3]
	s_mov_b32 s27, 0
	s_wait_loadcnt 0x0
	s_delay_alu instid0(VALU_DEP_2) | instskip(NEXT) | instid1(VALU_DEP_1)
	v_pk_mul_f32 v[22:23], v[20:21], v[22:23]
	v_pk_fma_f32 v[30:31], v[20:21], v[28:29], v[22:23] op_sel:[0,0,1] op_sel_hi:[1,1,0]
	v_pk_fma_f32 v[20:21], v[20:21], v[28:29], v[22:23] op_sel:[0,0,1] op_sel_hi:[1,1,0] neg_lo:[0,0,1] neg_hi:[0,0,1]
	s_delay_alu instid0(VALU_DEP_2) | instskip(NEXT) | instid1(VALU_DEP_1)
	v_mov_b32_e32 v21, v31
	v_pk_add_f32 v[20:21], v[2:3], v[20:21]
	global_store_b64 v[0:1], v[20:21], off
.LBB100_31:                             ;   in Loop: Header=BB100_6 Depth=1
	s_and_not1_b32 vcc_lo, exec_lo, s27
	s_cbranch_vccnz .LBB100_5
; %bb.32:                               ;   in Loop: Header=BB100_6 Depth=1
	global_store_b64 v[0:1], v[2:3], off
	s_branch .LBB100_5
.LBB100_33:
	s_endpgm
	.section	.rodata,"a",@progbits
	.p2align	6, 0x0
	.amdhsa_kernel _ZL29rocblas_internal_gemmt_kernelIiLi16ELi32ELi8ELc78ELc84ELc76ELb0ELb0E19rocblas_complex_numIfES1_PKS1_PS1_EviT_T9_T10_S5_lS7_S5_lS6_T11_S5_li
		.amdhsa_group_segment_fixed_size 4096
		.amdhsa_private_segment_fixed_size 0
		.amdhsa_kernarg_size 100
		.amdhsa_user_sgpr_count 2
		.amdhsa_user_sgpr_dispatch_ptr 0
		.amdhsa_user_sgpr_queue_ptr 0
		.amdhsa_user_sgpr_kernarg_segment_ptr 1
		.amdhsa_user_sgpr_dispatch_id 0
		.amdhsa_user_sgpr_kernarg_preload_length 0
		.amdhsa_user_sgpr_kernarg_preload_offset 0
		.amdhsa_user_sgpr_private_segment_size 0
		.amdhsa_wavefront_size32 1
		.amdhsa_uses_dynamic_stack 0
		.amdhsa_enable_private_segment 0
		.amdhsa_system_sgpr_workgroup_id_x 1
		.amdhsa_system_sgpr_workgroup_id_y 1
		.amdhsa_system_sgpr_workgroup_id_z 1
		.amdhsa_system_sgpr_workgroup_info 0
		.amdhsa_system_vgpr_workitem_id 1
		.amdhsa_next_free_vgpr 56
		.amdhsa_next_free_sgpr 38
		.amdhsa_named_barrier_count 0
		.amdhsa_reserve_vcc 1
		.amdhsa_float_round_mode_32 0
		.amdhsa_float_round_mode_16_64 0
		.amdhsa_float_denorm_mode_32 3
		.amdhsa_float_denorm_mode_16_64 3
		.amdhsa_fp16_overflow 0
		.amdhsa_memory_ordered 1
		.amdhsa_forward_progress 1
		.amdhsa_inst_pref_size 25
		.amdhsa_round_robin_scheduling 0
		.amdhsa_exception_fp_ieee_invalid_op 0
		.amdhsa_exception_fp_denorm_src 0
		.amdhsa_exception_fp_ieee_div_zero 0
		.amdhsa_exception_fp_ieee_overflow 0
		.amdhsa_exception_fp_ieee_underflow 0
		.amdhsa_exception_fp_ieee_inexact 0
		.amdhsa_exception_int_div_zero 0
	.end_amdhsa_kernel
	.section	.text._ZL29rocblas_internal_gemmt_kernelIiLi16ELi32ELi8ELc78ELc84ELc76ELb0ELb0E19rocblas_complex_numIfES1_PKS1_PS1_EviT_T9_T10_S5_lS7_S5_lS6_T11_S5_li,"axG",@progbits,_ZL29rocblas_internal_gemmt_kernelIiLi16ELi32ELi8ELc78ELc84ELc76ELb0ELb0E19rocblas_complex_numIfES1_PKS1_PS1_EviT_T9_T10_S5_lS7_S5_lS6_T11_S5_li,comdat
.Lfunc_end100:
	.size	_ZL29rocblas_internal_gemmt_kernelIiLi16ELi32ELi8ELc78ELc84ELc76ELb0ELb0E19rocblas_complex_numIfES1_PKS1_PS1_EviT_T9_T10_S5_lS7_S5_lS6_T11_S5_li, .Lfunc_end100-_ZL29rocblas_internal_gemmt_kernelIiLi16ELi32ELi8ELc78ELc84ELc76ELb0ELb0E19rocblas_complex_numIfES1_PKS1_PS1_EviT_T9_T10_S5_lS7_S5_lS6_T11_S5_li
                                        ; -- End function
	.set _ZL29rocblas_internal_gemmt_kernelIiLi16ELi32ELi8ELc78ELc84ELc76ELb0ELb0E19rocblas_complex_numIfES1_PKS1_PS1_EviT_T9_T10_S5_lS7_S5_lS6_T11_S5_li.num_vgpr, 56
	.set _ZL29rocblas_internal_gemmt_kernelIiLi16ELi32ELi8ELc78ELc84ELc76ELb0ELb0E19rocblas_complex_numIfES1_PKS1_PS1_EviT_T9_T10_S5_lS7_S5_lS6_T11_S5_li.num_agpr, 0
	.set _ZL29rocblas_internal_gemmt_kernelIiLi16ELi32ELi8ELc78ELc84ELc76ELb0ELb0E19rocblas_complex_numIfES1_PKS1_PS1_EviT_T9_T10_S5_lS7_S5_lS6_T11_S5_li.numbered_sgpr, 38
	.set _ZL29rocblas_internal_gemmt_kernelIiLi16ELi32ELi8ELc78ELc84ELc76ELb0ELb0E19rocblas_complex_numIfES1_PKS1_PS1_EviT_T9_T10_S5_lS7_S5_lS6_T11_S5_li.num_named_barrier, 0
	.set _ZL29rocblas_internal_gemmt_kernelIiLi16ELi32ELi8ELc78ELc84ELc76ELb0ELb0E19rocblas_complex_numIfES1_PKS1_PS1_EviT_T9_T10_S5_lS7_S5_lS6_T11_S5_li.private_seg_size, 0
	.set _ZL29rocblas_internal_gemmt_kernelIiLi16ELi32ELi8ELc78ELc84ELc76ELb0ELb0E19rocblas_complex_numIfES1_PKS1_PS1_EviT_T9_T10_S5_lS7_S5_lS6_T11_S5_li.uses_vcc, 1
	.set _ZL29rocblas_internal_gemmt_kernelIiLi16ELi32ELi8ELc78ELc84ELc76ELb0ELb0E19rocblas_complex_numIfES1_PKS1_PS1_EviT_T9_T10_S5_lS7_S5_lS6_T11_S5_li.uses_flat_scratch, 0
	.set _ZL29rocblas_internal_gemmt_kernelIiLi16ELi32ELi8ELc78ELc84ELc76ELb0ELb0E19rocblas_complex_numIfES1_PKS1_PS1_EviT_T9_T10_S5_lS7_S5_lS6_T11_S5_li.has_dyn_sized_stack, 0
	.set _ZL29rocblas_internal_gemmt_kernelIiLi16ELi32ELi8ELc78ELc84ELc76ELb0ELb0E19rocblas_complex_numIfES1_PKS1_PS1_EviT_T9_T10_S5_lS7_S5_lS6_T11_S5_li.has_recursion, 0
	.set _ZL29rocblas_internal_gemmt_kernelIiLi16ELi32ELi8ELc78ELc84ELc76ELb0ELb0E19rocblas_complex_numIfES1_PKS1_PS1_EviT_T9_T10_S5_lS7_S5_lS6_T11_S5_li.has_indirect_call, 0
	.section	.AMDGPU.csdata,"",@progbits
; Kernel info:
; codeLenInByte = 3156
; TotalNumSgprs: 40
; NumVgprs: 56
; ScratchSize: 0
; MemoryBound: 0
; FloatMode: 240
; IeeeMode: 1
; LDSByteSize: 4096 bytes/workgroup (compile time only)
; SGPRBlocks: 0
; VGPRBlocks: 3
; NumSGPRsForWavesPerEU: 40
; NumVGPRsForWavesPerEU: 56
; NamedBarCnt: 0
; Occupancy: 16
; WaveLimiterHint : 0
; COMPUTE_PGM_RSRC2:SCRATCH_EN: 0
; COMPUTE_PGM_RSRC2:USER_SGPR: 2
; COMPUTE_PGM_RSRC2:TRAP_HANDLER: 0
; COMPUTE_PGM_RSRC2:TGID_X_EN: 1
; COMPUTE_PGM_RSRC2:TGID_Y_EN: 1
; COMPUTE_PGM_RSRC2:TGID_Z_EN: 1
; COMPUTE_PGM_RSRC2:TIDIG_COMP_CNT: 1
	.section	.text._ZL29rocblas_internal_gemmt_kernelIiLi16ELi32ELi8ELc78ELc67ELc76ELb0ELb1E19rocblas_complex_numIfES1_PKS1_PS1_EviT_T9_T10_S5_lS7_S5_lS6_T11_S5_li,"axG",@progbits,_ZL29rocblas_internal_gemmt_kernelIiLi16ELi32ELi8ELc78ELc67ELc76ELb0ELb1E19rocblas_complex_numIfES1_PKS1_PS1_EviT_T9_T10_S5_lS7_S5_lS6_T11_S5_li,comdat
	.globl	_ZL29rocblas_internal_gemmt_kernelIiLi16ELi32ELi8ELc78ELc67ELc76ELb0ELb1E19rocblas_complex_numIfES1_PKS1_PS1_EviT_T9_T10_S5_lS7_S5_lS6_T11_S5_li ; -- Begin function _ZL29rocblas_internal_gemmt_kernelIiLi16ELi32ELi8ELc78ELc67ELc76ELb0ELb1E19rocblas_complex_numIfES1_PKS1_PS1_EviT_T9_T10_S5_lS7_S5_lS6_T11_S5_li
	.p2align	8
	.type	_ZL29rocblas_internal_gemmt_kernelIiLi16ELi32ELi8ELc78ELc67ELc76ELb0ELb1E19rocblas_complex_numIfES1_PKS1_PS1_EviT_T9_T10_S5_lS7_S5_lS6_T11_S5_li,@function
_ZL29rocblas_internal_gemmt_kernelIiLi16ELi32ELi8ELc78ELc67ELc76ELb0ELb1E19rocblas_complex_numIfES1_PKS1_PS1_EviT_T9_T10_S5_lS7_S5_lS6_T11_S5_li: ; @_ZL29rocblas_internal_gemmt_kernelIiLi16ELi32ELi8ELc78ELc67ELc76ELb0ELb1E19rocblas_complex_numIfES1_PKS1_PS1_EviT_T9_T10_S5_lS7_S5_lS6_T11_S5_li
; %bb.0:
	s_clause 0x1
	s_load_b64 s[20:21], s[0:1], 0x40
	s_load_b128 s[4:7], s[0:1], 0x0
	s_wait_kmcnt 0x0
	s_cmp_neq_f32 s20, 1.0
	s_cselect_b32 s3, -1, 0
	s_and_b32 s8, s21, 0x7fffffff
	s_delay_alu instid0(SALU_CYCLE_1) | instskip(SKIP_3) | instid1(SALU_CYCLE_1)
	s_cmp_eq_u32 s8, 0
	s_cselect_b32 s2, -1, 0
	s_cmp_lg_u32 s8, 0
	s_cselect_b32 s8, -1, 0
	s_or_b32 s3, s3, s8
	s_delay_alu instid0(SALU_CYCLE_1)
	s_and_b32 vcc_lo, exec_lo, s3
	s_cbranch_vccnz .LBB101_2
; %bb.1:
	s_cmp_lg_u32 s5, 0
	s_cselect_b32 s3, -1, 0
	s_cmp_neq_f32 s6, 0
	s_cselect_b32 s8, -1, 0
	s_cmp_neq_f32 s7, 0
	s_cselect_b32 s9, -1, 0
	s_delay_alu instid0(SALU_CYCLE_1) | instskip(NEXT) | instid1(SALU_CYCLE_1)
	s_or_b32 s8, s8, s9
	s_and_b32 s3, s3, s8
.LBB101_2:
	s_delay_alu instid0(SALU_CYCLE_1)
	s_and_not1_b32 vcc_lo, exec_lo, s3
	s_cbranch_vccnz .LBB101_35
; %bb.3:
	s_load_b32 s30, s[0:1], 0x60
	s_bfe_u32 s3, ttmp6, 0x40014
	s_lshr_b32 s8, ttmp7, 16
	s_add_co_i32 s3, s3, 1
	s_bfe_u32 s10, ttmp6, 0x40008
	s_mul_i32 s9, s8, s3
	s_getreg_b32 s3, hwreg(HW_REG_IB_STS2, 6, 4)
	s_add_co_i32 s10, s10, s9
	s_cmp_eq_u32 s3, 0
	s_mov_b32 s23, 0
	s_cselect_b32 s22, s8, s10
	s_wait_kmcnt 0x0
	s_cmp_ge_u32 s22, s30
	s_cbranch_scc1 .LBB101_35
; %bb.4:
	s_clause 0x2
	s_load_b96 s[16:18], s[0:1], 0x10
	s_load_b32 s26, s[0:1], 0x30
	s_load_b96 s[12:14], s[0:1], 0x48
	v_and_b32_e32 v1, 0x3ff, v0
	v_bfe_u32 v8, v0, 10, 10
	s_clause 0x2
	s_load_b128 s[8:11], s[0:1], 0x20
	s_load_b64 s[28:29], s[0:1], 0x38
	s_load_b64 s[24:25], s[0:1], 0x58
	s_wait_xcnt 0x0
	s_bfe_u32 s1, ttmp6, 0x4000c
	s_bfe_u32 s15, ttmp6, 0x40010
	s_and_b32 s31, ttmp7, 0xffff
	s_add_co_i32 s1, s1, 1
	s_add_co_i32 s15, s15, 1
	v_lshl_add_u32 v2, v8, 4, v1
	s_and_b32 s0, ttmp6, 15
	s_bfe_u32 s33, ttmp6, 0x40004
	s_mul_i32 s1, ttmp9, s1
	s_mul_i32 s34, s31, s15
	s_add_co_i32 s0, s0, s1
	s_add_co_i32 s33, s33, s34
	v_dual_lshrrev_b32 v3, 3, v2 :: v_dual_bitop2_b32 v7, 31, v2 bitop3:0x40
	s_wait_kmcnt 0x0
	s_ashr_i32 s19, s18, 31
	s_ashr_i32 s27, s26, 31
	;; [unrolled: 1-line block ×3, first 2 shown]
	s_cmp_eq_u32 s3, 0
	v_dual_lshrrev_b32 v4, 5, v2 :: v_dual_bitop2_b32 v6, 7, v0 bitop3:0x40
	s_cselect_b32 s0, ttmp9, s0
	s_cselect_b32 s1, s31, s33
	s_lshl_b32 s3, s0, 5
	s_delay_alu instid0(SALU_CYCLE_1) | instskip(SKIP_1) | instid1(SALU_CYCLE_1)
	v_dual_mov_b32 v5, 0 :: v_dual_bitop2_b32 v0, s3, v7 bitop3:0x54
	s_lshl_b32 s1, s1, 5
	v_dual_lshlrev_b32 v9, 3, v6 :: v_dual_add_nc_u32 v2, s1, v3
	s_delay_alu instid0(VALU_DEP_2) | instskip(SKIP_1) | instid1(VALU_DEP_3)
	v_dual_mov_b32 v7, v5 :: v_dual_lshlrev_b32 v10, 3, v7
	v_mul_u64_e32 v[20:21], s[18:19], v[4:5]
	v_lshl_or_b32 v3, v3, 6, v9
	v_dual_lshlrev_b32 v27, 3, v1 :: v_dual_add_nc_u32 v18, s1, v8
	s_delay_alu instid0(VALU_DEP_4) | instskip(SKIP_1) | instid1(VALU_DEP_4)
	v_mul_u64_e32 v[16:17], s[26:27], v[6:7]
	v_lshl_add_u32 v29, v8, 6, 0x800
	v_add_nc_u32_e32 v7, 0x800, v3
	v_ashrrev_i32_e32 v3, 31, v2
	v_dual_add_nc_u32 v22, 16, v18 :: v_dual_ashrrev_i32 v19, 31, v18
	v_add_nc_u32_e32 v8, s3, v1
	s_cmp_neq_f32 s6, 0
	v_lshl_or_b32 v25, v4, 8, v10
	s_delay_alu instid0(VALU_DEP_3)
	v_ashrrev_i32_e32 v23, 31, v22
	v_mul_u64_e32 v[12:13], s[14:15], v[18:19]
	v_add_nc_u32_e32 v10, 16, v8
	s_cselect_b32 s0, -1, 0
	s_cmp_neq_f32 s7, 0
	v_mul_u64_e32 v[14:15], s[14:15], v[22:23]
	v_cmp_gt_i32_e32 vcc_lo, s4, v2
	v_lshlrev_b64_e32 v[2:3], 3, v[2:3]
	s_cselect_b32 s31, -1, 0
	v_ashrrev_i32_e32 v1, 31, v0
	s_or_b32 s35, s0, s31
	s_cmp_gt_i32 s5, 0
	v_cmp_gt_i32_e64 s0, s4, v0
	s_cselect_b32 s36, -1, 0
	s_cmp_neq_f32 s20, 0
	v_lshlrev_b64_e32 v[0:1], 3, v[0:1]
	v_cmp_le_i32_e64 s1, v18, v8
	v_dual_ashrrev_i32 v9, 31, v8 :: v_dual_ashrrev_i32 v11, 31, v10
	s_cselect_b32 s3, -1, 0
	s_xor_b32 s31, s2, -1
	v_cmp_gt_i32_e64 s2, s4, v8
	s_or_b32 s31, s3, s31
	v_lshl_add_u64 v[2:3], v[16:17], 3, v[2:3]
	v_cmp_gt_i32_e64 s3, s4, v10
	v_lshl_add_u64 v[0:1], v[20:21], 3, v[0:1]
	s_and_b32 s33, s1, s2
	v_cmp_le_i32_e64 s1, v18, v10
	v_add_nc_u64_e32 v[2:3], s[10:11], v[2:3]
	v_cmp_le_i32_e64 s4, v22, v8
	v_add_nc_u64_e32 v[16:17], s[16:17], v[0:1]
	s_mov_b32 s10, s7
	s_and_b32 s34, s1, s3
	v_cmp_le_i32_e64 s1, v22, v10
	s_and_b32 s4, s4, s2
	v_add_nc_u64_e32 v[18:19], 4, v[2:3]
	s_mov_b32 s2, s20
	s_mov_b32 s11, s6
	s_and_b32 s1, s1, s3
	s_mov_b32 s3, s20
	s_mov_b32 s20, s21
	s_lshl_b64 s[8:9], s[8:9], 3
	s_lshl_b64 s[14:15], s[18:19], 6
	s_and_b32 s35, s35, s36
	s_lshl_b64 s[16:17], s[28:29], 3
	s_lshl_b64 s[18:19], s[26:27], 6
	s_xor_b32 s28, vcc_lo, -1
	s_branch .LBB101_6
.LBB101_5:                              ;   in Loop: Header=BB101_6 Depth=1
	s_wait_xcnt 0x0
	s_or_b32 exec_lo, exec_lo, s26
	s_add_co_i32 s22, s22, 0x10000
	s_delay_alu instid0(SALU_CYCLE_1)
	s_cmp_lt_u32 s22, s30
	s_cbranch_scc0 .LBB101_35
.LBB101_6:                              ; =>This Loop Header: Depth=1
                                        ;     Child Loop BB101_9 Depth 2
	v_dual_mov_b32 v36, 0 :: v_dual_mov_b32 v38, 0
	v_dual_mov_b32 v32, 0 :: v_dual_mov_b32 v34, 0
	;; [unrolled: 1-line block ×4, first 2 shown]
	s_and_not1_b32 vcc_lo, exec_lo, s35
	s_cbranch_vccnz .LBB101_15
; %bb.7:                                ;   in Loop: Header=BB101_6 Depth=1
	v_mad_nc_u64_u32 v[20:21], s8, s22, v[16:17]
	v_mad_nc_u64_u32 v[22:23], s16, s22, v[18:19]
	v_dual_mov_b32 v26, 0 :: v_dual_mov_b32 v24, 0
	v_dual_mov_b32 v30, 0 :: v_dual_mov_b32 v28, 0
	;; [unrolled: 1-line block ×4, first 2 shown]
	s_mov_b32 s26, 0
	v_mad_u32 v21, s9, s22, v21
	v_mad_u32 v23, s17, s22, v23
	s_branch .LBB101_9
.LBB101_8:                              ;   in Loop: Header=BB101_9 Depth=2
	s_wait_xcnt 0x0
	s_or_b32 exec_lo, exec_lo, s27
	ds_store_b32 v7, v0 offset:4
	s_wait_dscnt 0x0
	s_barrier_signal -1
	s_barrier_wait -1
	ds_load_b128 v[40:43], v29
	ds_load_b128 v[44:47], v29 offset:16
	ds_load_b128 v[48:51], v29 offset:32
	;; [unrolled: 1-line block ×3, first 2 shown]
	ds_load_2addr_b64 v[52:55], v27 offset1:16
	v_add_nc_u64_e32 v[20:21], s[14:15], v[20:21]
	v_add_nc_u64_e32 v[22:23], s[18:19], v[22:23]
	s_add_co_i32 s26, s26, 8
	s_delay_alu instid0(SALU_CYCLE_1) | instskip(SKIP_2) | instid1(VALU_DEP_1)
	s_cmp_lt_i32 s26, s5
	s_wait_dscnt 0x0
	v_dual_mul_f32 v31, v41, v53 :: v_dual_mul_f32 v33, v40, v53
	v_dual_fma_f32 v31, v40, v52, -v31 :: v_dual_fmac_f32 v33, v41, v52
	s_delay_alu instid0(VALU_DEP_1) | instskip(SKIP_1) | instid1(VALU_DEP_1)
	v_dual_add_f32 v36, v36, v31 :: v_dual_add_f32 v37, v38, v33
	v_dual_mul_f32 v31, v41, v55 :: v_dual_mul_f32 v33, v40, v55
	v_dual_fma_f32 v31, v40, v54, -v31 :: v_dual_fmac_f32 v33, v41, v54
	s_delay_alu instid0(VALU_DEP_1) | instskip(SKIP_3) | instid1(VALU_DEP_1)
	v_dual_add_f32 v38, v32, v31 :: v_dual_add_f32 v39, v34, v33
	ds_load_b128 v[32:35], v29 offset:1024
	s_wait_dscnt 0x0
	v_dual_mul_f32 v31, v33, v53 :: v_dual_mul_f32 v40, v32, v53
	v_dual_fma_f32 v31, v32, v52, -v31 :: v_dual_fmac_f32 v40, v33, v52
	s_delay_alu instid0(VALU_DEP_1) | instskip(SKIP_1) | instid1(VALU_DEP_1)
	v_dual_add_f32 v28, v28, v31 :: v_dual_add_f32 v40, v30, v40
	v_dual_mul_f32 v30, v33, v55 :: v_dual_mul_f32 v31, v32, v55
	v_dual_fma_f32 v30, v32, v54, -v30 :: v_dual_fmac_f32 v31, v33, v54
	s_delay_alu instid0(VALU_DEP_1) | instskip(SKIP_3) | instid1(VALU_DEP_1)
	v_dual_add_f32 v24, v24, v30 :: v_dual_add_f32 v26, v26, v31
	ds_load_2addr_b64 v[30:33], v27 offset0:32 offset1:48
	s_wait_dscnt 0x0
	v_dual_mul_f32 v41, v43, v31 :: v_dual_mul_f32 v52, v42, v31
	v_dual_fma_f32 v41, v42, v30, -v41 :: v_dual_fmac_f32 v52, v43, v30
	s_delay_alu instid0(VALU_DEP_1) | instskip(SKIP_1) | instid1(VALU_DEP_1)
	v_dual_add_f32 v36, v36, v41 :: v_dual_add_f32 v37, v37, v52
	v_mul_f32_e32 v41, v43, v33
	v_dual_fma_f32 v41, v42, v32, -v41 :: v_dual_mul_f32 v42, v42, v33
	s_delay_alu instid0(VALU_DEP_1) | instskip(SKIP_1) | instid1(VALU_DEP_2)
	v_dual_fmac_f32 v42, v43, v32 :: v_dual_add_f32 v38, v38, v41
	v_dual_mul_f32 v41, v35, v31 :: v_dual_mul_f32 v31, v34, v31
	v_add_f32_e32 v39, v39, v42
	s_delay_alu instid0(VALU_DEP_2) | instskip(SKIP_1) | instid1(VALU_DEP_2)
	v_dual_fma_f32 v41, v34, v30, -v41 :: v_dual_fmac_f32 v31, v35, v30
	v_mul_f32_e32 v30, v35, v33
	v_add_f32_e32 v28, v28, v41
	s_delay_alu instid0(VALU_DEP_2) | instskip(NEXT) | instid1(VALU_DEP_1)
	v_dual_add_f32 v40, v40, v31 :: v_dual_fma_f32 v30, v34, v32, -v30
	v_dual_mul_f32 v31, v34, v33 :: v_dual_add_f32 v24, v24, v30
	s_delay_alu instid0(VALU_DEP_1) | instskip(NEXT) | instid1(VALU_DEP_1)
	v_fmac_f32_e32 v31, v35, v32
	v_add_f32_e32 v26, v26, v31
	ds_load_2addr_b64 v[30:33], v27 offset0:64 offset1:80
	s_wait_dscnt 0x0
	v_dual_mul_f32 v34, v45, v31 :: v_dual_mul_f32 v35, v44, v31
	s_delay_alu instid0(VALU_DEP_1) | instskip(NEXT) | instid1(VALU_DEP_1)
	v_fma_f32 v34, v44, v30, -v34
	v_dual_add_f32 v41, v36, v34 :: v_dual_mul_f32 v34, v45, v33
	s_delay_alu instid0(VALU_DEP_1) | instskip(NEXT) | instid1(VALU_DEP_1)
	v_dual_fmac_f32 v35, v45, v30 :: v_dual_fma_f32 v34, v44, v32, -v34
	v_dual_add_f32 v42, v37, v35 :: v_dual_mul_f32 v35, v44, v33
	s_delay_alu instid0(VALU_DEP_1) | instskip(NEXT) | instid1(VALU_DEP_1)
	v_dual_add_f32 v38, v38, v34 :: v_dual_fmac_f32 v35, v45, v32
	v_add_f32_e32 v39, v39, v35
	ds_load_b128 v[34:37], v29 offset:1040
	s_wait_dscnt 0x0
	v_dual_mul_f32 v43, v35, v31 :: v_dual_mul_f32 v31, v34, v31
	s_delay_alu instid0(VALU_DEP_1) | instskip(NEXT) | instid1(VALU_DEP_2)
	v_fmac_f32_e32 v31, v35, v30
	v_dual_fma_f32 v43, v34, v30, -v43 :: v_dual_mul_f32 v30, v35, v33
	s_delay_alu instid0(VALU_DEP_2) | instskip(NEXT) | instid1(VALU_DEP_2)
	v_add_f32_e32 v40, v40, v31
	v_dual_add_f32 v28, v28, v43 :: v_dual_fma_f32 v30, v34, v32, -v30
	s_delay_alu instid0(VALU_DEP_1) | instskip(NEXT) | instid1(VALU_DEP_1)
	v_dual_mul_f32 v31, v34, v33 :: v_dual_add_f32 v24, v24, v30
	v_fmac_f32_e32 v31, v35, v32
	s_delay_alu instid0(VALU_DEP_1) | instskip(SKIP_3) | instid1(VALU_DEP_1)
	v_add_f32_e32 v26, v26, v31
	ds_load_2addr_b64 v[30:33], v27 offset0:96 offset1:112
	s_wait_dscnt 0x0
	v_mul_f32_e32 v34, v47, v31
	v_dual_fma_f32 v34, v46, v30, -v34 :: v_dual_mul_f32 v35, v46, v31
	s_delay_alu instid0(VALU_DEP_1) | instskip(NEXT) | instid1(VALU_DEP_2)
	v_add_f32_e32 v34, v41, v34
	v_dual_fmac_f32 v35, v47, v30 :: v_dual_mul_f32 v41, v47, v33
	s_delay_alu instid0(VALU_DEP_1) | instskip(NEXT) | instid1(VALU_DEP_2)
	v_add_f32_e32 v35, v42, v35
	v_dual_fma_f32 v41, v46, v32, -v41 :: v_dual_mul_f32 v42, v46, v33
	s_delay_alu instid0(VALU_DEP_1) | instskip(SKIP_1) | instid1(VALU_DEP_2)
	v_dual_fmac_f32 v42, v47, v32 :: v_dual_add_f32 v38, v38, v41
	v_dual_mul_f32 v41, v37, v31 :: v_dual_mul_f32 v31, v36, v31
	v_add_f32_e32 v39, v39, v42
	s_delay_alu instid0(VALU_DEP_2) | instskip(NEXT) | instid1(VALU_DEP_1)
	v_dual_fma_f32 v41, v36, v30, -v41 :: v_dual_fmac_f32 v31, v37, v30
	v_dual_mul_f32 v30, v37, v33 :: v_dual_add_f32 v40, v40, v31
	s_delay_alu instid0(VALU_DEP_1) | instskip(NEXT) | instid1(VALU_DEP_1)
	v_dual_fma_f32 v30, v36, v32, -v30 :: v_dual_mul_f32 v31, v36, v33
	v_dual_add_f32 v28, v28, v41 :: v_dual_fmac_f32 v31, v37, v32
	s_delay_alu instid0(VALU_DEP_1) | instskip(SKIP_3) | instid1(VALU_DEP_1)
	v_dual_add_f32 v24, v24, v30 :: v_dual_add_f32 v26, v26, v31
	ds_load_2addr_b64 v[30:33], v27 offset0:128 offset1:144
	s_wait_dscnt 0x0
	v_dual_mul_f32 v36, v49, v31 :: v_dual_mul_f32 v37, v48, v31
	v_dual_fma_f32 v36, v48, v30, -v36 :: v_dual_fmac_f32 v37, v49, v30
	s_delay_alu instid0(VALU_DEP_1) | instskip(SKIP_1) | instid1(VALU_DEP_1)
	v_dual_add_f32 v41, v34, v36 :: v_dual_add_f32 v42, v35, v37
	v_dual_mul_f32 v34, v49, v33 :: v_dual_mul_f32 v35, v48, v33
	v_dual_fma_f32 v34, v48, v32, -v34 :: v_dual_fmac_f32 v35, v49, v32
	s_delay_alu instid0(VALU_DEP_1) | instskip(SKIP_3) | instid1(VALU_DEP_1)
	v_dual_add_f32 v38, v38, v34 :: v_dual_add_f32 v39, v39, v35
	ds_load_b128 v[34:37], v29 offset:1056
	s_wait_dscnt 0x0
	v_dual_mul_f32 v43, v35, v31 :: v_dual_mul_f32 v31, v34, v31
	v_fmac_f32_e32 v31, v35, v30
	s_delay_alu instid0(VALU_DEP_2) | instskip(NEXT) | instid1(VALU_DEP_2)
	v_dual_fma_f32 v43, v34, v30, -v43 :: v_dual_mul_f32 v30, v35, v33
	v_dual_add_f32 v40, v40, v31 :: v_dual_mul_f32 v31, v34, v33
	s_delay_alu instid0(VALU_DEP_2) | instskip(NEXT) | instid1(VALU_DEP_1)
	v_dual_fma_f32 v30, v34, v32, -v30 :: v_dual_add_f32 v28, v28, v43
	v_dual_fmac_f32 v31, v35, v32 :: v_dual_add_f32 v24, v24, v30
	s_delay_alu instid0(VALU_DEP_1) | instskip(SKIP_3) | instid1(VALU_DEP_1)
	v_add_f32_e32 v26, v26, v31
	ds_load_2addr_b64 v[30:33], v27 offset0:160 offset1:176
	s_wait_dscnt 0x0
	v_dual_mul_f32 v34, v51, v31 :: v_dual_mul_f32 v35, v50, v31
	v_dual_fma_f32 v34, v50, v30, -v34 :: v_dual_fmac_f32 v35, v51, v30
	s_delay_alu instid0(VALU_DEP_1) | instskip(SKIP_1) | instid1(VALU_DEP_1)
	v_dual_add_f32 v34, v41, v34 :: v_dual_add_f32 v35, v42, v35
	v_dual_mul_f32 v41, v51, v33 :: v_dual_mul_f32 v42, v50, v33
	v_dual_fma_f32 v41, v50, v32, -v41 :: v_dual_fmac_f32 v42, v51, v32
	s_delay_alu instid0(VALU_DEP_1) | instskip(SKIP_1) | instid1(VALU_DEP_1)
	v_dual_add_f32 v38, v38, v41 :: v_dual_add_f32 v39, v39, v42
	v_dual_mul_f32 v41, v37, v31 :: v_dual_mul_f32 v31, v36, v31
	v_dual_fma_f32 v41, v36, v30, -v41 :: v_dual_fmac_f32 v31, v37, v30
	s_delay_alu instid0(VALU_DEP_1) | instskip(NEXT) | instid1(VALU_DEP_1)
	v_dual_mul_f32 v30, v37, v33 :: v_dual_add_f32 v42, v40, v31
	v_dual_fma_f32 v30, v36, v32, -v30 :: v_dual_mul_f32 v31, v36, v33
	s_delay_alu instid0(VALU_DEP_1) | instskip(NEXT) | instid1(VALU_DEP_1)
	v_dual_add_f32 v28, v28, v41 :: v_dual_fmac_f32 v31, v37, v32
	v_dual_add_f32 v24, v24, v30 :: v_dual_add_f32 v26, v26, v31
	ds_load_2addr_b64 v[30:33], v27 offset0:192 offset1:208
	s_wait_dscnt 0x0
	v_dual_mul_f32 v36, v1, v31 :: v_dual_mul_f32 v37, v0, v31
	s_delay_alu instid0(VALU_DEP_1) | instskip(NEXT) | instid1(VALU_DEP_1)
	v_dual_fma_f32 v36, v0, v30, -v36 :: v_dual_fmac_f32 v37, v1, v30
	v_dual_add_f32 v34, v34, v36 :: v_dual_add_f32 v35, v35, v37
	v_mul_f32_e32 v36, v1, v33
	s_delay_alu instid0(VALU_DEP_1) | instskip(NEXT) | instid1(VALU_DEP_1)
	v_dual_fma_f32 v36, v0, v32, -v36 :: v_dual_mul_f32 v0, v0, v33
	v_fmac_f32_e32 v0, v1, v32
	s_delay_alu instid0(VALU_DEP_2) | instskip(NEXT) | instid1(VALU_DEP_2)
	v_add_f32_e32 v1, v38, v36
	v_add_f32_e32 v0, v39, v0
	ds_load_b128 v[38:41], v29 offset:1072
	s_wait_dscnt 0x0
	v_dual_mul_f32 v36, v39, v31 :: v_dual_mul_f32 v31, v38, v31
	s_delay_alu instid0(VALU_DEP_1) | instskip(NEXT) | instid1(VALU_DEP_1)
	v_dual_fma_f32 v36, v38, v30, -v36 :: v_dual_fmac_f32 v31, v39, v30
	v_dual_add_f32 v28, v28, v36 :: v_dual_add_f32 v30, v42, v31
	ds_load_2addr_b64 v[42:45], v27 offset0:224 offset1:240
	v_dual_mul_f32 v31, v39, v33 :: v_dual_mul_f32 v33, v38, v33
	s_wait_dscnt 0x0
	s_barrier_signal -1
	s_barrier_wait -1
	s_delay_alu instid0(VALU_DEP_1) | instskip(NEXT) | instid1(VALU_DEP_1)
	v_dual_fma_f32 v31, v38, v32, -v31 :: v_dual_fmac_f32 v33, v39, v32
	v_dual_add_f32 v24, v24, v31 :: v_dual_add_f32 v26, v26, v33
	v_dual_mul_f32 v31, v3, v43 :: v_dual_mul_f32 v32, v2, v43
	s_delay_alu instid0(VALU_DEP_1) | instskip(NEXT) | instid1(VALU_DEP_1)
	v_dual_fma_f32 v31, v2, v42, -v31 :: v_dual_fmac_f32 v32, v3, v42
	v_dual_add_f32 v36, v34, v31 :: v_dual_add_f32 v38, v35, v32
	v_mul_f32_e32 v31, v3, v45
	s_delay_alu instid0(VALU_DEP_1) | instskip(NEXT) | instid1(VALU_DEP_1)
	v_dual_fma_f32 v31, v2, v44, -v31 :: v_dual_mul_f32 v2, v2, v45
	v_dual_fmac_f32 v2, v3, v44 :: v_dual_add_f32 v32, v1, v31
	v_mul_f32_e32 v1, v40, v43
	s_delay_alu instid0(VALU_DEP_2) | instskip(NEXT) | instid1(VALU_DEP_1)
	v_dual_add_f32 v34, v0, v2 :: v_dual_mul_f32 v0, v41, v43
	v_dual_fmac_f32 v1, v41, v42 :: v_dual_fma_f32 v0, v40, v42, -v0
	s_delay_alu instid0(VALU_DEP_1) | instskip(SKIP_1) | instid1(VALU_DEP_3)
	v_add_f32_e32 v30, v30, v1
	v_mul_f32_e32 v1, v40, v45
	v_dual_add_f32 v28, v28, v0 :: v_dual_mul_f32 v0, v41, v45
	s_delay_alu instid0(VALU_DEP_1) | instskip(NEXT) | instid1(VALU_DEP_1)
	v_dual_fmac_f32 v1, v41, v44 :: v_dual_fma_f32 v0, v40, v44, -v0
	v_dual_add_f32 v26, v26, v1 :: v_dual_add_f32 v24, v24, v0
	s_cbranch_scc0 .LBB101_15
.LBB101_9:                              ;   Parent Loop BB101_6 Depth=1
                                        ; =>  This Inner Loop Header: Depth=2
	v_dual_mov_b32 v1, 0 :: v_dual_add_nc_u32 v0, s26, v4
	s_delay_alu instid0(VALU_DEP_1) | instskip(SKIP_2) | instid1(SALU_CYCLE_1)
	v_cmp_gt_i32_e32 vcc_lo, s5, v0
	v_mov_b32_e32 v0, 0
	s_and_b32 s29, s0, vcc_lo
	s_and_saveexec_b32 s27, s29
	s_cbranch_execz .LBB101_11
; %bb.10:                               ;   in Loop: Header=BB101_9 Depth=2
	global_load_b64 v[0:1], v[20:21], off
.LBB101_11:                             ;   in Loop: Header=BB101_9 Depth=2
	s_wait_xcnt 0x0
	s_or_b32 exec_lo, exec_lo, s27
	v_add_nc_u32_e32 v2, s26, v6
	s_wait_loadcnt 0x0
	ds_store_b64 v25, v[0:1]
	v_cmp_le_i32_e32 vcc_lo, s5, v2
	s_or_b32 s27, vcc_lo, s28
	s_delay_alu instid0(SALU_CYCLE_1) | instskip(NEXT) | instid1(SALU_CYCLE_1)
	s_and_saveexec_b32 s29, s27
	s_xor_b32 s27, exec_lo, s29
; %bb.12:                               ;   in Loop: Header=BB101_9 Depth=2
	ds_store_b32 v7, v5
; %bb.13:                               ;   in Loop: Header=BB101_9 Depth=2
	s_or_saveexec_b32 s27, s27
	v_mov_b32_e32 v0, 0
	s_xor_b32 exec_lo, exec_lo, s27
	s_cbranch_execz .LBB101_8
; %bb.14:                               ;   in Loop: Header=BB101_9 Depth=2
	global_load_b64 v[2:3], v[22:23], off offset:-4
	s_wait_loadcnt 0x0
	v_xor_b32_e32 v0, 0x80000000, v3
	ds_store_b32 v7, v2
	s_branch .LBB101_8
.LBB101_15:                             ;   in Loop: Header=BB101_6 Depth=1
	s_mul_u64 s[26:27], s[24:25], s[22:23]
	s_delay_alu instid0(SALU_CYCLE_1) | instskip(NEXT) | instid1(SALU_CYCLE_1)
	s_lshl_b64 s[26:27], s[26:27], 3
	s_add_nc_u64 s[26:27], s[12:13], s[26:27]
	s_delay_alu instid0(SALU_CYCLE_1)
	v_lshl_add_u64 v[0:1], v[12:13], 3, s[26:27]
	s_and_saveexec_b32 s29, s33
	s_cbranch_execz .LBB101_20
; %bb.16:                               ;   in Loop: Header=BB101_6 Depth=1
	v_mov_b64_e32 v[2:3], s[10:11]
	v_mov_b64_e32 v[20:21], s[6:7]
	s_and_b32 vcc_lo, exec_lo, s31
	s_mov_b32 s36, -1
	s_delay_alu instid0(VALU_DEP_2) | instskip(NEXT) | instid1(VALU_DEP_1)
	v_pk_mul_f32 v[2:3], v[38:39], v[2:3] op_sel_hi:[0,1]
	v_pk_fma_f32 v[22:23], v[36:37], v[20:21], v[2:3] op_sel_hi:[0,1,1]
	v_pk_fma_f32 v[2:3], v[36:37], v[20:21], v[2:3] neg_lo:[0,0,1] neg_hi:[0,0,1]
	v_lshl_add_u64 v[20:21], v[8:9], 3, v[0:1]
	s_delay_alu instid0(VALU_DEP_3)
	v_mov_b32_e32 v3, v23
	s_cbranch_vccz .LBB101_18
; %bb.17:                               ;   in Loop: Header=BB101_6 Depth=1
	global_load_b64 v[22:23], v[20:21], off
	v_mov_b64_e32 v[36:37], s[20:21]
	v_mov_b64_e32 v[38:39], s[2:3]
	s_mov_b32 s36, 0
	s_wait_loadcnt 0x0
	s_delay_alu instid0(VALU_DEP_2) | instskip(NEXT) | instid1(VALU_DEP_1)
	v_pk_mul_f32 v[36:37], v[22:23], v[36:37]
	v_pk_fma_f32 v[40:41], v[22:23], v[38:39], v[36:37] op_sel:[0,0,1] op_sel_hi:[1,1,0]
	v_pk_fma_f32 v[22:23], v[22:23], v[38:39], v[36:37] op_sel:[0,0,1] op_sel_hi:[1,1,0] neg_lo:[0,0,1] neg_hi:[0,0,1]
	s_delay_alu instid0(VALU_DEP_2) | instskip(NEXT) | instid1(VALU_DEP_1)
	v_mov_b32_e32 v23, v41
	v_pk_add_f32 v[22:23], v[2:3], v[22:23]
	global_store_b64 v[20:21], v[22:23], off
.LBB101_18:                             ;   in Loop: Header=BB101_6 Depth=1
	s_and_not1_b32 vcc_lo, exec_lo, s36
	s_cbranch_vccnz .LBB101_20
; %bb.19:                               ;   in Loop: Header=BB101_6 Depth=1
	global_store_b64 v[20:21], v[2:3], off
.LBB101_20:                             ;   in Loop: Header=BB101_6 Depth=1
	s_wait_xcnt 0x0
	s_or_b32 exec_lo, exec_lo, s29
	s_and_saveexec_b32 s29, s34
	s_cbranch_execz .LBB101_25
; %bb.21:                               ;   in Loop: Header=BB101_6 Depth=1
	v_mov_b64_e32 v[2:3], s[10:11]
	v_mov_b64_e32 v[20:21], s[6:7]
	v_lshl_add_u64 v[0:1], v[10:11], 3, v[0:1]
	s_and_not1_b32 vcc_lo, exec_lo, s31
	s_mov_b32 s36, -1
	s_delay_alu instid0(VALU_DEP_3) | instskip(NEXT) | instid1(VALU_DEP_1)
	v_pk_mul_f32 v[2:3], v[34:35], v[2:3] op_sel_hi:[0,1]
	v_pk_fma_f32 v[22:23], v[32:33], v[20:21], v[2:3] op_sel_hi:[0,1,1]
	v_pk_fma_f32 v[2:3], v[32:33], v[20:21], v[2:3] neg_lo:[0,0,1] neg_hi:[0,0,1]
	s_delay_alu instid0(VALU_DEP_2)
	v_mov_b32_e32 v3, v23
	s_cbranch_vccnz .LBB101_23
; %bb.22:                               ;   in Loop: Header=BB101_6 Depth=1
	global_load_b64 v[20:21], v[0:1], off
	v_mov_b64_e32 v[22:23], s[20:21]
	v_mov_b64_e32 v[32:33], s[2:3]
	s_mov_b32 s36, 0
	s_wait_loadcnt 0x0
	s_delay_alu instid0(VALU_DEP_2) | instskip(NEXT) | instid1(VALU_DEP_1)
	v_pk_mul_f32 v[22:23], v[20:21], v[22:23]
	v_pk_fma_f32 v[34:35], v[20:21], v[32:33], v[22:23] op_sel:[0,0,1] op_sel_hi:[1,1,0]
	v_pk_fma_f32 v[20:21], v[20:21], v[32:33], v[22:23] op_sel:[0,0,1] op_sel_hi:[1,1,0] neg_lo:[0,0,1] neg_hi:[0,0,1]
	s_delay_alu instid0(VALU_DEP_2) | instskip(NEXT) | instid1(VALU_DEP_1)
	v_mov_b32_e32 v21, v35
	v_pk_add_f32 v[20:21], v[2:3], v[20:21]
	global_store_b64 v[0:1], v[20:21], off
.LBB101_23:                             ;   in Loop: Header=BB101_6 Depth=1
	s_and_not1_b32 vcc_lo, exec_lo, s36
	s_cbranch_vccnz .LBB101_25
; %bb.24:                               ;   in Loop: Header=BB101_6 Depth=1
	global_store_b64 v[0:1], v[2:3], off
.LBB101_25:                             ;   in Loop: Header=BB101_6 Depth=1
	s_wait_xcnt 0x0
	s_or_b32 exec_lo, exec_lo, s29
	v_lshl_add_u64 v[0:1], v[14:15], 3, s[26:27]
	s_and_saveexec_b32 s26, s4
	s_cbranch_execz .LBB101_30
; %bb.26:                               ;   in Loop: Header=BB101_6 Depth=1
	v_mov_b64_e32 v[2:3], s[10:11]
	v_mov_b64_e32 v[20:21], s[6:7]
	s_and_not1_b32 vcc_lo, exec_lo, s31
	s_mov_b32 s27, -1
	s_delay_alu instid0(VALU_DEP_2) | instskip(NEXT) | instid1(VALU_DEP_1)
	v_pk_mul_f32 v[2:3], v[30:31], v[2:3] op_sel_hi:[0,1]
	v_pk_fma_f32 v[22:23], v[28:29], v[20:21], v[2:3] op_sel_hi:[0,1,1]
	v_pk_fma_f32 v[2:3], v[28:29], v[20:21], v[2:3] neg_lo:[0,0,1] neg_hi:[0,0,1]
	v_lshl_add_u64 v[20:21], v[8:9], 3, v[0:1]
	s_delay_alu instid0(VALU_DEP_3)
	v_mov_b32_e32 v3, v23
	s_cbranch_vccnz .LBB101_28
; %bb.27:                               ;   in Loop: Header=BB101_6 Depth=1
	global_load_b64 v[22:23], v[20:21], off
	v_mov_b64_e32 v[30:31], s[20:21]
	v_mov_b64_e32 v[32:33], s[2:3]
	s_mov_b32 s27, 0
	s_wait_loadcnt 0x0
	s_delay_alu instid0(VALU_DEP_2) | instskip(NEXT) | instid1(VALU_DEP_1)
	v_pk_mul_f32 v[30:31], v[22:23], v[30:31]
	v_pk_fma_f32 v[34:35], v[22:23], v[32:33], v[30:31] op_sel:[0,0,1] op_sel_hi:[1,1,0]
	v_pk_fma_f32 v[22:23], v[22:23], v[32:33], v[30:31] op_sel:[0,0,1] op_sel_hi:[1,1,0] neg_lo:[0,0,1] neg_hi:[0,0,1]
	s_delay_alu instid0(VALU_DEP_2) | instskip(NEXT) | instid1(VALU_DEP_1)
	v_mov_b32_e32 v23, v35
	v_pk_add_f32 v[22:23], v[2:3], v[22:23]
	global_store_b64 v[20:21], v[22:23], off
.LBB101_28:                             ;   in Loop: Header=BB101_6 Depth=1
	s_and_not1_b32 vcc_lo, exec_lo, s27
	s_cbranch_vccnz .LBB101_30
; %bb.29:                               ;   in Loop: Header=BB101_6 Depth=1
	global_store_b64 v[20:21], v[2:3], off
.LBB101_30:                             ;   in Loop: Header=BB101_6 Depth=1
	s_wait_xcnt 0x0
	s_or_b32 exec_lo, exec_lo, s26
	s_and_saveexec_b32 s26, s1
	s_cbranch_execz .LBB101_5
; %bb.31:                               ;   in Loop: Header=BB101_6 Depth=1
	v_mov_b64_e32 v[2:3], s[10:11]
	v_mov_b64_e32 v[20:21], s[6:7]
	v_lshl_add_u64 v[0:1], v[10:11], 3, v[0:1]
	s_and_not1_b32 vcc_lo, exec_lo, s31
	s_mov_b32 s27, -1
	s_delay_alu instid0(VALU_DEP_3) | instskip(NEXT) | instid1(VALU_DEP_1)
	v_pk_mul_f32 v[2:3], v[26:27], v[2:3] op_sel_hi:[0,1]
	v_pk_fma_f32 v[22:23], v[24:25], v[20:21], v[2:3] op_sel_hi:[0,1,1]
	v_pk_fma_f32 v[2:3], v[24:25], v[20:21], v[2:3] neg_lo:[0,0,1] neg_hi:[0,0,1]
	s_delay_alu instid0(VALU_DEP_2)
	v_mov_b32_e32 v3, v23
	s_cbranch_vccnz .LBB101_33
; %bb.32:                               ;   in Loop: Header=BB101_6 Depth=1
	global_load_b64 v[20:21], v[0:1], off
	v_mov_b64_e32 v[22:23], s[20:21]
	v_mov_b64_e32 v[30:31], s[2:3]
	s_mov_b32 s27, 0
	s_wait_loadcnt 0x0
	s_delay_alu instid0(VALU_DEP_2) | instskip(NEXT) | instid1(VALU_DEP_1)
	v_pk_mul_f32 v[22:23], v[20:21], v[22:23]
	v_pk_fma_f32 v[32:33], v[20:21], v[30:31], v[22:23] op_sel:[0,0,1] op_sel_hi:[1,1,0]
	v_pk_fma_f32 v[20:21], v[20:21], v[30:31], v[22:23] op_sel:[0,0,1] op_sel_hi:[1,1,0] neg_lo:[0,0,1] neg_hi:[0,0,1]
	s_delay_alu instid0(VALU_DEP_2) | instskip(NEXT) | instid1(VALU_DEP_1)
	v_mov_b32_e32 v21, v33
	v_pk_add_f32 v[20:21], v[2:3], v[20:21]
	global_store_b64 v[0:1], v[20:21], off
.LBB101_33:                             ;   in Loop: Header=BB101_6 Depth=1
	s_and_not1_b32 vcc_lo, exec_lo, s27
	s_cbranch_vccnz .LBB101_5
; %bb.34:                               ;   in Loop: Header=BB101_6 Depth=1
	global_store_b64 v[0:1], v[2:3], off
	s_branch .LBB101_5
.LBB101_35:
	s_endpgm
	.section	.rodata,"a",@progbits
	.p2align	6, 0x0
	.amdhsa_kernel _ZL29rocblas_internal_gemmt_kernelIiLi16ELi32ELi8ELc78ELc67ELc76ELb0ELb1E19rocblas_complex_numIfES1_PKS1_PS1_EviT_T9_T10_S5_lS7_S5_lS6_T11_S5_li
		.amdhsa_group_segment_fixed_size 4096
		.amdhsa_private_segment_fixed_size 0
		.amdhsa_kernarg_size 100
		.amdhsa_user_sgpr_count 2
		.amdhsa_user_sgpr_dispatch_ptr 0
		.amdhsa_user_sgpr_queue_ptr 0
		.amdhsa_user_sgpr_kernarg_segment_ptr 1
		.amdhsa_user_sgpr_dispatch_id 0
		.amdhsa_user_sgpr_kernarg_preload_length 0
		.amdhsa_user_sgpr_kernarg_preload_offset 0
		.amdhsa_user_sgpr_private_segment_size 0
		.amdhsa_wavefront_size32 1
		.amdhsa_uses_dynamic_stack 0
		.amdhsa_enable_private_segment 0
		.amdhsa_system_sgpr_workgroup_id_x 1
		.amdhsa_system_sgpr_workgroup_id_y 1
		.amdhsa_system_sgpr_workgroup_id_z 1
		.amdhsa_system_sgpr_workgroup_info 0
		.amdhsa_system_vgpr_workitem_id 1
		.amdhsa_next_free_vgpr 56
		.amdhsa_next_free_sgpr 37
		.amdhsa_named_barrier_count 0
		.amdhsa_reserve_vcc 1
		.amdhsa_float_round_mode_32 0
		.amdhsa_float_round_mode_16_64 0
		.amdhsa_float_denorm_mode_32 3
		.amdhsa_float_denorm_mode_16_64 3
		.amdhsa_fp16_overflow 0
		.amdhsa_memory_ordered 1
		.amdhsa_forward_progress 1
		.amdhsa_inst_pref_size 26
		.amdhsa_round_robin_scheduling 0
		.amdhsa_exception_fp_ieee_invalid_op 0
		.amdhsa_exception_fp_denorm_src 0
		.amdhsa_exception_fp_ieee_div_zero 0
		.amdhsa_exception_fp_ieee_overflow 0
		.amdhsa_exception_fp_ieee_underflow 0
		.amdhsa_exception_fp_ieee_inexact 0
		.amdhsa_exception_int_div_zero 0
	.end_amdhsa_kernel
	.section	.text._ZL29rocblas_internal_gemmt_kernelIiLi16ELi32ELi8ELc78ELc67ELc76ELb0ELb1E19rocblas_complex_numIfES1_PKS1_PS1_EviT_T9_T10_S5_lS7_S5_lS6_T11_S5_li,"axG",@progbits,_ZL29rocblas_internal_gemmt_kernelIiLi16ELi32ELi8ELc78ELc67ELc76ELb0ELb1E19rocblas_complex_numIfES1_PKS1_PS1_EviT_T9_T10_S5_lS7_S5_lS6_T11_S5_li,comdat
.Lfunc_end101:
	.size	_ZL29rocblas_internal_gemmt_kernelIiLi16ELi32ELi8ELc78ELc67ELc76ELb0ELb1E19rocblas_complex_numIfES1_PKS1_PS1_EviT_T9_T10_S5_lS7_S5_lS6_T11_S5_li, .Lfunc_end101-_ZL29rocblas_internal_gemmt_kernelIiLi16ELi32ELi8ELc78ELc67ELc76ELb0ELb1E19rocblas_complex_numIfES1_PKS1_PS1_EviT_T9_T10_S5_lS7_S5_lS6_T11_S5_li
                                        ; -- End function
	.set _ZL29rocblas_internal_gemmt_kernelIiLi16ELi32ELi8ELc78ELc67ELc76ELb0ELb1E19rocblas_complex_numIfES1_PKS1_PS1_EviT_T9_T10_S5_lS7_S5_lS6_T11_S5_li.num_vgpr, 56
	.set _ZL29rocblas_internal_gemmt_kernelIiLi16ELi32ELi8ELc78ELc67ELc76ELb0ELb1E19rocblas_complex_numIfES1_PKS1_PS1_EviT_T9_T10_S5_lS7_S5_lS6_T11_S5_li.num_agpr, 0
	.set _ZL29rocblas_internal_gemmt_kernelIiLi16ELi32ELi8ELc78ELc67ELc76ELb0ELb1E19rocblas_complex_numIfES1_PKS1_PS1_EviT_T9_T10_S5_lS7_S5_lS6_T11_S5_li.numbered_sgpr, 37
	.set _ZL29rocblas_internal_gemmt_kernelIiLi16ELi32ELi8ELc78ELc67ELc76ELb0ELb1E19rocblas_complex_numIfES1_PKS1_PS1_EviT_T9_T10_S5_lS7_S5_lS6_T11_S5_li.num_named_barrier, 0
	.set _ZL29rocblas_internal_gemmt_kernelIiLi16ELi32ELi8ELc78ELc67ELc76ELb0ELb1E19rocblas_complex_numIfES1_PKS1_PS1_EviT_T9_T10_S5_lS7_S5_lS6_T11_S5_li.private_seg_size, 0
	.set _ZL29rocblas_internal_gemmt_kernelIiLi16ELi32ELi8ELc78ELc67ELc76ELb0ELb1E19rocblas_complex_numIfES1_PKS1_PS1_EviT_T9_T10_S5_lS7_S5_lS6_T11_S5_li.uses_vcc, 1
	.set _ZL29rocblas_internal_gemmt_kernelIiLi16ELi32ELi8ELc78ELc67ELc76ELb0ELb1E19rocblas_complex_numIfES1_PKS1_PS1_EviT_T9_T10_S5_lS7_S5_lS6_T11_S5_li.uses_flat_scratch, 0
	.set _ZL29rocblas_internal_gemmt_kernelIiLi16ELi32ELi8ELc78ELc67ELc76ELb0ELb1E19rocblas_complex_numIfES1_PKS1_PS1_EviT_T9_T10_S5_lS7_S5_lS6_T11_S5_li.has_dyn_sized_stack, 0
	.set _ZL29rocblas_internal_gemmt_kernelIiLi16ELi32ELi8ELc78ELc67ELc76ELb0ELb1E19rocblas_complex_numIfES1_PKS1_PS1_EviT_T9_T10_S5_lS7_S5_lS6_T11_S5_li.has_recursion, 0
	.set _ZL29rocblas_internal_gemmt_kernelIiLi16ELi32ELi8ELc78ELc67ELc76ELb0ELb1E19rocblas_complex_numIfES1_PKS1_PS1_EviT_T9_T10_S5_lS7_S5_lS6_T11_S5_li.has_indirect_call, 0
	.section	.AMDGPU.csdata,"",@progbits
; Kernel info:
; codeLenInByte = 3240
; TotalNumSgprs: 39
; NumVgprs: 56
; ScratchSize: 0
; MemoryBound: 0
; FloatMode: 240
; IeeeMode: 1
; LDSByteSize: 4096 bytes/workgroup (compile time only)
; SGPRBlocks: 0
; VGPRBlocks: 3
; NumSGPRsForWavesPerEU: 39
; NumVGPRsForWavesPerEU: 56
; NamedBarCnt: 0
; Occupancy: 16
; WaveLimiterHint : 0
; COMPUTE_PGM_RSRC2:SCRATCH_EN: 0
; COMPUTE_PGM_RSRC2:USER_SGPR: 2
; COMPUTE_PGM_RSRC2:TRAP_HANDLER: 0
; COMPUTE_PGM_RSRC2:TGID_X_EN: 1
; COMPUTE_PGM_RSRC2:TGID_Y_EN: 1
; COMPUTE_PGM_RSRC2:TGID_Z_EN: 1
; COMPUTE_PGM_RSRC2:TIDIG_COMP_CNT: 1
	.section	.text._ZL29rocblas_internal_gemmt_kernelIiLi16ELi32ELi8ELc84ELc78ELc76ELb0ELb0E19rocblas_complex_numIfES1_PKS1_PS1_EviT_T9_T10_S5_lS7_S5_lS6_T11_S5_li,"axG",@progbits,_ZL29rocblas_internal_gemmt_kernelIiLi16ELi32ELi8ELc84ELc78ELc76ELb0ELb0E19rocblas_complex_numIfES1_PKS1_PS1_EviT_T9_T10_S5_lS7_S5_lS6_T11_S5_li,comdat
	.globl	_ZL29rocblas_internal_gemmt_kernelIiLi16ELi32ELi8ELc84ELc78ELc76ELb0ELb0E19rocblas_complex_numIfES1_PKS1_PS1_EviT_T9_T10_S5_lS7_S5_lS6_T11_S5_li ; -- Begin function _ZL29rocblas_internal_gemmt_kernelIiLi16ELi32ELi8ELc84ELc78ELc76ELb0ELb0E19rocblas_complex_numIfES1_PKS1_PS1_EviT_T9_T10_S5_lS7_S5_lS6_T11_S5_li
	.p2align	8
	.type	_ZL29rocblas_internal_gemmt_kernelIiLi16ELi32ELi8ELc84ELc78ELc76ELb0ELb0E19rocblas_complex_numIfES1_PKS1_PS1_EviT_T9_T10_S5_lS7_S5_lS6_T11_S5_li,@function
_ZL29rocblas_internal_gemmt_kernelIiLi16ELi32ELi8ELc84ELc78ELc76ELb0ELb0E19rocblas_complex_numIfES1_PKS1_PS1_EviT_T9_T10_S5_lS7_S5_lS6_T11_S5_li: ; @_ZL29rocblas_internal_gemmt_kernelIiLi16ELi32ELi8ELc84ELc78ELc76ELb0ELb0E19rocblas_complex_numIfES1_PKS1_PS1_EviT_T9_T10_S5_lS7_S5_lS6_T11_S5_li
; %bb.0:
	s_clause 0x1
	s_load_b64 s[20:21], s[0:1], 0x40
	s_load_b128 s[4:7], s[0:1], 0x0
	s_wait_kmcnt 0x0
	s_cmp_neq_f32 s20, 1.0
	s_cselect_b32 s2, -1, 0
	s_and_b32 s3, s21, 0x7fffffff
	s_delay_alu instid0(SALU_CYCLE_1) | instskip(SKIP_3) | instid1(SALU_CYCLE_1)
	s_cmp_eq_u32 s3, 0
	s_cselect_b32 s28, -1, 0
	s_cmp_lg_u32 s3, 0
	s_cselect_b32 s3, -1, 0
	s_or_b32 s2, s2, s3
	s_delay_alu instid0(SALU_CYCLE_1)
	s_and_b32 vcc_lo, exec_lo, s2
	s_cbranch_vccnz .LBB102_2
; %bb.1:
	s_cmp_lg_u32 s5, 0
	s_cselect_b32 s2, -1, 0
	s_cmp_neq_f32 s6, 0
	s_cselect_b32 s3, -1, 0
	s_cmp_neq_f32 s7, 0
	s_cselect_b32 s8, -1, 0
	s_delay_alu instid0(SALU_CYCLE_1) | instskip(NEXT) | instid1(SALU_CYCLE_1)
	s_or_b32 s3, s3, s8
	s_and_b32 s2, s2, s3
.LBB102_2:
	s_delay_alu instid0(SALU_CYCLE_1)
	s_and_not1_b32 vcc_lo, exec_lo, s2
	s_cbranch_vccnz .LBB102_33
; %bb.3:
	s_load_b32 s19, s[0:1], 0x60
	s_bfe_u32 s2, ttmp6, 0x40014
	s_lshr_b32 s3, ttmp7, 16
	s_add_co_i32 s2, s2, 1
	s_bfe_u32 s8, ttmp6, 0x40008
	s_mul_i32 s2, s3, s2
	s_getreg_b32 s29, hwreg(HW_REG_IB_STS2, 6, 4)
	s_add_co_i32 s8, s8, s2
	s_cmp_eq_u32 s29, 0
	s_mov_b32 s23, 0
	s_cselect_b32 s22, s3, s8
	s_wait_kmcnt 0x0
	s_cmp_ge_u32 s22, s19
	s_cbranch_scc1 .LBB102_33
; %bb.4:
	s_clause 0x2
	s_load_b96 s[16:18], s[0:1], 0x10
	s_load_b32 s2, s[0:1], 0x30
	s_load_b96 s[12:14], s[0:1], 0x48
	v_and_b32_e32 v4, 0x3ff, v0
	v_bfe_u32 v5, v0, 10, 10
	s_clause 0x2
	s_load_b128 s[8:11], s[0:1], 0x20
	s_load_b64 s[26:27], s[0:1], 0x38
	s_load_b64 s[24:25], s[0:1], 0x58
	s_wait_xcnt 0x0
	s_bfe_u32 s1, ttmp6, 0x4000c
	s_bfe_u32 s3, ttmp6, 0x40010
	s_and_b32 s30, ttmp7, 0xffff
	s_add_co_i32 s1, s1, 1
	s_add_co_i32 s3, s3, 1
	v_lshl_add_u32 v1, v5, 4, v4
	s_and_b32 s0, ttmp6, 15
	s_bfe_u32 s33, ttmp6, 0x40004
	s_mul_i32 s1, ttmp9, s1
	s_mul_i32 s34, s30, s3
	s_add_co_i32 s0, s0, s1
	s_add_co_i32 s33, s33, s34
	v_dual_lshrrev_b32 v6, 3, v1 :: v_dual_bitop2_b32 v2, 31, v1 bitop3:0x40
	s_wait_kmcnt 0x0
	s_ashr_i32 s31, s18, 31
	s_ashr_i32 s3, s2, 31
	s_ashr_i32 s15, s14, 31
	s_cmp_eq_u32 s29, 0
	v_dual_lshrrev_b32 v21, 5, v1 :: v_dual_bitop2_b32 v23, 7, v0 bitop3:0x40
	s_cselect_b32 s0, ttmp9, s0
	s_cselect_b32 s1, s30, s33
	s_lshl_b32 s29, s0, 5
	s_lshl_b32 s1, s1, 5
	s_cmp_neq_f32 s6, 0
	v_dual_lshlrev_b32 v1, 3, v2 :: v_dual_bitop2_b32 v0, s29, v2 bitop3:0x54
	v_dual_add_nc_u32 v2, s1, v6 :: v_dual_lshlrev_b32 v12, 3, v23
	s_cselect_b32 s0, -1, 0
	s_cmp_neq_f32 s7, 0
	s_delay_alu instid0(VALU_DEP_2) | instskip(NEXT) | instid1(VALU_DEP_2)
	v_lshl_or_b32 v25, v21, 8, v1
	v_dual_ashrrev_i32 v1, 31, v0 :: v_dual_ashrrev_i32 v3, 31, v2
	v_dual_add_nc_u32 v14, s1, v5 :: v_dual_lshlrev_b32 v29, 3, v4
	s_mov_b32 s30, s18
	s_cselect_b32 s18, -1, 0
	v_cmp_gt_i32_e64 s1, s4, v2
	s_or_b32 s33, s0, s18
	v_cmp_gt_i32_e64 s0, s4, v0
	v_mul_u64_e32 v[0:1], s[30:31], v[0:1]
	v_mul_u64_e32 v[2:3], s[2:3], v[2:3]
	v_dual_add_nc_u32 v16, 16, v14 :: v_dual_add_nc_u32 v4, s29, v4
	v_ashrrev_i32_e32 v15, 31, v14
	v_lshl_or_b32 v6, v6, 6, v12
	v_lshl_add_u32 v31, v5, 6, 0x800
	s_delay_alu instid0(VALU_DEP_4)
	v_ashrrev_i32_e32 v17, 31, v16
	v_ashrrev_i32_e32 v5, 31, v4
	v_mul_u64_e32 v[8:9], s[14:15], v[14:15]
	v_add_nc_u32_e32 v27, 0x800, v6
	v_add_nc_u32_e32 v6, 16, v4
	v_mul_u64_e32 v[10:11], s[14:15], v[16:17]
	v_mov_b32_e32 v15, 0
	v_cmp_le_i32_e32 vcc_lo, v14, v4
	s_cmp_gt_i32 s5, 0
	v_cmp_le_i32_e64 s3, v14, v6
	v_dual_ashrrev_i32 v7, 31, v6 :: v_dual_lshlrev_b32 v14, 3, v21
	v_mov_b32_e32 v13, v15
	s_cselect_b32 s34, -1, 0
	s_cmp_neq_f32 s20, 0
	v_cmp_gt_i32_e64 s2, s4, v4
	v_cmp_gt_i32_e64 s4, s4, v6
	s_mov_b32 s14, s7
	s_cselect_b32 s18, -1, 0
	s_xor_b32 s28, s28, -1
	s_and_b32 s31, s33, s34
	s_or_b32 s18, s18, s28
	s_and_b32 s28, vcc_lo, s2
	s_and_b32 s29, s3, s4
	v_cmp_le_i32_e32 vcc_lo, v16, v4
	v_lshl_add_u64 v[0:1], v[0:1], 3, v[14:15]
	v_lshl_add_u64 v[2:3], v[2:3], 3, v[12:13]
	v_cmp_le_i32_e64 s3, v16, v6
	s_mov_b32 s15, s6
	s_and_b32 s30, vcc_lo, s2
	v_add_nc_u64_e32 v[12:13], s[16:17], v[0:1]
	v_add_nc_u64_e32 v[14:15], s[10:11], v[2:3]
	s_and_b32 s4, s3, s4
	s_mov_b32 s2, s20
	s_mov_b32 s3, s20
	;; [unrolled: 1-line block ×3, first 2 shown]
	s_lshl_b64 s[8:9], s[8:9], 3
	s_lshl_b64 s[10:11], s[26:27], 3
	s_branch .LBB102_6
.LBB102_5:                              ;   in Loop: Header=BB102_6 Depth=1
	s_wait_xcnt 0x0
	s_or_b32 exec_lo, exec_lo, s16
	s_add_co_i32 s22, s22, 0x10000
	s_delay_alu instid0(SALU_CYCLE_1)
	s_cmp_lt_u32 s22, s19
	s_cbranch_scc0 .LBB102_33
.LBB102_6:                              ; =>This Loop Header: Depth=1
                                        ;     Child Loop BB102_9 Depth 2
	v_dual_mov_b32 v32, 0 :: v_dual_mov_b32 v34, 0
	v_dual_mov_b32 v28, 0 :: v_dual_mov_b32 v30, 0
	v_dual_mov_b32 v24, 0 :: v_dual_mov_b32 v26, 0
	v_dual_mov_b32 v20, 0 :: v_dual_mov_b32 v22, 0
	s_and_not1_b32 vcc_lo, exec_lo, s31
	s_cbranch_vccnz .LBB102_13
; %bb.7:                                ;   in Loop: Header=BB102_6 Depth=1
	v_mad_nc_u64_u32 v[16:17], s8, s22, v[12:13]
	v_mad_nc_u64_u32 v[18:19], s10, s22, v[14:15]
	v_dual_mov_b32 v22, 0 :: v_dual_mov_b32 v20, 0
	v_dual_mov_b32 v26, 0 :: v_dual_mov_b32 v24, 0
	;; [unrolled: 1-line block ×4, first 2 shown]
	s_mov_b32 s16, 0
	v_mad_u32 v17, s9, s22, v17
	v_mad_u32 v19, s11, s22, v19
	s_branch .LBB102_9
.LBB102_8:                              ;   in Loop: Header=BB102_9 Depth=2
	s_wait_xcnt 0x0
	s_or_b32 exec_lo, exec_lo, s17
	s_wait_loadcnt 0x0
	ds_store_b64 v27, v[2:3]
	s_wait_dscnt 0x0
	s_barrier_signal -1
	s_barrier_wait -1
	ds_load_b128 v[36:39], v31
	ds_load_b128 v[40:43], v31 offset:16
	ds_load_b128 v[44:47], v31 offset:32
	;; [unrolled: 1-line block ×3, first 2 shown]
	ds_load_2addr_b64 v[48:51], v29 offset1:16
	v_add_nc_u64_e32 v[16:17], 64, v[16:17]
	v_add_nc_u64_e32 v[18:19], 64, v[18:19]
	s_add_co_i32 s16, s16, 8
	s_delay_alu instid0(SALU_CYCLE_1) | instskip(SKIP_2) | instid1(VALU_DEP_1)
	s_cmp_lt_i32 s16, s5
	s_wait_dscnt 0x0
	v_dual_mul_f32 v33, v37, v49 :: v_dual_mul_f32 v35, v36, v49
	v_dual_fma_f32 v33, v36, v48, -v33 :: v_dual_fmac_f32 v35, v37, v48
	s_delay_alu instid0(VALU_DEP_1) | instskip(SKIP_1) | instid1(VALU_DEP_1)
	v_dual_add_f32 v52, v32, v33 :: v_dual_add_f32 v53, v34, v35
	v_dual_mul_f32 v32, v37, v51 :: v_dual_mul_f32 v33, v36, v51
	v_dual_fma_f32 v32, v36, v50, -v32 :: v_dual_fmac_f32 v33, v37, v50
	s_delay_alu instid0(VALU_DEP_1) | instskip(SKIP_3) | instid1(VALU_DEP_1)
	v_dual_add_f32 v28, v28, v32 :: v_dual_add_f32 v30, v30, v33
	ds_load_b128 v[32:35], v31 offset:1024
	s_wait_dscnt 0x0
	v_dual_mul_f32 v36, v33, v49 :: v_dual_mul_f32 v37, v32, v49
	v_dual_fma_f32 v36, v32, v48, -v36 :: v_dual_fmac_f32 v37, v33, v48
	s_delay_alu instid0(VALU_DEP_1) | instskip(SKIP_1) | instid1(VALU_DEP_1)
	v_dual_add_f32 v24, v24, v36 :: v_dual_add_f32 v26, v26, v37
	v_mul_f32_e32 v36, v33, v51
	v_dual_fma_f32 v36, v32, v50, -v36 :: v_dual_mul_f32 v32, v32, v51
	s_delay_alu instid0(VALU_DEP_1) | instskip(SKIP_4) | instid1(VALU_DEP_1)
	v_fmac_f32_e32 v32, v33, v50
	ds_load_2addr_b64 v[48:51], v29 offset0:32 offset1:48
	v_add_f32_e32 v22, v22, v32
	s_wait_dscnt 0x0
	v_dual_add_f32 v20, v20, v36 :: v_dual_mul_f32 v32, v39, v49
	v_dual_mul_f32 v33, v38, v49 :: v_dual_fma_f32 v32, v38, v48, -v32
	s_delay_alu instid0(VALU_DEP_1) | instskip(NEXT) | instid1(VALU_DEP_1)
	v_fmac_f32_e32 v33, v39, v48
	v_dual_add_f32 v36, v52, v32 :: v_dual_add_f32 v37, v53, v33
	v_dual_mul_f32 v32, v39, v51 :: v_dual_mul_f32 v33, v38, v51
	s_delay_alu instid0(VALU_DEP_1) | instskip(NEXT) | instid1(VALU_DEP_1)
	v_dual_fma_f32 v32, v38, v50, -v32 :: v_dual_fmac_f32 v33, v39, v50
	v_dual_add_f32 v28, v28, v32 :: v_dual_add_f32 v30, v30, v33
	v_dual_mul_f32 v32, v35, v49 :: v_dual_mul_f32 v33, v34, v49
	s_delay_alu instid0(VALU_DEP_1) | instskip(NEXT) | instid1(VALU_DEP_1)
	v_dual_fma_f32 v32, v34, v48, -v32 :: v_dual_fmac_f32 v33, v35, v48
	;; [unrolled: 4-line block ×3, first 2 shown]
	v_dual_add_f32 v20, v20, v32 :: v_dual_add_f32 v22, v22, v33
	ds_load_2addr_b64 v[32:35], v29 offset0:64 offset1:80
	s_wait_dscnt 0x0
	v_dual_mul_f32 v38, v41, v33 :: v_dual_mul_f32 v39, v40, v33
	s_delay_alu instid0(VALU_DEP_1) | instskip(NEXT) | instid1(VALU_DEP_1)
	v_dual_fma_f32 v38, v40, v32, -v38 :: v_dual_fmac_f32 v39, v41, v32
	v_dual_add_f32 v48, v36, v38 :: v_dual_add_f32 v49, v37, v39
	v_dual_mul_f32 v36, v41, v35 :: v_dual_mul_f32 v37, v40, v35
	s_delay_alu instid0(VALU_DEP_1) | instskip(NEXT) | instid1(VALU_DEP_1)
	v_dual_fma_f32 v36, v40, v34, -v36 :: v_dual_fmac_f32 v37, v41, v34
	v_dual_add_f32 v28, v28, v36 :: v_dual_add_f32 v30, v30, v37
	ds_load_b128 v[36:39], v31 offset:1040
	s_wait_dscnt 0x0
	v_dual_mul_f32 v40, v37, v33 :: v_dual_mul_f32 v33, v36, v33
	s_delay_alu instid0(VALU_DEP_1) | instskip(NEXT) | instid1(VALU_DEP_1)
	v_dual_fma_f32 v40, v36, v32, -v40 :: v_dual_fmac_f32 v33, v37, v32
	v_dual_mul_f32 v32, v37, v35 :: v_dual_add_f32 v24, v24, v40
	s_delay_alu instid0(VALU_DEP_2) | instskip(NEXT) | instid1(VALU_DEP_1)
	v_dual_add_f32 v26, v26, v33 :: v_dual_mul_f32 v33, v36, v35
	v_dual_fma_f32 v32, v36, v34, -v32 :: v_dual_fmac_f32 v33, v37, v34
	s_delay_alu instid0(VALU_DEP_1) | instskip(SKIP_4) | instid1(VALU_DEP_2)
	v_dual_add_f32 v20, v20, v32 :: v_dual_add_f32 v22, v22, v33
	ds_load_2addr_b64 v[32:35], v29 offset0:96 offset1:112
	s_wait_dscnt 0x0
	v_dual_mul_f32 v40, v43, v35 :: v_dual_mul_f32 v41, v42, v35
	v_dual_mul_f32 v36, v43, v33 :: v_dual_mul_f32 v37, v42, v33
	v_dual_fma_f32 v40, v42, v34, -v40 :: v_dual_fmac_f32 v41, v43, v34
	s_delay_alu instid0(VALU_DEP_2) | instskip(NEXT) | instid1(VALU_DEP_2)
	v_dual_fma_f32 v36, v42, v32, -v36 :: v_dual_fmac_f32 v37, v43, v32
	v_dual_add_f32 v28, v28, v40 :: v_dual_add_f32 v30, v30, v41
	v_dual_mul_f32 v40, v39, v33 :: v_dual_mul_f32 v33, v38, v33
	s_delay_alu instid0(VALU_DEP_3) | instskip(NEXT) | instid1(VALU_DEP_2)
	v_dual_add_f32 v36, v48, v36 :: v_dual_add_f32 v37, v49, v37
	v_dual_fma_f32 v40, v38, v32, -v40 :: v_dual_fmac_f32 v33, v39, v32
	s_delay_alu instid0(VALU_DEP_1) | instskip(NEXT) | instid1(VALU_DEP_2)
	v_dual_mul_f32 v32, v39, v35 :: v_dual_add_f32 v24, v24, v40
	v_add_f32_e32 v26, v26, v33
	s_delay_alu instid0(VALU_DEP_2) | instskip(NEXT) | instid1(VALU_DEP_1)
	v_dual_mul_f32 v33, v38, v35 :: v_dual_fma_f32 v32, v38, v34, -v32
	v_dual_fmac_f32 v33, v39, v34 :: v_dual_add_f32 v20, v20, v32
	s_delay_alu instid0(VALU_DEP_1) | instskip(SKIP_3) | instid1(VALU_DEP_1)
	v_add_f32_e32 v22, v22, v33
	ds_load_2addr_b64 v[32:35], v29 offset0:128 offset1:144
	s_wait_dscnt 0x0
	v_dual_mul_f32 v38, v45, v33 :: v_dual_mul_f32 v39, v44, v33
	v_dual_fma_f32 v38, v44, v32, -v38 :: v_dual_fmac_f32 v39, v45, v32
	s_delay_alu instid0(VALU_DEP_1) | instskip(SKIP_1) | instid1(VALU_DEP_1)
	v_dual_add_f32 v40, v36, v38 :: v_dual_add_f32 v41, v37, v39
	v_dual_mul_f32 v36, v45, v35 :: v_dual_mul_f32 v37, v44, v35
	v_dual_fma_f32 v36, v44, v34, -v36 :: v_dual_fmac_f32 v37, v45, v34
	s_delay_alu instid0(VALU_DEP_1) | instskip(SKIP_3) | instid1(VALU_DEP_1)
	v_dual_add_f32 v28, v28, v36 :: v_dual_add_f32 v30, v30, v37
	ds_load_b128 v[36:39], v31 offset:1056
	s_wait_dscnt 0x0
	v_dual_mul_f32 v42, v37, v33 :: v_dual_mul_f32 v33, v36, v33
	v_dual_fma_f32 v42, v36, v32, -v42 :: v_dual_fmac_f32 v33, v37, v32
	s_delay_alu instid0(VALU_DEP_1) | instskip(NEXT) | instid1(VALU_DEP_2)
	v_dual_mul_f32 v32, v37, v35 :: v_dual_add_f32 v24, v24, v42
	v_dual_add_f32 v26, v26, v33 :: v_dual_mul_f32 v33, v36, v35
	s_delay_alu instid0(VALU_DEP_1) | instskip(NEXT) | instid1(VALU_DEP_1)
	v_dual_fma_f32 v32, v36, v34, -v32 :: v_dual_fmac_f32 v33, v37, v34
	v_dual_add_f32 v20, v20, v32 :: v_dual_add_f32 v22, v22, v33
	ds_load_2addr_b64 v[32:35], v29 offset0:160 offset1:176
	s_wait_dscnt 0x0
	v_dual_mul_f32 v36, v47, v33 :: v_dual_mul_f32 v37, v46, v33
	s_delay_alu instid0(VALU_DEP_1) | instskip(NEXT) | instid1(VALU_DEP_1)
	v_dual_fma_f32 v36, v46, v32, -v36 :: v_dual_fmac_f32 v37, v47, v32
	v_dual_add_f32 v36, v40, v36 :: v_dual_add_f32 v37, v41, v37
	v_dual_mul_f32 v40, v47, v35 :: v_dual_mul_f32 v41, v46, v35
	s_delay_alu instid0(VALU_DEP_1) | instskip(NEXT) | instid1(VALU_DEP_1)
	v_dual_fma_f32 v40, v46, v34, -v40 :: v_dual_fmac_f32 v41, v47, v34
	v_dual_add_f32 v28, v28, v40 :: v_dual_add_f32 v30, v30, v41
	v_dual_mul_f32 v40, v39, v33 :: v_dual_mul_f32 v33, v38, v33
	s_delay_alu instid0(VALU_DEP_1) | instskip(NEXT) | instid1(VALU_DEP_1)
	v_dual_fma_f32 v40, v38, v32, -v40 :: v_dual_fmac_f32 v33, v39, v32
	v_dual_mul_f32 v32, v39, v35 :: v_dual_add_f32 v24, v24, v40
	s_delay_alu instid0(VALU_DEP_2) | instskip(NEXT) | instid1(VALU_DEP_2)
	v_add_f32_e32 v26, v26, v33
	v_dual_mul_f32 v33, v38, v35 :: v_dual_fma_f32 v32, v38, v34, -v32
	ds_load_2addr_b64 v[40:43], v29 offset0:224 offset1:240
	v_dual_fmac_f32 v33, v39, v34 :: v_dual_add_f32 v20, v20, v32
	s_delay_alu instid0(VALU_DEP_1) | instskip(SKIP_3) | instid1(VALU_DEP_1)
	v_add_f32_e32 v22, v22, v33
	ds_load_2addr_b64 v[32:35], v29 offset0:192 offset1:208
	s_wait_dscnt 0x0
	v_dual_mul_f32 v38, v1, v33 :: v_dual_mul_f32 v39, v0, v33
	v_dual_fma_f32 v38, v0, v32, -v38 :: v_dual_fmac_f32 v39, v1, v32
	s_delay_alu instid0(VALU_DEP_1) | instskip(SKIP_1) | instid1(VALU_DEP_1)
	v_dual_add_f32 v44, v36, v38 :: v_dual_add_f32 v45, v37, v39
	v_mul_f32_e32 v36, v1, v35
	v_dual_fma_f32 v36, v0, v34, -v36 :: v_dual_mul_f32 v0, v0, v35
	s_delay_alu instid0(VALU_DEP_1) | instskip(NEXT) | instid1(VALU_DEP_1)
	v_fmac_f32_e32 v0, v1, v34
	v_add_f32_e32 v0, v30, v0
	s_delay_alu instid0(VALU_DEP_3)
	v_add_f32_e32 v1, v28, v36
	ds_load_b128 v[36:39], v31 offset:1072
	s_wait_dscnt 0x0
	s_barrier_signal -1
	s_barrier_wait -1
	v_dual_mul_f32 v28, v37, v33 :: v_dual_mul_f32 v30, v36, v33
	s_delay_alu instid0(VALU_DEP_1) | instskip(NEXT) | instid1(VALU_DEP_1)
	v_dual_fma_f32 v28, v36, v32, -v28 :: v_dual_fmac_f32 v30, v37, v32
	v_dual_add_f32 v24, v24, v28 :: v_dual_add_f32 v26, v26, v30
	v_dual_mul_f32 v28, v37, v35 :: v_dual_mul_f32 v30, v36, v35
	s_delay_alu instid0(VALU_DEP_1) | instskip(NEXT) | instid1(VALU_DEP_1)
	v_dual_fma_f32 v28, v36, v34, -v28 :: v_dual_fmac_f32 v30, v37, v34
	v_dual_add_f32 v20, v20, v28 :: v_dual_add_f32 v22, v22, v30
	;; [unrolled: 4-line block ×3, first 2 shown]
	v_mul_f32_e32 v28, v3, v43
	s_delay_alu instid0(VALU_DEP_1) | instskip(NEXT) | instid1(VALU_DEP_1)
	v_dual_fma_f32 v28, v2, v42, -v28 :: v_dual_mul_f32 v2, v2, v43
	v_dual_fmac_f32 v2, v3, v42 :: v_dual_add_f32 v28, v1, v28
	s_delay_alu instid0(VALU_DEP_1) | instskip(NEXT) | instid1(VALU_DEP_1)
	v_dual_mul_f32 v1, v38, v41 :: v_dual_add_f32 v30, v0, v2
	v_dual_mul_f32 v0, v39, v41 :: v_dual_fmac_f32 v1, v39, v40
	s_delay_alu instid0(VALU_DEP_1) | instskip(NEXT) | instid1(VALU_DEP_2)
	v_fma_f32 v0, v38, v40, -v0
	v_add_f32_e32 v26, v26, v1
	s_delay_alu instid0(VALU_DEP_2) | instskip(NEXT) | instid1(VALU_DEP_1)
	v_dual_mul_f32 v1, v38, v43 :: v_dual_add_f32 v24, v24, v0
	v_dual_mul_f32 v0, v39, v43 :: v_dual_fmac_f32 v1, v39, v42
	s_delay_alu instid0(VALU_DEP_1) | instskip(NEXT) | instid1(VALU_DEP_1)
	v_fma_f32 v0, v38, v42, -v0
	v_dual_add_f32 v22, v22, v1 :: v_dual_add_f32 v20, v20, v0
	s_cbranch_scc0 .LBB102_13
.LBB102_9:                              ;   Parent Loop BB102_6 Depth=1
                                        ; =>  This Inner Loop Header: Depth=2
	v_dual_mov_b32 v1, 0 :: v_dual_add_nc_u32 v0, s16, v21
	s_delay_alu instid0(VALU_DEP_1) | instskip(SKIP_2) | instid1(SALU_CYCLE_1)
	v_cmp_gt_i32_e32 vcc_lo, s5, v0
	v_mov_b32_e32 v0, 0
	s_and_b32 s26, s0, vcc_lo
	s_and_saveexec_b32 s17, s26
	s_cbranch_execz .LBB102_11
; %bb.10:                               ;   in Loop: Header=BB102_9 Depth=2
	global_load_b64 v[0:1], v[16:17], off
.LBB102_11:                             ;   in Loop: Header=BB102_9 Depth=2
	s_wait_xcnt 0x0
	s_or_b32 exec_lo, exec_lo, s17
	v_dual_mov_b32 v3, 0 :: v_dual_add_nc_u32 v2, s16, v23
	s_wait_loadcnt 0x0
	ds_store_b64 v25, v[0:1]
	v_cmp_gt_i32_e32 vcc_lo, s5, v2
	v_mov_b32_e32 v2, 0
	s_and_b32 s26, vcc_lo, s1
	s_delay_alu instid0(SALU_CYCLE_1)
	s_and_saveexec_b32 s17, s26
	s_cbranch_execz .LBB102_8
; %bb.12:                               ;   in Loop: Header=BB102_9 Depth=2
	global_load_b64 v[2:3], v[18:19], off
	s_branch .LBB102_8
.LBB102_13:                             ;   in Loop: Header=BB102_6 Depth=1
	s_mul_u64 s[16:17], s[24:25], s[22:23]
	s_delay_alu instid0(SALU_CYCLE_1) | instskip(NEXT) | instid1(SALU_CYCLE_1)
	s_lshl_b64 s[16:17], s[16:17], 3
	s_add_nc_u64 s[16:17], s[12:13], s[16:17]
	s_delay_alu instid0(SALU_CYCLE_1)
	v_lshl_add_u64 v[0:1], v[8:9], 3, s[16:17]
	s_and_saveexec_b32 s26, s28
	s_cbranch_execz .LBB102_18
; %bb.14:                               ;   in Loop: Header=BB102_6 Depth=1
	v_mov_b64_e32 v[2:3], s[14:15]
	v_mov_b64_e32 v[16:17], s[6:7]
	s_and_b32 vcc_lo, exec_lo, s18
	s_mov_b32 s27, -1
	s_delay_alu instid0(VALU_DEP_2) | instskip(NEXT) | instid1(VALU_DEP_1)
	v_pk_mul_f32 v[2:3], v[34:35], v[2:3] op_sel_hi:[0,1]
	v_pk_fma_f32 v[18:19], v[32:33], v[16:17], v[2:3] op_sel_hi:[0,1,1]
	v_pk_fma_f32 v[2:3], v[32:33], v[16:17], v[2:3] neg_lo:[0,0,1] neg_hi:[0,0,1]
	v_lshl_add_u64 v[16:17], v[4:5], 3, v[0:1]
	s_delay_alu instid0(VALU_DEP_3)
	v_mov_b32_e32 v3, v19
	s_cbranch_vccz .LBB102_16
; %bb.15:                               ;   in Loop: Header=BB102_6 Depth=1
	global_load_b64 v[18:19], v[16:17], off
	v_mov_b64_e32 v[32:33], s[20:21]
	v_mov_b64_e32 v[34:35], s[2:3]
	s_mov_b32 s27, 0
	s_wait_loadcnt 0x0
	s_delay_alu instid0(VALU_DEP_2) | instskip(NEXT) | instid1(VALU_DEP_1)
	v_pk_mul_f32 v[32:33], v[18:19], v[32:33]
	v_pk_fma_f32 v[36:37], v[18:19], v[34:35], v[32:33] op_sel:[0,0,1] op_sel_hi:[1,1,0]
	v_pk_fma_f32 v[18:19], v[18:19], v[34:35], v[32:33] op_sel:[0,0,1] op_sel_hi:[1,1,0] neg_lo:[0,0,1] neg_hi:[0,0,1]
	s_delay_alu instid0(VALU_DEP_2) | instskip(NEXT) | instid1(VALU_DEP_1)
	v_mov_b32_e32 v19, v37
	v_pk_add_f32 v[18:19], v[2:3], v[18:19]
	global_store_b64 v[16:17], v[18:19], off
.LBB102_16:                             ;   in Loop: Header=BB102_6 Depth=1
	s_and_not1_b32 vcc_lo, exec_lo, s27
	s_cbranch_vccnz .LBB102_18
; %bb.17:                               ;   in Loop: Header=BB102_6 Depth=1
	global_store_b64 v[16:17], v[2:3], off
.LBB102_18:                             ;   in Loop: Header=BB102_6 Depth=1
	s_wait_xcnt 0x0
	s_or_b32 exec_lo, exec_lo, s26
	s_and_saveexec_b32 s26, s29
	s_cbranch_execz .LBB102_23
; %bb.19:                               ;   in Loop: Header=BB102_6 Depth=1
	v_mov_b64_e32 v[2:3], s[14:15]
	v_mov_b64_e32 v[16:17], s[6:7]
	v_lshl_add_u64 v[0:1], v[6:7], 3, v[0:1]
	s_and_not1_b32 vcc_lo, exec_lo, s18
	s_mov_b32 s27, -1
	s_delay_alu instid0(VALU_DEP_3) | instskip(NEXT) | instid1(VALU_DEP_1)
	v_pk_mul_f32 v[2:3], v[30:31], v[2:3] op_sel_hi:[0,1]
	v_pk_fma_f32 v[18:19], v[28:29], v[16:17], v[2:3] op_sel_hi:[0,1,1]
	v_pk_fma_f32 v[2:3], v[28:29], v[16:17], v[2:3] neg_lo:[0,0,1] neg_hi:[0,0,1]
	s_delay_alu instid0(VALU_DEP_2)
	v_mov_b32_e32 v3, v19
	s_cbranch_vccnz .LBB102_21
; %bb.20:                               ;   in Loop: Header=BB102_6 Depth=1
	global_load_b64 v[16:17], v[0:1], off
	v_mov_b64_e32 v[18:19], s[20:21]
	v_mov_b64_e32 v[32:33], s[2:3]
	s_mov_b32 s27, 0
	s_wait_loadcnt 0x0
	s_delay_alu instid0(VALU_DEP_2) | instskip(NEXT) | instid1(VALU_DEP_1)
	v_pk_mul_f32 v[18:19], v[16:17], v[18:19]
	v_pk_fma_f32 v[34:35], v[16:17], v[32:33], v[18:19] op_sel:[0,0,1] op_sel_hi:[1,1,0]
	v_pk_fma_f32 v[16:17], v[16:17], v[32:33], v[18:19] op_sel:[0,0,1] op_sel_hi:[1,1,0] neg_lo:[0,0,1] neg_hi:[0,0,1]
	s_delay_alu instid0(VALU_DEP_2) | instskip(NEXT) | instid1(VALU_DEP_1)
	v_mov_b32_e32 v17, v35
	v_pk_add_f32 v[16:17], v[2:3], v[16:17]
	global_store_b64 v[0:1], v[16:17], off
.LBB102_21:                             ;   in Loop: Header=BB102_6 Depth=1
	s_and_not1_b32 vcc_lo, exec_lo, s27
	s_cbranch_vccnz .LBB102_23
; %bb.22:                               ;   in Loop: Header=BB102_6 Depth=1
	global_store_b64 v[0:1], v[2:3], off
.LBB102_23:                             ;   in Loop: Header=BB102_6 Depth=1
	s_wait_xcnt 0x0
	s_or_b32 exec_lo, exec_lo, s26
	v_lshl_add_u64 v[0:1], v[10:11], 3, s[16:17]
	s_and_saveexec_b32 s16, s30
	s_cbranch_execz .LBB102_28
; %bb.24:                               ;   in Loop: Header=BB102_6 Depth=1
	v_mov_b64_e32 v[2:3], s[14:15]
	v_mov_b64_e32 v[16:17], s[6:7]
	s_and_not1_b32 vcc_lo, exec_lo, s18
	s_mov_b32 s17, -1
	s_delay_alu instid0(VALU_DEP_2) | instskip(NEXT) | instid1(VALU_DEP_1)
	v_pk_mul_f32 v[2:3], v[26:27], v[2:3] op_sel_hi:[0,1]
	v_pk_fma_f32 v[18:19], v[24:25], v[16:17], v[2:3] op_sel_hi:[0,1,1]
	v_pk_fma_f32 v[2:3], v[24:25], v[16:17], v[2:3] neg_lo:[0,0,1] neg_hi:[0,0,1]
	v_lshl_add_u64 v[16:17], v[4:5], 3, v[0:1]
	s_delay_alu instid0(VALU_DEP_3)
	v_mov_b32_e32 v3, v19
	s_cbranch_vccnz .LBB102_26
; %bb.25:                               ;   in Loop: Header=BB102_6 Depth=1
	global_load_b64 v[18:19], v[16:17], off
	v_mov_b64_e32 v[32:33], s[20:21]
	v_mov_b64_e32 v[34:35], s[2:3]
	s_mov_b32 s17, 0
	s_wait_loadcnt 0x0
	s_delay_alu instid0(VALU_DEP_2) | instskip(NEXT) | instid1(VALU_DEP_1)
	v_pk_mul_f32 v[32:33], v[18:19], v[32:33]
	v_pk_fma_f32 v[36:37], v[18:19], v[34:35], v[32:33] op_sel:[0,0,1] op_sel_hi:[1,1,0]
	v_pk_fma_f32 v[18:19], v[18:19], v[34:35], v[32:33] op_sel:[0,0,1] op_sel_hi:[1,1,0] neg_lo:[0,0,1] neg_hi:[0,0,1]
	s_delay_alu instid0(VALU_DEP_2) | instskip(NEXT) | instid1(VALU_DEP_1)
	v_mov_b32_e32 v19, v37
	v_pk_add_f32 v[18:19], v[2:3], v[18:19]
	global_store_b64 v[16:17], v[18:19], off
.LBB102_26:                             ;   in Loop: Header=BB102_6 Depth=1
	s_and_not1_b32 vcc_lo, exec_lo, s17
	s_cbranch_vccnz .LBB102_28
; %bb.27:                               ;   in Loop: Header=BB102_6 Depth=1
	global_store_b64 v[16:17], v[2:3], off
.LBB102_28:                             ;   in Loop: Header=BB102_6 Depth=1
	s_wait_xcnt 0x0
	s_or_b32 exec_lo, exec_lo, s16
	s_and_saveexec_b32 s16, s4
	s_cbranch_execz .LBB102_5
; %bb.29:                               ;   in Loop: Header=BB102_6 Depth=1
	v_mov_b64_e32 v[2:3], s[14:15]
	v_mov_b64_e32 v[16:17], s[6:7]
	v_lshl_add_u64 v[0:1], v[6:7], 3, v[0:1]
	s_and_not1_b32 vcc_lo, exec_lo, s18
	s_mov_b32 s17, -1
	s_delay_alu instid0(VALU_DEP_3) | instskip(NEXT) | instid1(VALU_DEP_1)
	v_pk_mul_f32 v[2:3], v[22:23], v[2:3] op_sel_hi:[0,1]
	v_pk_fma_f32 v[18:19], v[20:21], v[16:17], v[2:3] op_sel_hi:[0,1,1]
	v_pk_fma_f32 v[2:3], v[20:21], v[16:17], v[2:3] neg_lo:[0,0,1] neg_hi:[0,0,1]
	s_delay_alu instid0(VALU_DEP_2)
	v_mov_b32_e32 v3, v19
	s_cbranch_vccnz .LBB102_31
; %bb.30:                               ;   in Loop: Header=BB102_6 Depth=1
	global_load_b64 v[16:17], v[0:1], off
	v_mov_b64_e32 v[18:19], s[20:21]
	v_mov_b64_e32 v[32:33], s[2:3]
	s_mov_b32 s17, 0
	s_wait_loadcnt 0x0
	s_delay_alu instid0(VALU_DEP_2) | instskip(NEXT) | instid1(VALU_DEP_1)
	v_pk_mul_f32 v[18:19], v[16:17], v[18:19]
	v_pk_fma_f32 v[34:35], v[16:17], v[32:33], v[18:19] op_sel:[0,0,1] op_sel_hi:[1,1,0]
	v_pk_fma_f32 v[16:17], v[16:17], v[32:33], v[18:19] op_sel:[0,0,1] op_sel_hi:[1,1,0] neg_lo:[0,0,1] neg_hi:[0,0,1]
	s_delay_alu instid0(VALU_DEP_2) | instskip(NEXT) | instid1(VALU_DEP_1)
	v_mov_b32_e32 v17, v35
	v_pk_add_f32 v[16:17], v[2:3], v[16:17]
	global_store_b64 v[0:1], v[16:17], off
.LBB102_31:                             ;   in Loop: Header=BB102_6 Depth=1
	s_and_not1_b32 vcc_lo, exec_lo, s17
	s_cbranch_vccnz .LBB102_5
; %bb.32:                               ;   in Loop: Header=BB102_6 Depth=1
	global_store_b64 v[0:1], v[2:3], off
	s_branch .LBB102_5
.LBB102_33:
	s_endpgm
	.section	.rodata,"a",@progbits
	.p2align	6, 0x0
	.amdhsa_kernel _ZL29rocblas_internal_gemmt_kernelIiLi16ELi32ELi8ELc84ELc78ELc76ELb0ELb0E19rocblas_complex_numIfES1_PKS1_PS1_EviT_T9_T10_S5_lS7_S5_lS6_T11_S5_li
		.amdhsa_group_segment_fixed_size 4096
		.amdhsa_private_segment_fixed_size 0
		.amdhsa_kernarg_size 100
		.amdhsa_user_sgpr_count 2
		.amdhsa_user_sgpr_dispatch_ptr 0
		.amdhsa_user_sgpr_queue_ptr 0
		.amdhsa_user_sgpr_kernarg_segment_ptr 1
		.amdhsa_user_sgpr_dispatch_id 0
		.amdhsa_user_sgpr_kernarg_preload_length 0
		.amdhsa_user_sgpr_kernarg_preload_offset 0
		.amdhsa_user_sgpr_private_segment_size 0
		.amdhsa_wavefront_size32 1
		.amdhsa_uses_dynamic_stack 0
		.amdhsa_enable_private_segment 0
		.amdhsa_system_sgpr_workgroup_id_x 1
		.amdhsa_system_sgpr_workgroup_id_y 1
		.amdhsa_system_sgpr_workgroup_id_z 1
		.amdhsa_system_sgpr_workgroup_info 0
		.amdhsa_system_vgpr_workitem_id 1
		.amdhsa_next_free_vgpr 54
		.amdhsa_next_free_sgpr 35
		.amdhsa_named_barrier_count 0
		.amdhsa_reserve_vcc 1
		.amdhsa_float_round_mode_32 0
		.amdhsa_float_round_mode_16_64 0
		.amdhsa_float_denorm_mode_32 3
		.amdhsa_float_denorm_mode_16_64 3
		.amdhsa_fp16_overflow 0
		.amdhsa_memory_ordered 1
		.amdhsa_forward_progress 1
		.amdhsa_inst_pref_size 25
		.amdhsa_round_robin_scheduling 0
		.amdhsa_exception_fp_ieee_invalid_op 0
		.amdhsa_exception_fp_denorm_src 0
		.amdhsa_exception_fp_ieee_div_zero 0
		.amdhsa_exception_fp_ieee_overflow 0
		.amdhsa_exception_fp_ieee_underflow 0
		.amdhsa_exception_fp_ieee_inexact 0
		.amdhsa_exception_int_div_zero 0
	.end_amdhsa_kernel
	.section	.text._ZL29rocblas_internal_gemmt_kernelIiLi16ELi32ELi8ELc84ELc78ELc76ELb0ELb0E19rocblas_complex_numIfES1_PKS1_PS1_EviT_T9_T10_S5_lS7_S5_lS6_T11_S5_li,"axG",@progbits,_ZL29rocblas_internal_gemmt_kernelIiLi16ELi32ELi8ELc84ELc78ELc76ELb0ELb0E19rocblas_complex_numIfES1_PKS1_PS1_EviT_T9_T10_S5_lS7_S5_lS6_T11_S5_li,comdat
.Lfunc_end102:
	.size	_ZL29rocblas_internal_gemmt_kernelIiLi16ELi32ELi8ELc84ELc78ELc76ELb0ELb0E19rocblas_complex_numIfES1_PKS1_PS1_EviT_T9_T10_S5_lS7_S5_lS6_T11_S5_li, .Lfunc_end102-_ZL29rocblas_internal_gemmt_kernelIiLi16ELi32ELi8ELc84ELc78ELc76ELb0ELb0E19rocblas_complex_numIfES1_PKS1_PS1_EviT_T9_T10_S5_lS7_S5_lS6_T11_S5_li
                                        ; -- End function
	.set _ZL29rocblas_internal_gemmt_kernelIiLi16ELi32ELi8ELc84ELc78ELc76ELb0ELb0E19rocblas_complex_numIfES1_PKS1_PS1_EviT_T9_T10_S5_lS7_S5_lS6_T11_S5_li.num_vgpr, 54
	.set _ZL29rocblas_internal_gemmt_kernelIiLi16ELi32ELi8ELc84ELc78ELc76ELb0ELb0E19rocblas_complex_numIfES1_PKS1_PS1_EviT_T9_T10_S5_lS7_S5_lS6_T11_S5_li.num_agpr, 0
	.set _ZL29rocblas_internal_gemmt_kernelIiLi16ELi32ELi8ELc84ELc78ELc76ELb0ELb0E19rocblas_complex_numIfES1_PKS1_PS1_EviT_T9_T10_S5_lS7_S5_lS6_T11_S5_li.numbered_sgpr, 35
	.set _ZL29rocblas_internal_gemmt_kernelIiLi16ELi32ELi8ELc84ELc78ELc76ELb0ELb0E19rocblas_complex_numIfES1_PKS1_PS1_EviT_T9_T10_S5_lS7_S5_lS6_T11_S5_li.num_named_barrier, 0
	.set _ZL29rocblas_internal_gemmt_kernelIiLi16ELi32ELi8ELc84ELc78ELc76ELb0ELb0E19rocblas_complex_numIfES1_PKS1_PS1_EviT_T9_T10_S5_lS7_S5_lS6_T11_S5_li.private_seg_size, 0
	.set _ZL29rocblas_internal_gemmt_kernelIiLi16ELi32ELi8ELc84ELc78ELc76ELb0ELb0E19rocblas_complex_numIfES1_PKS1_PS1_EviT_T9_T10_S5_lS7_S5_lS6_T11_S5_li.uses_vcc, 1
	.set _ZL29rocblas_internal_gemmt_kernelIiLi16ELi32ELi8ELc84ELc78ELc76ELb0ELb0E19rocblas_complex_numIfES1_PKS1_PS1_EviT_T9_T10_S5_lS7_S5_lS6_T11_S5_li.uses_flat_scratch, 0
	.set _ZL29rocblas_internal_gemmt_kernelIiLi16ELi32ELi8ELc84ELc78ELc76ELb0ELb0E19rocblas_complex_numIfES1_PKS1_PS1_EviT_T9_T10_S5_lS7_S5_lS6_T11_S5_li.has_dyn_sized_stack, 0
	.set _ZL29rocblas_internal_gemmt_kernelIiLi16ELi32ELi8ELc84ELc78ELc76ELb0ELb0E19rocblas_complex_numIfES1_PKS1_PS1_EviT_T9_T10_S5_lS7_S5_lS6_T11_S5_li.has_recursion, 0
	.set _ZL29rocblas_internal_gemmt_kernelIiLi16ELi32ELi8ELc84ELc78ELc76ELb0ELb0E19rocblas_complex_numIfES1_PKS1_PS1_EviT_T9_T10_S5_lS7_S5_lS6_T11_S5_li.has_indirect_call, 0
	.section	.AMDGPU.csdata,"",@progbits
; Kernel info:
; codeLenInByte = 3172
; TotalNumSgprs: 37
; NumVgprs: 54
; ScratchSize: 0
; MemoryBound: 0
; FloatMode: 240
; IeeeMode: 1
; LDSByteSize: 4096 bytes/workgroup (compile time only)
; SGPRBlocks: 0
; VGPRBlocks: 3
; NumSGPRsForWavesPerEU: 37
; NumVGPRsForWavesPerEU: 54
; NamedBarCnt: 0
; Occupancy: 16
; WaveLimiterHint : 0
; COMPUTE_PGM_RSRC2:SCRATCH_EN: 0
; COMPUTE_PGM_RSRC2:USER_SGPR: 2
; COMPUTE_PGM_RSRC2:TRAP_HANDLER: 0
; COMPUTE_PGM_RSRC2:TGID_X_EN: 1
; COMPUTE_PGM_RSRC2:TGID_Y_EN: 1
; COMPUTE_PGM_RSRC2:TGID_Z_EN: 1
; COMPUTE_PGM_RSRC2:TIDIG_COMP_CNT: 1
	.section	.text._ZL29rocblas_internal_gemmt_kernelIiLi16ELi32ELi8ELc84ELc84ELc76ELb0ELb0E19rocblas_complex_numIfES1_PKS1_PS1_EviT_T9_T10_S5_lS7_S5_lS6_T11_S5_li,"axG",@progbits,_ZL29rocblas_internal_gemmt_kernelIiLi16ELi32ELi8ELc84ELc84ELc76ELb0ELb0E19rocblas_complex_numIfES1_PKS1_PS1_EviT_T9_T10_S5_lS7_S5_lS6_T11_S5_li,comdat
	.globl	_ZL29rocblas_internal_gemmt_kernelIiLi16ELi32ELi8ELc84ELc84ELc76ELb0ELb0E19rocblas_complex_numIfES1_PKS1_PS1_EviT_T9_T10_S5_lS7_S5_lS6_T11_S5_li ; -- Begin function _ZL29rocblas_internal_gemmt_kernelIiLi16ELi32ELi8ELc84ELc84ELc76ELb0ELb0E19rocblas_complex_numIfES1_PKS1_PS1_EviT_T9_T10_S5_lS7_S5_lS6_T11_S5_li
	.p2align	8
	.type	_ZL29rocblas_internal_gemmt_kernelIiLi16ELi32ELi8ELc84ELc84ELc76ELb0ELb0E19rocblas_complex_numIfES1_PKS1_PS1_EviT_T9_T10_S5_lS7_S5_lS6_T11_S5_li,@function
_ZL29rocblas_internal_gemmt_kernelIiLi16ELi32ELi8ELc84ELc84ELc76ELb0ELb0E19rocblas_complex_numIfES1_PKS1_PS1_EviT_T9_T10_S5_lS7_S5_lS6_T11_S5_li: ; @_ZL29rocblas_internal_gemmt_kernelIiLi16ELi32ELi8ELc84ELc84ELc76ELb0ELb0E19rocblas_complex_numIfES1_PKS1_PS1_EviT_T9_T10_S5_lS7_S5_lS6_T11_S5_li
; %bb.0:
	s_clause 0x1
	s_load_b64 s[20:21], s[0:1], 0x40
	s_load_b128 s[4:7], s[0:1], 0x0
	s_wait_kmcnt 0x0
	s_cmp_neq_f32 s20, 1.0
	s_cselect_b32 s2, -1, 0
	s_and_b32 s3, s21, 0x7fffffff
	s_delay_alu instid0(SALU_CYCLE_1) | instskip(SKIP_3) | instid1(SALU_CYCLE_1)
	s_cmp_eq_u32 s3, 0
	s_cselect_b32 s15, -1, 0
	s_cmp_lg_u32 s3, 0
	s_cselect_b32 s3, -1, 0
	s_or_b32 s2, s2, s3
	s_delay_alu instid0(SALU_CYCLE_1)
	s_and_b32 vcc_lo, exec_lo, s2
	s_cbranch_vccnz .LBB103_2
; %bb.1:
	s_cmp_lg_u32 s5, 0
	s_cselect_b32 s2, -1, 0
	s_cmp_neq_f32 s6, 0
	s_cselect_b32 s3, -1, 0
	s_cmp_neq_f32 s7, 0
	s_cselect_b32 s8, -1, 0
	s_delay_alu instid0(SALU_CYCLE_1) | instskip(NEXT) | instid1(SALU_CYCLE_1)
	s_or_b32 s3, s3, s8
	s_and_b32 s2, s2, s3
.LBB103_2:
	s_delay_alu instid0(SALU_CYCLE_1)
	s_and_not1_b32 vcc_lo, exec_lo, s2
	s_cbranch_vccnz .LBB103_33
; %bb.3:
	s_load_b32 s30, s[0:1], 0x60
	s_bfe_u32 s2, ttmp6, 0x40014
	s_lshr_b32 s3, ttmp7, 16
	s_add_co_i32 s2, s2, 1
	s_bfe_u32 s9, ttmp6, 0x40008
	s_mul_i32 s8, s3, s2
	s_getreg_b32 s2, hwreg(HW_REG_IB_STS2, 6, 4)
	s_add_co_i32 s9, s9, s8
	s_cmp_eq_u32 s2, 0
	s_mov_b32 s23, 0
	s_cselect_b32 s22, s3, s9
	s_wait_kmcnt 0x0
	s_cmp_ge_u32 s22, s30
	s_cbranch_scc1 .LBB103_33
; %bb.4:
	s_clause 0x2
	s_load_b96 s[16:18], s[0:1], 0x10
	s_load_b32 s26, s[0:1], 0x30
	s_load_b96 s[12:14], s[0:1], 0x48
	v_and_b32_e32 v6, 0x3ff, v0
	v_bfe_u32 v7, v0, 10, 10
	s_clause 0x2
	s_load_b128 s[8:11], s[0:1], 0x20
	s_load_b64 s[28:29], s[0:1], 0x38
	s_load_b64 s[24:25], s[0:1], 0x58
	s_wait_xcnt 0x0
	s_bfe_u32 s1, ttmp6, 0x4000c
	s_bfe_u32 s3, ttmp6, 0x40010
	s_and_b32 s31, ttmp7, 0xffff
	s_add_co_i32 s1, s1, 1
	s_add_co_i32 s3, s3, 1
	v_lshl_add_u32 v1, v7, 4, v6
	s_and_b32 s0, ttmp6, 15
	s_bfe_u32 s33, ttmp6, 0x40004
	s_mul_i32 s1, ttmp9, s1
	s_mul_i32 s34, s31, s3
	s_add_co_i32 s0, s0, s1
	s_add_co_i32 s33, s33, s34
	v_dual_lshrrev_b32 v23, 5, v1 :: v_dual_bitop2_b32 v4, 7, v0 bitop3:0x40
	s_wait_kmcnt 0x0
	s_ashr_i32 s19, s18, 31
	s_ashr_i32 s27, s26, 31
	;; [unrolled: 1-line block ×3, first 2 shown]
	s_cmp_eq_u32 s2, 0
	v_dual_lshrrev_b32 v3, 3, v1 :: v_dual_bitop2_b32 v1, 31, v1 bitop3:0x40
	s_cselect_b32 s0, ttmp9, s0
	s_cselect_b32 s1, s31, s33
	s_lshl_b32 s31, s0, 5
	s_lshl_b32 s33, s1, 5
	s_cmp_neq_f32 s6, 0
	v_dual_add_nc_u32 v2, s33, v3 :: v_dual_bitop2_b32 v0, s31, v1 bitop3:0x54
	v_dual_lshlrev_b32 v1, 3, v1 :: v_dual_lshlrev_b32 v5, 3, v4
	v_mov_b32_e32 v15, 0
	s_cselect_b32 s0, -1, 0
	s_cmp_neq_f32 s7, 0
	s_delay_alu instid0(VALU_DEP_2) | instskip(SKIP_4) | instid1(VALU_DEP_3)
	v_lshl_or_b32 v25, v23, 8, v1
	v_lshl_or_b32 v3, v3, 6, v5
	v_dual_ashrrev_i32 v1, 31, v0 :: v_dual_mov_b32 v5, v15
	v_add_nc_u32_e32 v16, s33, v7
	s_cselect_b32 s1, -1, 0
	v_add_nc_u32_e32 v27, 0x800, v3
	s_or_b32 s36, s0, s1
	v_cmp_gt_i32_e64 s0, s4, v0
	v_mul_u64_e32 v[0:1], s[18:19], v[0:1]
	v_mul_u64_e32 v[18:19], s[26:27], v[4:5]
	v_dual_ashrrev_i32 v3, 31, v2 :: v_dual_add_nc_u32 v20, 16, v16
	v_dual_lshlrev_b32 v5, 3, v6 :: v_dual_add_nc_u32 v6, s31, v6
	v_ashrrev_i32_e32 v17, 31, v16
	s_mov_b32 s2, s14
	s_delay_alu instid0(VALU_DEP_3)
	v_ashrrev_i32_e32 v21, 31, v20
	v_lshl_add_u32 v29, v7, 6, 0x800
	v_add_nc_u32_e32 v8, 16, v6
	v_mul_u64_e32 v[10:11], s[2:3], v[16:17]
	v_ashrrev_i32_e32 v7, 31, v6
	v_mul_u64_e32 v[12:13], s[2:3], v[20:21]
	v_cmp_gt_i32_e64 s1, s4, v2
	v_lshlrev_b64_e32 v[2:3], 3, v[2:3]
	v_dual_ashrrev_i32 v9, 31, v8 :: v_dual_lshlrev_b32 v14, 3, v23
	s_cmp_gt_i32 s5, 0
	v_cmp_le_i32_e32 vcc_lo, v16, v6
	v_cmp_gt_i32_e64 s2, s4, v6
	v_cmp_le_i32_e64 s3, v16, v8
	v_cmp_gt_i32_e64 s4, s4, v8
	s_cselect_b32 s37, -1, 0
	s_cmp_neq_f32 s20, 0
	s_cselect_b32 s14, -1, 0
	s_and_b32 s33, vcc_lo, s2
	s_and_b32 s34, s3, s4
	v_cmp_le_i32_e32 vcc_lo, v20, v6
	v_lshl_add_u64 v[0:1], v[0:1], 3, v[14:15]
	v_lshl_add_u64 v[2:3], v[18:19], 3, v[2:3]
	v_cmp_le_i32_e64 s3, v20, v8
	s_xor_b32 s15, s15, -1
	s_and_b32 s35, vcc_lo, s2
	v_add_nc_u64_e32 v[14:15], s[16:17], v[0:1]
	v_add_nc_u64_e32 v[16:17], s[10:11], v[2:3]
	s_or_b32 s31, s14, s15
	s_and_b32 s4, s3, s4
	s_mov_b32 s2, s20
	s_mov_b32 s3, s20
	s_mov_b32 s20, s21
	s_mov_b32 s14, s7
	s_mov_b32 s15, s6
	s_and_b32 s36, s36, s37
	s_lshl_b64 s[8:9], s[8:9], 3
	s_lshl_b64 s[10:11], s[28:29], 3
	;; [unrolled: 1-line block ×3, first 2 shown]
	s_branch .LBB103_6
.LBB103_5:                              ;   in Loop: Header=BB103_6 Depth=1
	s_wait_xcnt 0x0
	s_or_b32 exec_lo, exec_lo, s18
	s_add_co_i32 s22, s22, 0x10000
	s_delay_alu instid0(SALU_CYCLE_1)
	s_cmp_lt_u32 s22, s30
	s_cbranch_scc0 .LBB103_33
.LBB103_6:                              ; =>This Loop Header: Depth=1
                                        ;     Child Loop BB103_9 Depth 2
	v_dual_mov_b32 v34, 0 :: v_dual_mov_b32 v36, 0
	v_dual_mov_b32 v30, 0 :: v_dual_mov_b32 v32, 0
	;; [unrolled: 1-line block ×4, first 2 shown]
	s_and_not1_b32 vcc_lo, exec_lo, s36
	s_cbranch_vccnz .LBB103_13
; %bb.7:                                ;   in Loop: Header=BB103_6 Depth=1
	v_mad_nc_u64_u32 v[18:19], s8, s22, v[14:15]
	v_mad_nc_u64_u32 v[20:21], s10, s22, v[16:17]
	v_dual_mov_b32 v24, 0 :: v_dual_mov_b32 v22, 0
	v_dual_mov_b32 v28, 0 :: v_dual_mov_b32 v26, 0
	;; [unrolled: 1-line block ×4, first 2 shown]
	s_mov_b32 s18, 0
	v_mad_u32 v19, s9, s22, v19
	v_mad_u32 v21, s11, s22, v21
	s_branch .LBB103_9
.LBB103_8:                              ;   in Loop: Header=BB103_9 Depth=2
	s_wait_xcnt 0x0
	s_or_b32 exec_lo, exec_lo, s19
	s_wait_loadcnt 0x0
	ds_store_b64 v27, v[2:3]
	s_wait_dscnt 0x0
	s_barrier_signal -1
	s_barrier_wait -1
	ds_load_b128 v[38:41], v29
	ds_load_b128 v[42:45], v29 offset:16
	ds_load_b128 v[46:49], v29 offset:32
	ds_load_b128 v[0:3], v29 offset:48
	ds_load_2addr_b64 v[50:53], v5 offset1:16
	v_add_nc_u64_e32 v[18:19], 64, v[18:19]
	v_add_nc_u64_e32 v[20:21], s[16:17], v[20:21]
	s_add_co_i32 s18, s18, 8
	s_delay_alu instid0(SALU_CYCLE_1) | instskip(SKIP_2) | instid1(VALU_DEP_1)
	s_cmp_lt_i32 s18, s5
	s_wait_dscnt 0x0
	v_dual_mul_f32 v31, v39, v51 :: v_dual_mul_f32 v33, v38, v51
	v_dual_fma_f32 v31, v38, v50, -v31 :: v_dual_fmac_f32 v33, v39, v50
	s_delay_alu instid0(VALU_DEP_1) | instskip(SKIP_1) | instid1(VALU_DEP_1)
	v_dual_add_f32 v54, v34, v31 :: v_dual_add_f32 v55, v36, v33
	v_dual_mul_f32 v31, v39, v53 :: v_dual_mul_f32 v33, v38, v53
	v_dual_fma_f32 v31, v38, v52, -v31 :: v_dual_fmac_f32 v33, v39, v52
	s_delay_alu instid0(VALU_DEP_1) | instskip(SKIP_3) | instid1(VALU_DEP_1)
	v_dual_add_f32 v38, v30, v31 :: v_dual_add_f32 v39, v32, v33
	ds_load_b128 v[30:33], v29 offset:1024
	s_wait_dscnt 0x0
	v_dual_mul_f32 v34, v31, v51 :: v_dual_mul_f32 v35, v30, v51
	v_dual_fma_f32 v34, v30, v50, -v34 :: v_dual_fmac_f32 v35, v31, v50
	s_delay_alu instid0(VALU_DEP_1) | instskip(SKIP_1) | instid1(VALU_DEP_1)
	v_dual_add_f32 v26, v26, v34 :: v_dual_add_f32 v28, v28, v35
	v_mul_f32_e32 v34, v31, v53
	v_dual_fma_f32 v34, v30, v52, -v34 :: v_dual_mul_f32 v30, v30, v53
	s_delay_alu instid0(VALU_DEP_1) | instskip(NEXT) | instid1(VALU_DEP_1)
	v_fmac_f32_e32 v30, v31, v52
	v_add_f32_e32 v24, v24, v30
	s_delay_alu instid0(VALU_DEP_3) | instskip(SKIP_3) | instid1(VALU_DEP_1)
	v_add_f32_e32 v22, v22, v34
	ds_load_2addr_b64 v[34:37], v5 offset0:32 offset1:48
	s_wait_dscnt 0x0
	v_dual_mul_f32 v30, v41, v35 :: v_dual_mul_f32 v31, v40, v35
	v_dual_fma_f32 v30, v40, v34, -v30 :: v_dual_fmac_f32 v31, v41, v34
	s_delay_alu instid0(VALU_DEP_1) | instskip(SKIP_1) | instid1(VALU_DEP_1)
	v_dual_add_f32 v50, v54, v30 :: v_dual_add_f32 v51, v55, v31
	v_dual_mul_f32 v30, v41, v37 :: v_dual_mul_f32 v31, v40, v37
	v_dual_fma_f32 v30, v40, v36, -v30 :: v_dual_fmac_f32 v31, v41, v36
	s_delay_alu instid0(VALU_DEP_1) | instskip(SKIP_1) | instid1(VALU_DEP_1)
	v_dual_add_f32 v38, v38, v30 :: v_dual_add_f32 v39, v39, v31
	;; [unrolled: 4-line block ×3, first 2 shown]
	v_dual_mul_f32 v30, v33, v37 :: v_dual_mul_f32 v31, v32, v37
	v_dual_fma_f32 v30, v32, v36, -v30 :: v_dual_fmac_f32 v31, v33, v36
	s_delay_alu instid0(VALU_DEP_1) | instskip(SKIP_3) | instid1(VALU_DEP_1)
	v_dual_add_f32 v22, v22, v30 :: v_dual_add_f32 v24, v24, v31
	ds_load_2addr_b64 v[30:33], v5 offset0:64 offset1:80
	s_wait_dscnt 0x0
	v_dual_mul_f32 v34, v43, v31 :: v_dual_mul_f32 v35, v42, v31
	v_dual_fma_f32 v34, v42, v30, -v34 :: v_dual_fmac_f32 v35, v43, v30
	s_delay_alu instid0(VALU_DEP_1) | instskip(SKIP_1) | instid1(VALU_DEP_1)
	v_dual_add_f32 v40, v50, v34 :: v_dual_add_f32 v41, v51, v35
	v_dual_mul_f32 v34, v43, v33 :: v_dual_mul_f32 v35, v42, v33
	v_dual_fma_f32 v34, v42, v32, -v34 :: v_dual_fmac_f32 v35, v43, v32
	s_delay_alu instid0(VALU_DEP_1) | instskip(SKIP_3) | instid1(VALU_DEP_1)
	v_dual_add_f32 v38, v38, v34 :: v_dual_add_f32 v39, v39, v35
	ds_load_b128 v[34:37], v29 offset:1040
	s_wait_dscnt 0x0
	v_dual_mul_f32 v42, v35, v31 :: v_dual_mul_f32 v31, v34, v31
	v_dual_fma_f32 v42, v34, v30, -v42 :: v_dual_fmac_f32 v31, v35, v30
	s_delay_alu instid0(VALU_DEP_1) | instskip(NEXT) | instid1(VALU_DEP_2)
	v_dual_mul_f32 v30, v35, v33 :: v_dual_add_f32 v26, v26, v42
	v_dual_add_f32 v28, v28, v31 :: v_dual_mul_f32 v31, v34, v33
	s_delay_alu instid0(VALU_DEP_1) | instskip(NEXT) | instid1(VALU_DEP_1)
	v_dual_fma_f32 v30, v34, v32, -v30 :: v_dual_fmac_f32 v31, v35, v32
	v_dual_add_f32 v22, v22, v30 :: v_dual_add_f32 v24, v24, v31
	ds_load_2addr_b64 v[30:33], v5 offset0:96 offset1:112
	s_wait_dscnt 0x0
	v_dual_mul_f32 v34, v45, v31 :: v_dual_mul_f32 v35, v44, v31
	s_delay_alu instid0(VALU_DEP_1) | instskip(NEXT) | instid1(VALU_DEP_1)
	v_dual_fma_f32 v34, v44, v30, -v34 :: v_dual_fmac_f32 v35, v45, v30
	v_dual_add_f32 v34, v40, v34 :: v_dual_add_f32 v35, v41, v35
	v_dual_mul_f32 v40, v45, v33 :: v_dual_mul_f32 v41, v44, v33
	s_delay_alu instid0(VALU_DEP_1) | instskip(NEXT) | instid1(VALU_DEP_1)
	v_dual_fma_f32 v40, v44, v32, -v40 :: v_dual_fmac_f32 v41, v45, v32
	v_dual_add_f32 v38, v38, v40 :: v_dual_add_f32 v39, v39, v41
	v_dual_mul_f32 v40, v37, v31 :: v_dual_mul_f32 v31, v36, v31
	s_delay_alu instid0(VALU_DEP_1) | instskip(NEXT) | instid1(VALU_DEP_1)
	v_dual_fma_f32 v40, v36, v30, -v40 :: v_dual_fmac_f32 v31, v37, v30
	v_dual_mul_f32 v30, v37, v33 :: v_dual_add_f32 v26, v26, v40
	s_delay_alu instid0(VALU_DEP_2) | instskip(NEXT) | instid1(VALU_DEP_2)
	v_add_f32_e32 v28, v28, v31
	v_dual_mul_f32 v31, v36, v33 :: v_dual_fma_f32 v30, v36, v32, -v30
	s_delay_alu instid0(VALU_DEP_1) | instskip(NEXT) | instid1(VALU_DEP_1)
	v_dual_fmac_f32 v31, v37, v32 :: v_dual_add_f32 v22, v22, v30
	v_add_f32_e32 v24, v24, v31
	ds_load_2addr_b64 v[30:33], v5 offset0:128 offset1:144
	s_wait_dscnt 0x0
	v_dual_mul_f32 v36, v47, v31 :: v_dual_mul_f32 v37, v46, v31
	s_delay_alu instid0(VALU_DEP_1) | instskip(NEXT) | instid1(VALU_DEP_1)
	v_dual_fma_f32 v36, v46, v30, -v36 :: v_dual_fmac_f32 v37, v47, v30
	v_dual_add_f32 v40, v34, v36 :: v_dual_add_f32 v41, v35, v37
	v_dual_mul_f32 v34, v47, v33 :: v_dual_mul_f32 v35, v46, v33
	s_delay_alu instid0(VALU_DEP_1) | instskip(NEXT) | instid1(VALU_DEP_1)
	v_dual_fma_f32 v34, v46, v32, -v34 :: v_dual_fmac_f32 v35, v47, v32
	v_dual_add_f32 v38, v38, v34 :: v_dual_add_f32 v39, v39, v35
	ds_load_b128 v[34:37], v29 offset:1056
	s_wait_dscnt 0x0
	v_dual_mul_f32 v42, v35, v31 :: v_dual_mul_f32 v31, v34, v31
	s_delay_alu instid0(VALU_DEP_1) | instskip(NEXT) | instid1(VALU_DEP_1)
	v_dual_fma_f32 v42, v34, v30, -v42 :: v_dual_fmac_f32 v31, v35, v30
	v_dual_mul_f32 v30, v35, v33 :: v_dual_add_f32 v26, v26, v42
	s_delay_alu instid0(VALU_DEP_2) | instskip(NEXT) | instid1(VALU_DEP_1)
	v_dual_add_f32 v28, v28, v31 :: v_dual_mul_f32 v31, v34, v33
	v_dual_fma_f32 v30, v34, v32, -v30 :: v_dual_fmac_f32 v31, v35, v32
	s_delay_alu instid0(VALU_DEP_1) | instskip(SKIP_3) | instid1(VALU_DEP_1)
	v_dual_add_f32 v22, v22, v30 :: v_dual_add_f32 v24, v24, v31
	ds_load_2addr_b64 v[30:33], v5 offset0:160 offset1:176
	s_wait_dscnt 0x0
	v_dual_mul_f32 v34, v49, v31 :: v_dual_mul_f32 v35, v48, v31
	v_dual_fma_f32 v34, v48, v30, -v34 :: v_dual_fmac_f32 v35, v49, v30
	s_delay_alu instid0(VALU_DEP_1) | instskip(SKIP_1) | instid1(VALU_DEP_1)
	v_dual_add_f32 v34, v40, v34 :: v_dual_add_f32 v35, v41, v35
	v_dual_mul_f32 v40, v49, v33 :: v_dual_mul_f32 v41, v48, v33
	v_dual_fma_f32 v40, v48, v32, -v40 :: v_dual_fmac_f32 v41, v49, v32
	s_delay_alu instid0(VALU_DEP_1) | instskip(SKIP_1) | instid1(VALU_DEP_1)
	v_dual_add_f32 v38, v38, v40 :: v_dual_add_f32 v39, v39, v41
	v_dual_mul_f32 v40, v37, v31 :: v_dual_mul_f32 v31, v36, v31
	v_dual_fma_f32 v40, v36, v30, -v40 :: v_dual_fmac_f32 v31, v37, v30
	s_delay_alu instid0(VALU_DEP_1) | instskip(NEXT) | instid1(VALU_DEP_2)
	v_dual_mul_f32 v30, v37, v33 :: v_dual_add_f32 v26, v26, v40
	v_add_f32_e32 v28, v28, v31
	s_delay_alu instid0(VALU_DEP_2) | instskip(NEXT) | instid1(VALU_DEP_1)
	v_dual_mul_f32 v31, v36, v33 :: v_dual_fma_f32 v30, v36, v32, -v30
	v_dual_fmac_f32 v31, v37, v32 :: v_dual_add_f32 v22, v22, v30
	s_delay_alu instid0(VALU_DEP_1) | instskip(SKIP_3) | instid1(VALU_DEP_1)
	v_add_f32_e32 v24, v24, v31
	ds_load_2addr_b64 v[30:33], v5 offset0:192 offset1:208
	s_wait_dscnt 0x0
	v_dual_mul_f32 v36, v1, v31 :: v_dual_mul_f32 v37, v0, v31
	v_dual_fma_f32 v36, v0, v30, -v36 :: v_dual_fmac_f32 v37, v1, v30
	s_delay_alu instid0(VALU_DEP_1) | instskip(SKIP_1) | instid1(VALU_DEP_1)
	v_dual_add_f32 v34, v34, v36 :: v_dual_add_f32 v35, v35, v37
	v_mul_f32_e32 v36, v1, v33
	v_dual_fma_f32 v36, v0, v32, -v36 :: v_dual_mul_f32 v0, v0, v33
	s_delay_alu instid0(VALU_DEP_1) | instskip(NEXT) | instid1(VALU_DEP_2)
	v_fmac_f32_e32 v0, v1, v32
	v_add_f32_e32 v1, v38, v36
	s_delay_alu instid0(VALU_DEP_2) | instskip(SKIP_3) | instid1(VALU_DEP_1)
	v_add_f32_e32 v0, v39, v0
	ds_load_b128 v[36:39], v29 offset:1072
	s_wait_dscnt 0x0
	v_dual_mul_f32 v40, v37, v31 :: v_dual_mul_f32 v31, v36, v31
	v_dual_fma_f32 v40, v36, v30, -v40 :: v_dual_fmac_f32 v31, v37, v30
	s_delay_alu instid0(VALU_DEP_1) | instskip(NEXT) | instid1(VALU_DEP_2)
	v_dual_mul_f32 v30, v37, v33 :: v_dual_add_f32 v26, v26, v40
	v_add_f32_e32 v28, v28, v31
	ds_load_2addr_b64 v[40:43], v5 offset0:224 offset1:240
	v_dual_mul_f32 v31, v36, v33 :: v_dual_fma_f32 v30, v36, v32, -v30
	s_wait_dscnt 0x0
	s_barrier_signal -1
	s_barrier_wait -1
	s_delay_alu instid0(VALU_DEP_1) | instskip(NEXT) | instid1(VALU_DEP_1)
	v_dual_fmac_f32 v31, v37, v32 :: v_dual_add_f32 v22, v22, v30
	v_dual_add_f32 v24, v24, v31 :: v_dual_mul_f32 v30, v3, v41
	s_delay_alu instid0(VALU_DEP_1) | instskip(NEXT) | instid1(VALU_DEP_1)
	v_dual_mul_f32 v31, v2, v41 :: v_dual_fma_f32 v30, v2, v40, -v30
	v_dual_fmac_f32 v31, v3, v40 :: v_dual_add_f32 v34, v34, v30
	s_delay_alu instid0(VALU_DEP_1) | instskip(SKIP_1) | instid1(VALU_DEP_1)
	v_add_f32_e32 v36, v35, v31
	v_mul_f32_e32 v30, v3, v43
	v_dual_fma_f32 v30, v2, v42, -v30 :: v_dual_mul_f32 v2, v2, v43
	s_delay_alu instid0(VALU_DEP_1) | instskip(NEXT) | instid1(VALU_DEP_1)
	v_fmac_f32_e32 v2, v3, v42
	v_dual_add_f32 v32, v0, v2 :: v_dual_mul_f32 v0, v39, v41
	s_delay_alu instid0(VALU_DEP_3) | instskip(NEXT) | instid1(VALU_DEP_1)
	v_dual_add_f32 v30, v1, v30 :: v_dual_mul_f32 v1, v38, v41
	v_dual_fma_f32 v0, v38, v40, -v0 :: v_dual_fmac_f32 v1, v39, v40
	s_delay_alu instid0(VALU_DEP_1) | instskip(NEXT) | instid1(VALU_DEP_2)
	v_dual_add_f32 v26, v26, v0 :: v_dual_mul_f32 v0, v39, v43
	v_dual_add_f32 v28, v28, v1 :: v_dual_mul_f32 v1, v38, v43
	s_delay_alu instid0(VALU_DEP_1) | instskip(NEXT) | instid1(VALU_DEP_1)
	v_dual_fma_f32 v0, v38, v42, -v0 :: v_dual_fmac_f32 v1, v39, v42
	v_dual_add_f32 v22, v22, v0 :: v_dual_add_f32 v24, v24, v1
	s_cbranch_scc0 .LBB103_13
.LBB103_9:                              ;   Parent Loop BB103_6 Depth=1
                                        ; =>  This Inner Loop Header: Depth=2
	v_dual_mov_b32 v1, 0 :: v_dual_add_nc_u32 v0, s18, v23
	s_delay_alu instid0(VALU_DEP_1) | instskip(SKIP_2) | instid1(SALU_CYCLE_1)
	v_cmp_gt_i32_e32 vcc_lo, s5, v0
	v_mov_b32_e32 v0, 0
	s_and_b32 s26, s0, vcc_lo
	s_and_saveexec_b32 s19, s26
	s_cbranch_execz .LBB103_11
; %bb.10:                               ;   in Loop: Header=BB103_9 Depth=2
	global_load_b64 v[0:1], v[18:19], off
.LBB103_11:                             ;   in Loop: Header=BB103_9 Depth=2
	s_wait_xcnt 0x0
	s_or_b32 exec_lo, exec_lo, s19
	v_dual_mov_b32 v3, 0 :: v_dual_add_nc_u32 v2, s18, v4
	s_wait_loadcnt 0x0
	ds_store_b64 v25, v[0:1]
	v_cmp_gt_i32_e32 vcc_lo, s5, v2
	v_mov_b32_e32 v2, 0
	s_and_b32 s26, vcc_lo, s1
	s_delay_alu instid0(SALU_CYCLE_1)
	s_and_saveexec_b32 s19, s26
	s_cbranch_execz .LBB103_8
; %bb.12:                               ;   in Loop: Header=BB103_9 Depth=2
	global_load_b64 v[2:3], v[20:21], off
	s_branch .LBB103_8
.LBB103_13:                             ;   in Loop: Header=BB103_6 Depth=1
	s_mul_u64 s[18:19], s[24:25], s[22:23]
	s_delay_alu instid0(SALU_CYCLE_1) | instskip(NEXT) | instid1(SALU_CYCLE_1)
	s_lshl_b64 s[18:19], s[18:19], 3
	s_add_nc_u64 s[18:19], s[12:13], s[18:19]
	s_delay_alu instid0(SALU_CYCLE_1)
	v_lshl_add_u64 v[0:1], v[10:11], 3, s[18:19]
	s_and_saveexec_b32 s26, s33
	s_cbranch_execz .LBB103_18
; %bb.14:                               ;   in Loop: Header=BB103_6 Depth=1
	v_mov_b64_e32 v[2:3], s[14:15]
	v_mov_b64_e32 v[18:19], s[6:7]
	s_and_b32 vcc_lo, exec_lo, s31
	s_mov_b32 s27, -1
	s_delay_alu instid0(VALU_DEP_2) | instskip(NEXT) | instid1(VALU_DEP_1)
	v_pk_mul_f32 v[2:3], v[36:37], v[2:3] op_sel_hi:[0,1]
	v_pk_fma_f32 v[20:21], v[34:35], v[18:19], v[2:3] op_sel_hi:[0,1,1]
	v_pk_fma_f32 v[2:3], v[34:35], v[18:19], v[2:3] neg_lo:[0,0,1] neg_hi:[0,0,1]
	v_lshl_add_u64 v[18:19], v[6:7], 3, v[0:1]
	s_delay_alu instid0(VALU_DEP_3)
	v_mov_b32_e32 v3, v21
	s_cbranch_vccz .LBB103_16
; %bb.15:                               ;   in Loop: Header=BB103_6 Depth=1
	global_load_b64 v[20:21], v[18:19], off
	v_mov_b64_e32 v[34:35], s[20:21]
	v_mov_b64_e32 v[36:37], s[2:3]
	s_mov_b32 s27, 0
	s_wait_loadcnt 0x0
	s_delay_alu instid0(VALU_DEP_2) | instskip(NEXT) | instid1(VALU_DEP_1)
	v_pk_mul_f32 v[34:35], v[20:21], v[34:35]
	v_pk_fma_f32 v[38:39], v[20:21], v[36:37], v[34:35] op_sel:[0,0,1] op_sel_hi:[1,1,0]
	v_pk_fma_f32 v[20:21], v[20:21], v[36:37], v[34:35] op_sel:[0,0,1] op_sel_hi:[1,1,0] neg_lo:[0,0,1] neg_hi:[0,0,1]
	s_delay_alu instid0(VALU_DEP_2) | instskip(NEXT) | instid1(VALU_DEP_1)
	v_mov_b32_e32 v21, v39
	v_pk_add_f32 v[20:21], v[2:3], v[20:21]
	global_store_b64 v[18:19], v[20:21], off
.LBB103_16:                             ;   in Loop: Header=BB103_6 Depth=1
	s_and_not1_b32 vcc_lo, exec_lo, s27
	s_cbranch_vccnz .LBB103_18
; %bb.17:                               ;   in Loop: Header=BB103_6 Depth=1
	global_store_b64 v[18:19], v[2:3], off
.LBB103_18:                             ;   in Loop: Header=BB103_6 Depth=1
	s_wait_xcnt 0x0
	s_or_b32 exec_lo, exec_lo, s26
	s_and_saveexec_b32 s26, s34
	s_cbranch_execz .LBB103_23
; %bb.19:                               ;   in Loop: Header=BB103_6 Depth=1
	v_mov_b64_e32 v[2:3], s[14:15]
	v_mov_b64_e32 v[18:19], s[6:7]
	v_lshl_add_u64 v[0:1], v[8:9], 3, v[0:1]
	s_and_not1_b32 vcc_lo, exec_lo, s31
	s_mov_b32 s27, -1
	s_delay_alu instid0(VALU_DEP_3) | instskip(NEXT) | instid1(VALU_DEP_1)
	v_pk_mul_f32 v[2:3], v[32:33], v[2:3] op_sel_hi:[0,1]
	v_pk_fma_f32 v[20:21], v[30:31], v[18:19], v[2:3] op_sel_hi:[0,1,1]
	v_pk_fma_f32 v[2:3], v[30:31], v[18:19], v[2:3] neg_lo:[0,0,1] neg_hi:[0,0,1]
	s_delay_alu instid0(VALU_DEP_2)
	v_mov_b32_e32 v3, v21
	s_cbranch_vccnz .LBB103_21
; %bb.20:                               ;   in Loop: Header=BB103_6 Depth=1
	global_load_b64 v[18:19], v[0:1], off
	v_mov_b64_e32 v[20:21], s[20:21]
	v_mov_b64_e32 v[30:31], s[2:3]
	s_mov_b32 s27, 0
	s_wait_loadcnt 0x0
	s_delay_alu instid0(VALU_DEP_2) | instskip(NEXT) | instid1(VALU_DEP_1)
	v_pk_mul_f32 v[20:21], v[18:19], v[20:21]
	v_pk_fma_f32 v[32:33], v[18:19], v[30:31], v[20:21] op_sel:[0,0,1] op_sel_hi:[1,1,0]
	v_pk_fma_f32 v[18:19], v[18:19], v[30:31], v[20:21] op_sel:[0,0,1] op_sel_hi:[1,1,0] neg_lo:[0,0,1] neg_hi:[0,0,1]
	s_delay_alu instid0(VALU_DEP_2) | instskip(NEXT) | instid1(VALU_DEP_1)
	v_mov_b32_e32 v19, v33
	v_pk_add_f32 v[18:19], v[2:3], v[18:19]
	global_store_b64 v[0:1], v[18:19], off
.LBB103_21:                             ;   in Loop: Header=BB103_6 Depth=1
	s_and_not1_b32 vcc_lo, exec_lo, s27
	s_cbranch_vccnz .LBB103_23
; %bb.22:                               ;   in Loop: Header=BB103_6 Depth=1
	global_store_b64 v[0:1], v[2:3], off
.LBB103_23:                             ;   in Loop: Header=BB103_6 Depth=1
	s_wait_xcnt 0x0
	s_or_b32 exec_lo, exec_lo, s26
	v_lshl_add_u64 v[0:1], v[12:13], 3, s[18:19]
	s_and_saveexec_b32 s18, s35
	s_cbranch_execz .LBB103_28
; %bb.24:                               ;   in Loop: Header=BB103_6 Depth=1
	v_mov_b64_e32 v[2:3], s[14:15]
	v_mov_b64_e32 v[18:19], s[6:7]
	s_and_not1_b32 vcc_lo, exec_lo, s31
	s_mov_b32 s19, -1
	s_delay_alu instid0(VALU_DEP_2) | instskip(NEXT) | instid1(VALU_DEP_1)
	v_pk_mul_f32 v[2:3], v[28:29], v[2:3] op_sel_hi:[0,1]
	v_pk_fma_f32 v[20:21], v[26:27], v[18:19], v[2:3] op_sel_hi:[0,1,1]
	v_pk_fma_f32 v[2:3], v[26:27], v[18:19], v[2:3] neg_lo:[0,0,1] neg_hi:[0,0,1]
	v_lshl_add_u64 v[18:19], v[6:7], 3, v[0:1]
	s_delay_alu instid0(VALU_DEP_3)
	v_mov_b32_e32 v3, v21
	s_cbranch_vccnz .LBB103_26
; %bb.25:                               ;   in Loop: Header=BB103_6 Depth=1
	global_load_b64 v[20:21], v[18:19], off
	v_mov_b64_e32 v[30:31], s[20:21]
	v_mov_b64_e32 v[32:33], s[2:3]
	s_mov_b32 s19, 0
	s_wait_loadcnt 0x0
	s_delay_alu instid0(VALU_DEP_2) | instskip(NEXT) | instid1(VALU_DEP_1)
	v_pk_mul_f32 v[30:31], v[20:21], v[30:31]
	v_pk_fma_f32 v[34:35], v[20:21], v[32:33], v[30:31] op_sel:[0,0,1] op_sel_hi:[1,1,0]
	v_pk_fma_f32 v[20:21], v[20:21], v[32:33], v[30:31] op_sel:[0,0,1] op_sel_hi:[1,1,0] neg_lo:[0,0,1] neg_hi:[0,0,1]
	s_delay_alu instid0(VALU_DEP_2) | instskip(NEXT) | instid1(VALU_DEP_1)
	v_mov_b32_e32 v21, v35
	v_pk_add_f32 v[20:21], v[2:3], v[20:21]
	global_store_b64 v[18:19], v[20:21], off
.LBB103_26:                             ;   in Loop: Header=BB103_6 Depth=1
	s_and_not1_b32 vcc_lo, exec_lo, s19
	s_cbranch_vccnz .LBB103_28
; %bb.27:                               ;   in Loop: Header=BB103_6 Depth=1
	global_store_b64 v[18:19], v[2:3], off
.LBB103_28:                             ;   in Loop: Header=BB103_6 Depth=1
	s_wait_xcnt 0x0
	s_or_b32 exec_lo, exec_lo, s18
	s_and_saveexec_b32 s18, s4
	s_cbranch_execz .LBB103_5
; %bb.29:                               ;   in Loop: Header=BB103_6 Depth=1
	v_mov_b64_e32 v[2:3], s[14:15]
	v_mov_b64_e32 v[18:19], s[6:7]
	v_lshl_add_u64 v[0:1], v[8:9], 3, v[0:1]
	s_and_not1_b32 vcc_lo, exec_lo, s31
	s_mov_b32 s19, -1
	s_delay_alu instid0(VALU_DEP_3) | instskip(NEXT) | instid1(VALU_DEP_1)
	v_pk_mul_f32 v[2:3], v[24:25], v[2:3] op_sel_hi:[0,1]
	v_pk_fma_f32 v[20:21], v[22:23], v[18:19], v[2:3] op_sel_hi:[0,1,1]
	v_pk_fma_f32 v[2:3], v[22:23], v[18:19], v[2:3] neg_lo:[0,0,1] neg_hi:[0,0,1]
	s_delay_alu instid0(VALU_DEP_2)
	v_mov_b32_e32 v3, v21
	s_cbranch_vccnz .LBB103_31
; %bb.30:                               ;   in Loop: Header=BB103_6 Depth=1
	global_load_b64 v[18:19], v[0:1], off
	v_mov_b64_e32 v[20:21], s[20:21]
	v_mov_b64_e32 v[30:31], s[2:3]
	s_mov_b32 s19, 0
	s_wait_loadcnt 0x0
	s_delay_alu instid0(VALU_DEP_2) | instskip(NEXT) | instid1(VALU_DEP_1)
	v_pk_mul_f32 v[20:21], v[18:19], v[20:21]
	v_pk_fma_f32 v[32:33], v[18:19], v[30:31], v[20:21] op_sel:[0,0,1] op_sel_hi:[1,1,0]
	v_pk_fma_f32 v[18:19], v[18:19], v[30:31], v[20:21] op_sel:[0,0,1] op_sel_hi:[1,1,0] neg_lo:[0,0,1] neg_hi:[0,0,1]
	s_delay_alu instid0(VALU_DEP_2) | instskip(NEXT) | instid1(VALU_DEP_1)
	v_mov_b32_e32 v19, v33
	v_pk_add_f32 v[18:19], v[2:3], v[18:19]
	global_store_b64 v[0:1], v[18:19], off
.LBB103_31:                             ;   in Loop: Header=BB103_6 Depth=1
	s_and_not1_b32 vcc_lo, exec_lo, s19
	s_cbranch_vccnz .LBB103_5
; %bb.32:                               ;   in Loop: Header=BB103_6 Depth=1
	global_store_b64 v[0:1], v[2:3], off
	s_branch .LBB103_5
.LBB103_33:
	s_endpgm
	.section	.rodata,"a",@progbits
	.p2align	6, 0x0
	.amdhsa_kernel _ZL29rocblas_internal_gemmt_kernelIiLi16ELi32ELi8ELc84ELc84ELc76ELb0ELb0E19rocblas_complex_numIfES1_PKS1_PS1_EviT_T9_T10_S5_lS7_S5_lS6_T11_S5_li
		.amdhsa_group_segment_fixed_size 4096
		.amdhsa_private_segment_fixed_size 0
		.amdhsa_kernarg_size 100
		.amdhsa_user_sgpr_count 2
		.amdhsa_user_sgpr_dispatch_ptr 0
		.amdhsa_user_sgpr_queue_ptr 0
		.amdhsa_user_sgpr_kernarg_segment_ptr 1
		.amdhsa_user_sgpr_dispatch_id 0
		.amdhsa_user_sgpr_kernarg_preload_length 0
		.amdhsa_user_sgpr_kernarg_preload_offset 0
		.amdhsa_user_sgpr_private_segment_size 0
		.amdhsa_wavefront_size32 1
		.amdhsa_uses_dynamic_stack 0
		.amdhsa_enable_private_segment 0
		.amdhsa_system_sgpr_workgroup_id_x 1
		.amdhsa_system_sgpr_workgroup_id_y 1
		.amdhsa_system_sgpr_workgroup_id_z 1
		.amdhsa_system_sgpr_workgroup_info 0
		.amdhsa_system_vgpr_workitem_id 1
		.amdhsa_next_free_vgpr 56
		.amdhsa_next_free_sgpr 38
		.amdhsa_named_barrier_count 0
		.amdhsa_reserve_vcc 1
		.amdhsa_float_round_mode_32 0
		.amdhsa_float_round_mode_16_64 0
		.amdhsa_float_denorm_mode_32 3
		.amdhsa_float_denorm_mode_16_64 3
		.amdhsa_fp16_overflow 0
		.amdhsa_memory_ordered 1
		.amdhsa_forward_progress 1
		.amdhsa_inst_pref_size 25
		.amdhsa_round_robin_scheduling 0
		.amdhsa_exception_fp_ieee_invalid_op 0
		.amdhsa_exception_fp_denorm_src 0
		.amdhsa_exception_fp_ieee_div_zero 0
		.amdhsa_exception_fp_ieee_overflow 0
		.amdhsa_exception_fp_ieee_underflow 0
		.amdhsa_exception_fp_ieee_inexact 0
		.amdhsa_exception_int_div_zero 0
	.end_amdhsa_kernel
	.section	.text._ZL29rocblas_internal_gemmt_kernelIiLi16ELi32ELi8ELc84ELc84ELc76ELb0ELb0E19rocblas_complex_numIfES1_PKS1_PS1_EviT_T9_T10_S5_lS7_S5_lS6_T11_S5_li,"axG",@progbits,_ZL29rocblas_internal_gemmt_kernelIiLi16ELi32ELi8ELc84ELc84ELc76ELb0ELb0E19rocblas_complex_numIfES1_PKS1_PS1_EviT_T9_T10_S5_lS7_S5_lS6_T11_S5_li,comdat
.Lfunc_end103:
	.size	_ZL29rocblas_internal_gemmt_kernelIiLi16ELi32ELi8ELc84ELc84ELc76ELb0ELb0E19rocblas_complex_numIfES1_PKS1_PS1_EviT_T9_T10_S5_lS7_S5_lS6_T11_S5_li, .Lfunc_end103-_ZL29rocblas_internal_gemmt_kernelIiLi16ELi32ELi8ELc84ELc84ELc76ELb0ELb0E19rocblas_complex_numIfES1_PKS1_PS1_EviT_T9_T10_S5_lS7_S5_lS6_T11_S5_li
                                        ; -- End function
	.set _ZL29rocblas_internal_gemmt_kernelIiLi16ELi32ELi8ELc84ELc84ELc76ELb0ELb0E19rocblas_complex_numIfES1_PKS1_PS1_EviT_T9_T10_S5_lS7_S5_lS6_T11_S5_li.num_vgpr, 56
	.set _ZL29rocblas_internal_gemmt_kernelIiLi16ELi32ELi8ELc84ELc84ELc76ELb0ELb0E19rocblas_complex_numIfES1_PKS1_PS1_EviT_T9_T10_S5_lS7_S5_lS6_T11_S5_li.num_agpr, 0
	.set _ZL29rocblas_internal_gemmt_kernelIiLi16ELi32ELi8ELc84ELc84ELc76ELb0ELb0E19rocblas_complex_numIfES1_PKS1_PS1_EviT_T9_T10_S5_lS7_S5_lS6_T11_S5_li.numbered_sgpr, 38
	.set _ZL29rocblas_internal_gemmt_kernelIiLi16ELi32ELi8ELc84ELc84ELc76ELb0ELb0E19rocblas_complex_numIfES1_PKS1_PS1_EviT_T9_T10_S5_lS7_S5_lS6_T11_S5_li.num_named_barrier, 0
	.set _ZL29rocblas_internal_gemmt_kernelIiLi16ELi32ELi8ELc84ELc84ELc76ELb0ELb0E19rocblas_complex_numIfES1_PKS1_PS1_EviT_T9_T10_S5_lS7_S5_lS6_T11_S5_li.private_seg_size, 0
	.set _ZL29rocblas_internal_gemmt_kernelIiLi16ELi32ELi8ELc84ELc84ELc76ELb0ELb0E19rocblas_complex_numIfES1_PKS1_PS1_EviT_T9_T10_S5_lS7_S5_lS6_T11_S5_li.uses_vcc, 1
	.set _ZL29rocblas_internal_gemmt_kernelIiLi16ELi32ELi8ELc84ELc84ELc76ELb0ELb0E19rocblas_complex_numIfES1_PKS1_PS1_EviT_T9_T10_S5_lS7_S5_lS6_T11_S5_li.uses_flat_scratch, 0
	.set _ZL29rocblas_internal_gemmt_kernelIiLi16ELi32ELi8ELc84ELc84ELc76ELb0ELb0E19rocblas_complex_numIfES1_PKS1_PS1_EviT_T9_T10_S5_lS7_S5_lS6_T11_S5_li.has_dyn_sized_stack, 0
	.set _ZL29rocblas_internal_gemmt_kernelIiLi16ELi32ELi8ELc84ELc84ELc76ELb0ELb0E19rocblas_complex_numIfES1_PKS1_PS1_EviT_T9_T10_S5_lS7_S5_lS6_T11_S5_li.has_recursion, 0
	.set _ZL29rocblas_internal_gemmt_kernelIiLi16ELi32ELi8ELc84ELc84ELc76ELb0ELb0E19rocblas_complex_numIfES1_PKS1_PS1_EviT_T9_T10_S5_lS7_S5_lS6_T11_S5_li.has_indirect_call, 0
	.section	.AMDGPU.csdata,"",@progbits
; Kernel info:
; codeLenInByte = 3152
; TotalNumSgprs: 40
; NumVgprs: 56
; ScratchSize: 0
; MemoryBound: 0
; FloatMode: 240
; IeeeMode: 1
; LDSByteSize: 4096 bytes/workgroup (compile time only)
; SGPRBlocks: 0
; VGPRBlocks: 3
; NumSGPRsForWavesPerEU: 40
; NumVGPRsForWavesPerEU: 56
; NamedBarCnt: 0
; Occupancy: 16
; WaveLimiterHint : 0
; COMPUTE_PGM_RSRC2:SCRATCH_EN: 0
; COMPUTE_PGM_RSRC2:USER_SGPR: 2
; COMPUTE_PGM_RSRC2:TRAP_HANDLER: 0
; COMPUTE_PGM_RSRC2:TGID_X_EN: 1
; COMPUTE_PGM_RSRC2:TGID_Y_EN: 1
; COMPUTE_PGM_RSRC2:TGID_Z_EN: 1
; COMPUTE_PGM_RSRC2:TIDIG_COMP_CNT: 1
	.section	.text._ZL29rocblas_internal_gemmt_kernelIiLi16ELi32ELi8ELc84ELc67ELc76ELb0ELb1E19rocblas_complex_numIfES1_PKS1_PS1_EviT_T9_T10_S5_lS7_S5_lS6_T11_S5_li,"axG",@progbits,_ZL29rocblas_internal_gemmt_kernelIiLi16ELi32ELi8ELc84ELc67ELc76ELb0ELb1E19rocblas_complex_numIfES1_PKS1_PS1_EviT_T9_T10_S5_lS7_S5_lS6_T11_S5_li,comdat
	.globl	_ZL29rocblas_internal_gemmt_kernelIiLi16ELi32ELi8ELc84ELc67ELc76ELb0ELb1E19rocblas_complex_numIfES1_PKS1_PS1_EviT_T9_T10_S5_lS7_S5_lS6_T11_S5_li ; -- Begin function _ZL29rocblas_internal_gemmt_kernelIiLi16ELi32ELi8ELc84ELc67ELc76ELb0ELb1E19rocblas_complex_numIfES1_PKS1_PS1_EviT_T9_T10_S5_lS7_S5_lS6_T11_S5_li
	.p2align	8
	.type	_ZL29rocblas_internal_gemmt_kernelIiLi16ELi32ELi8ELc84ELc67ELc76ELb0ELb1E19rocblas_complex_numIfES1_PKS1_PS1_EviT_T9_T10_S5_lS7_S5_lS6_T11_S5_li,@function
_ZL29rocblas_internal_gemmt_kernelIiLi16ELi32ELi8ELc84ELc67ELc76ELb0ELb1E19rocblas_complex_numIfES1_PKS1_PS1_EviT_T9_T10_S5_lS7_S5_lS6_T11_S5_li: ; @_ZL29rocblas_internal_gemmt_kernelIiLi16ELi32ELi8ELc84ELc67ELc76ELb0ELb1E19rocblas_complex_numIfES1_PKS1_PS1_EviT_T9_T10_S5_lS7_S5_lS6_T11_S5_li
; %bb.0:
	s_clause 0x1
	s_load_b64 s[20:21], s[0:1], 0x40
	s_load_b128 s[4:7], s[0:1], 0x0
	s_wait_kmcnt 0x0
	s_cmp_neq_f32 s20, 1.0
	s_cselect_b32 s2, -1, 0
	s_and_b32 s3, s21, 0x7fffffff
	s_delay_alu instid0(SALU_CYCLE_1) | instskip(SKIP_3) | instid1(SALU_CYCLE_1)
	s_cmp_eq_u32 s3, 0
	s_cselect_b32 s19, -1, 0
	s_cmp_lg_u32 s3, 0
	s_cselect_b32 s3, -1, 0
	s_or_b32 s2, s2, s3
	s_delay_alu instid0(SALU_CYCLE_1)
	s_and_b32 vcc_lo, exec_lo, s2
	s_cbranch_vccnz .LBB104_2
; %bb.1:
	s_cmp_lg_u32 s5, 0
	s_cselect_b32 s2, -1, 0
	s_cmp_neq_f32 s6, 0
	s_cselect_b32 s3, -1, 0
	s_cmp_neq_f32 s7, 0
	s_cselect_b32 s8, -1, 0
	s_delay_alu instid0(SALU_CYCLE_1) | instskip(NEXT) | instid1(SALU_CYCLE_1)
	s_or_b32 s3, s3, s8
	s_and_b32 s2, s2, s3
.LBB104_2:
	s_delay_alu instid0(SALU_CYCLE_1)
	s_and_not1_b32 vcc_lo, exec_lo, s2
	s_cbranch_vccnz .LBB104_35
; %bb.3:
	s_load_b32 s30, s[0:1], 0x60
	s_bfe_u32 s2, ttmp6, 0x40014
	s_lshr_b32 s3, ttmp7, 16
	s_add_co_i32 s2, s2, 1
	s_bfe_u32 s9, ttmp6, 0x40008
	s_mul_i32 s8, s3, s2
	s_getreg_b32 s2, hwreg(HW_REG_IB_STS2, 6, 4)
	s_add_co_i32 s9, s9, s8
	s_cmp_eq_u32 s2, 0
	s_mov_b32 s23, 0
	s_cselect_b32 s22, s3, s9
	s_wait_kmcnt 0x0
	s_cmp_ge_u32 s22, s30
	s_cbranch_scc1 .LBB104_35
; %bb.4:
	s_clause 0x2
	s_load_b96 s[16:18], s[0:1], 0x10
	s_load_b32 s26, s[0:1], 0x30
	s_load_b96 s[12:14], s[0:1], 0x48
	v_and_b32_e32 v6, 0x3ff, v0
	v_bfe_u32 v9, v0, 10, 10
	s_clause 0x2
	s_load_b128 s[8:11], s[0:1], 0x20
	s_load_b64 s[28:29], s[0:1], 0x38
	s_load_b64 s[24:25], s[0:1], 0x58
	s_wait_xcnt 0x0
	s_bfe_u32 s1, ttmp6, 0x4000c
	s_bfe_u32 s3, ttmp6, 0x40010
	s_and_b32 s31, ttmp7, 0xffff
	v_lshl_add_u32 v1, v9, 4, v6
	s_add_co_i32 s1, s1, 1
	s_add_co_i32 s3, s3, 1
	s_and_b32 s0, ttmp6, 15
	s_mul_i32 s1, ttmp9, s1
	s_mul_i32 s33, s31, s3
	s_bfe_u32 s34, ttmp6, 0x40004
	v_dual_lshrrev_b32 v25, 5, v1 :: v_dual_bitop2_b32 v4, 7, v0 bitop3:0x40
	s_add_co_i32 s0, s0, s1
	s_add_co_i32 s34, s34, s33
	s_wait_kmcnt 0x0
	s_ashr_i32 s3, s18, 31
	s_ashr_i32 s27, s26, 31
	;; [unrolled: 1-line block ×3, first 2 shown]
	v_dual_mov_b32 v7, 0 :: v_dual_lshlrev_b32 v8, 3, v4
	s_cmp_eq_u32 s2, 0
	v_dual_lshrrev_b32 v1, 3, v1 :: v_dual_bitop2_b32 v3, 31, v1 bitop3:0x40
	s_cselect_b32 s0, ttmp9, s0
	s_cselect_b32 s1, s31, s34
	s_lshl_b32 s31, s0, 5
	v_mov_b32_e32 v5, v7
	s_lshl_b32 s1, s1, 5
	s_cmp_neq_f32 s6, 0
	v_dual_add_nc_u32 v2, s1, v1 :: v_dual_bitop2_b32 v0, s31, v3 bitop3:0x54
	v_lshlrev_b32_e32 v3, 3, v3
	v_mul_u64_e32 v[16:17], s[26:27], v[4:5]
	s_cselect_b32 s0, -1, 0
	s_cmp_neq_f32 s7, 0
	v_lshl_or_b32 v8, v1, 6, v8
	v_dual_ashrrev_i32 v1, 31, v0 :: v_dual_add_nc_u32 v18, s1, v9
	s_mov_b32 s2, s18
	s_cselect_b32 s18, -1, 0
	v_lshl_or_b32 v5, v25, 8, v3
	s_or_b32 s18, s0, s18
	v_cmp_gt_i32_e64 s0, s4, v0
	v_mul_u64_e32 v[0:1], s[2:3], v[0:1]
	v_dual_add_nc_u32 v20, 16, v18 :: v_dual_ashrrev_i32 v19, 31, v18
	v_ashrrev_i32_e32 v3, 31, v2
	v_add_nc_u32_e32 v27, 0x800, v8
	v_dual_lshlrev_b32 v29, 3, v6 :: v_dual_add_nc_u32 v8, s31, v6
	s_delay_alu instid0(VALU_DEP_4)
	v_ashrrev_i32_e32 v21, 31, v20
	v_mul_u64_e32 v[10:11], s[14:15], v[18:19]
	v_cmp_gt_i32_e32 vcc_lo, s4, v2
	v_lshlrev_b64_e32 v[2:3], 3, v[2:3]
	v_add_nc_u32_e32 v12, 16, v8
	v_mul_u64_e32 v[14:15], s[14:15], v[20:21]
	v_lshl_add_u32 v31, v9, 6, 0x800
	v_dual_ashrrev_i32 v9, 31, v8 :: v_dual_lshlrev_b32 v6, 3, v25
	s_delay_alu instid0(VALU_DEP_4)
	v_ashrrev_i32_e32 v13, 31, v12
	s_cmp_gt_i32 s5, 0
	v_cmp_le_i32_e64 s1, v18, v8
	v_cmp_gt_i32_e64 s2, s4, v8
	v_cmp_le_i32_e64 s3, v18, v12
	v_lshl_add_u64 v[2:3], v[16:17], 3, v[2:3]
	v_cmp_gt_i32_e64 s4, s4, v12
	s_cselect_b32 s35, -1, 0
	s_cmp_neq_f32 s20, 0
	v_add_nc_u64_e32 v[2:3], s[10:11], v[2:3]
	s_mov_b32 s10, s7
	s_cselect_b32 s31, -1, 0
	s_and_b32 s33, s1, s2
	s_and_b32 s34, s3, s4
	v_cmp_le_i32_e64 s1, v20, v8
	v_lshl_add_u64 v[0:1], v[0:1], 3, v[6:7]
	v_cmp_le_i32_e64 s3, v20, v12
	v_add_nc_u64_e32 v[18:19], 4, v[2:3]
	s_xor_b32 s14, s19, -1
	s_and_b32 s1, s1, s2
	v_add_nc_u64_e32 v[16:17], s[16:17], v[0:1]
	s_or_b32 s31, s31, s14
	s_and_b32 s4, s3, s4
	s_mov_b32 s2, s20
	s_mov_b32 s3, s20
	;; [unrolled: 1-line block ×4, first 2 shown]
	s_lshl_b64 s[8:9], s[8:9], 3
	s_and_b32 s35, s18, s35
	s_lshl_b64 s[14:15], s[28:29], 3
	s_lshl_b64 s[16:17], s[26:27], 6
	s_xor_b32 s26, vcc_lo, -1
	s_branch .LBB104_6
.LBB104_5:                              ;   in Loop: Header=BB104_6 Depth=1
	s_wait_xcnt 0x0
	s_or_b32 exec_lo, exec_lo, s18
	s_add_co_i32 s22, s22, 0x10000
	s_delay_alu instid0(SALU_CYCLE_1)
	s_cmp_lt_u32 s22, s30
	s_cbranch_scc0 .LBB104_35
.LBB104_6:                              ; =>This Loop Header: Depth=1
                                        ;     Child Loop BB104_9 Depth 2
	v_dual_mov_b32 v34, 0 :: v_dual_mov_b32 v36, 0
	v_dual_mov_b32 v30, 0 :: v_dual_mov_b32 v32, 0
	;; [unrolled: 1-line block ×4, first 2 shown]
	s_and_not1_b32 vcc_lo, exec_lo, s35
	s_cbranch_vccnz .LBB104_15
; %bb.7:                                ;   in Loop: Header=BB104_6 Depth=1
	v_mad_nc_u64_u32 v[20:21], s8, s22, v[16:17]
	v_mad_nc_u64_u32 v[22:23], s14, s22, v[18:19]
	v_dual_mov_b32 v24, 0 :: v_dual_mov_b32 v6, 0
	v_dual_mov_b32 v28, 0 :: v_dual_mov_b32 v26, 0
	;; [unrolled: 1-line block ×4, first 2 shown]
	s_mov_b32 s18, 0
	v_mad_u32 v21, s9, s22, v21
	v_mad_u32 v23, s15, s22, v23
	s_branch .LBB104_9
.LBB104_8:                              ;   in Loop: Header=BB104_9 Depth=2
	s_wait_xcnt 0x0
	s_or_b32 exec_lo, exec_lo, s19
	ds_store_b32 v27, v0 offset:4
	s_wait_dscnt 0x0
	s_barrier_signal -1
	s_barrier_wait -1
	ds_load_b128 v[38:41], v31
	ds_load_b128 v[42:45], v31 offset:16
	ds_load_b128 v[46:49], v31 offset:32
	;; [unrolled: 1-line block ×3, first 2 shown]
	ds_load_2addr_b64 v[50:53], v29 offset1:16
	v_add_nc_u64_e32 v[20:21], 64, v[20:21]
	v_add_nc_u64_e32 v[22:23], s[16:17], v[22:23]
	s_add_co_i32 s18, s18, 8
	s_delay_alu instid0(SALU_CYCLE_1) | instskip(SKIP_2) | instid1(VALU_DEP_1)
	s_cmp_lt_i32 s18, s5
	s_wait_dscnt 0x0
	v_dual_mul_f32 v33, v39, v51 :: v_dual_mul_f32 v35, v38, v51
	v_dual_fma_f32 v33, v38, v50, -v33 :: v_dual_fmac_f32 v35, v39, v50
	s_delay_alu instid0(VALU_DEP_1) | instskip(SKIP_1) | instid1(VALU_DEP_1)
	v_dual_add_f32 v54, v34, v33 :: v_dual_add_f32 v55, v36, v35
	v_dual_mul_f32 v33, v39, v53 :: v_dual_mul_f32 v34, v38, v53
	v_dual_fma_f32 v33, v38, v52, -v33 :: v_dual_fmac_f32 v34, v39, v52
	s_delay_alu instid0(VALU_DEP_1) | instskip(SKIP_3) | instid1(VALU_DEP_1)
	v_dual_add_f32 v30, v30, v33 :: v_dual_add_f32 v56, v32, v34
	ds_load_b128 v[32:35], v31 offset:1024
	s_wait_dscnt 0x0
	v_dual_mul_f32 v36, v33, v51 :: v_dual_mul_f32 v37, v32, v51
	v_dual_fma_f32 v36, v32, v50, -v36 :: v_dual_fmac_f32 v37, v33, v50
	s_delay_alu instid0(VALU_DEP_1) | instskip(SKIP_1) | instid1(VALU_DEP_1)
	v_dual_add_f32 v26, v26, v36 :: v_dual_add_f32 v28, v28, v37
	v_mul_f32_e32 v36, v33, v53
	v_dual_fma_f32 v36, v32, v52, -v36 :: v_dual_mul_f32 v32, v32, v53
	s_delay_alu instid0(VALU_DEP_1) | instskip(SKIP_3) | instid1(VALU_DEP_1)
	v_add_f32_e32 v6, v6, v36
	ds_load_2addr_b64 v[36:39], v29 offset0:32 offset1:48
	s_wait_dscnt 0x0
	v_dual_fmac_f32 v32, v33, v52 :: v_dual_mul_f32 v33, v40, v37
	v_dual_add_f32 v24, v24, v32 :: v_dual_mul_f32 v32, v41, v37
	s_delay_alu instid0(VALU_DEP_1) | instskip(NEXT) | instid1(VALU_DEP_1)
	v_dual_fmac_f32 v33, v41, v36 :: v_dual_fma_f32 v32, v40, v36, -v32
	v_dual_add_f32 v50, v54, v32 :: v_dual_mul_f32 v32, v41, v39
	s_delay_alu instid0(VALU_DEP_1) | instskip(NEXT) | instid1(VALU_DEP_1)
	v_dual_add_f32 v51, v55, v33 :: v_dual_fma_f32 v32, v40, v38, -v32
	v_dual_mul_f32 v33, v40, v39 :: v_dual_add_f32 v30, v30, v32
	s_delay_alu instid0(VALU_DEP_1) | instskip(NEXT) | instid1(VALU_DEP_1)
	v_dual_fmac_f32 v33, v41, v38 :: v_dual_mul_f32 v32, v35, v37
	v_dual_add_f32 v40, v56, v33 :: v_dual_fma_f32 v32, v34, v36, -v32
	v_mul_f32_e32 v33, v34, v37
	s_delay_alu instid0(VALU_DEP_2) | instskip(NEXT) | instid1(VALU_DEP_1)
	v_dual_add_f32 v26, v26, v32 :: v_dual_mul_f32 v32, v35, v39
	v_dual_fmac_f32 v33, v35, v36 :: v_dual_fma_f32 v32, v34, v38, -v32
	s_delay_alu instid0(VALU_DEP_1) | instskip(NEXT) | instid1(VALU_DEP_1)
	v_dual_add_f32 v28, v28, v33 :: v_dual_mul_f32 v33, v34, v39
	v_dual_add_f32 v6, v6, v32 :: v_dual_fmac_f32 v33, v35, v38
	s_delay_alu instid0(VALU_DEP_1) | instskip(SKIP_3) | instid1(VALU_DEP_1)
	v_add_f32_e32 v24, v24, v33
	ds_load_2addr_b64 v[32:35], v29 offset0:64 offset1:80
	s_wait_dscnt 0x0
	v_dual_mul_f32 v36, v43, v33 :: v_dual_mul_f32 v37, v42, v33
	v_dual_fma_f32 v36, v42, v32, -v36 :: v_dual_fmac_f32 v37, v43, v32
	s_delay_alu instid0(VALU_DEP_1) | instskip(SKIP_1) | instid1(VALU_DEP_1)
	v_dual_add_f32 v41, v50, v36 :: v_dual_add_f32 v50, v51, v37
	v_dual_mul_f32 v36, v43, v35 :: v_dual_mul_f32 v37, v42, v35
	v_dual_fma_f32 v36, v42, v34, -v36 :: v_dual_fmac_f32 v37, v43, v34
	s_delay_alu instid0(VALU_DEP_1) | instskip(SKIP_3) | instid1(VALU_DEP_1)
	v_dual_add_f32 v30, v30, v36 :: v_dual_add_f32 v40, v40, v37
	ds_load_b128 v[36:39], v31 offset:1040
	s_wait_dscnt 0x0
	v_dual_mul_f32 v42, v37, v33 :: v_dual_mul_f32 v33, v36, v33
	v_dual_fma_f32 v42, v36, v32, -v42 :: v_dual_fmac_f32 v33, v37, v32
	s_delay_alu instid0(VALU_DEP_1) | instskip(NEXT) | instid1(VALU_DEP_2)
	v_dual_mul_f32 v32, v37, v35 :: v_dual_add_f32 v26, v26, v42
	v_add_f32_e32 v28, v28, v33
	s_delay_alu instid0(VALU_DEP_2) | instskip(NEXT) | instid1(VALU_DEP_1)
	v_dual_mul_f32 v33, v36, v35 :: v_dual_fma_f32 v32, v36, v34, -v32
	v_dual_fmac_f32 v33, v37, v34 :: v_dual_add_f32 v6, v6, v32
	s_delay_alu instid0(VALU_DEP_1) | instskip(SKIP_3) | instid1(VALU_DEP_1)
	v_add_f32_e32 v24, v24, v33
	ds_load_2addr_b64 v[32:35], v29 offset0:96 offset1:112
	s_wait_dscnt 0x0
	v_dual_mul_f32 v36, v45, v33 :: v_dual_mul_f32 v37, v44, v33
	v_dual_mul_f32 v42, v44, v35 :: v_dual_fma_f32 v36, v44, v32, -v36
	s_delay_alu instid0(VALU_DEP_1) | instskip(NEXT) | instid1(VALU_DEP_1)
	v_dual_fmac_f32 v37, v45, v32 :: v_dual_fmac_f32 v42, v45, v34
	v_dual_add_f32 v36, v41, v36 :: v_dual_add_f32 v37, v50, v37
	s_delay_alu instid0(VALU_DEP_2) | instskip(NEXT) | instid1(VALU_DEP_1)
	v_dual_mul_f32 v41, v45, v35 :: v_dual_add_f32 v40, v40, v42
	v_fma_f32 v41, v44, v34, -v41
	s_delay_alu instid0(VALU_DEP_1) | instskip(SKIP_1) | instid1(VALU_DEP_1)
	v_add_f32_e32 v30, v30, v41
	v_dual_mul_f32 v41, v39, v33 :: v_dual_mul_f32 v33, v38, v33
	v_fmac_f32_e32 v33, v39, v32
	s_delay_alu instid0(VALU_DEP_2) | instskip(NEXT) | instid1(VALU_DEP_2)
	v_dual_fma_f32 v41, v38, v32, -v41 :: v_dual_mul_f32 v32, v39, v35
	v_dual_add_f32 v28, v28, v33 :: v_dual_mul_f32 v33, v38, v35
	s_delay_alu instid0(VALU_DEP_2) | instskip(NEXT) | instid1(VALU_DEP_2)
	v_fma_f32 v32, v38, v34, -v32
	v_dual_add_f32 v26, v26, v41 :: v_dual_fmac_f32 v33, v39, v34
	s_delay_alu instid0(VALU_DEP_1) | instskip(SKIP_3) | instid1(VALU_DEP_1)
	v_dual_add_f32 v6, v6, v32 :: v_dual_add_f32 v24, v24, v33
	ds_load_2addr_b64 v[32:35], v29 offset0:128 offset1:144
	s_wait_dscnt 0x0
	v_dual_mul_f32 v38, v47, v33 :: v_dual_mul_f32 v39, v46, v33
	v_dual_fma_f32 v38, v46, v32, -v38 :: v_dual_fmac_f32 v39, v47, v32
	s_delay_alu instid0(VALU_DEP_1) | instskip(SKIP_1) | instid1(VALU_DEP_1)
	v_dual_add_f32 v41, v36, v38 :: v_dual_add_f32 v42, v37, v39
	v_dual_mul_f32 v36, v47, v35 :: v_dual_mul_f32 v37, v46, v35
	v_dual_fma_f32 v36, v46, v34, -v36 :: v_dual_fmac_f32 v37, v47, v34
	s_delay_alu instid0(VALU_DEP_1) | instskip(SKIP_3) | instid1(VALU_DEP_1)
	v_dual_add_f32 v30, v30, v36 :: v_dual_add_f32 v40, v40, v37
	ds_load_b128 v[36:39], v31 offset:1056
	s_wait_dscnt 0x0
	v_dual_mul_f32 v43, v37, v33 :: v_dual_mul_f32 v33, v36, v33
	v_dual_fma_f32 v43, v36, v32, -v43 :: v_dual_fmac_f32 v33, v37, v32
	v_mul_f32_e32 v32, v37, v35
	s_delay_alu instid0(VALU_DEP_2) | instskip(NEXT) | instid1(VALU_DEP_2)
	v_dual_add_f32 v26, v26, v43 :: v_dual_add_f32 v28, v28, v33
	v_dual_mul_f32 v33, v36, v35 :: v_dual_fma_f32 v32, v36, v34, -v32
	s_delay_alu instid0(VALU_DEP_1) | instskip(NEXT) | instid1(VALU_DEP_1)
	v_dual_fmac_f32 v33, v37, v34 :: v_dual_add_f32 v6, v6, v32
	v_add_f32_e32 v24, v24, v33
	ds_load_2addr_b64 v[32:35], v29 offset0:160 offset1:176
	s_wait_dscnt 0x0
	v_dual_mul_f32 v36, v49, v33 :: v_dual_mul_f32 v37, v48, v33
	s_delay_alu instid0(VALU_DEP_1) | instskip(NEXT) | instid1(VALU_DEP_1)
	v_dual_fma_f32 v36, v48, v32, -v36 :: v_dual_fmac_f32 v37, v49, v32
	v_dual_add_f32 v36, v41, v36 :: v_dual_add_f32 v37, v42, v37
	v_dual_mul_f32 v41, v49, v35 :: v_dual_mul_f32 v42, v48, v35
	s_delay_alu instid0(VALU_DEP_1) | instskip(NEXT) | instid1(VALU_DEP_1)
	v_dual_fma_f32 v41, v48, v34, -v41 :: v_dual_fmac_f32 v42, v49, v34
	v_dual_add_f32 v30, v30, v41 :: v_dual_add_f32 v40, v40, v42
	v_dual_mul_f32 v41, v39, v33 :: v_dual_mul_f32 v33, v38, v33
	s_delay_alu instid0(VALU_DEP_1) | instskip(NEXT) | instid1(VALU_DEP_2)
	v_fmac_f32_e32 v33, v39, v32
	v_dual_fma_f32 v41, v38, v32, -v41 :: v_dual_mul_f32 v32, v39, v35
	s_delay_alu instid0(VALU_DEP_2) | instskip(NEXT) | instid1(VALU_DEP_2)
	v_dual_add_f32 v28, v28, v33 :: v_dual_mul_f32 v33, v38, v35
	v_fma_f32 v32, v38, v34, -v32
	s_delay_alu instid0(VALU_DEP_2) | instskip(NEXT) | instid1(VALU_DEP_1)
	v_dual_add_f32 v26, v26, v41 :: v_dual_fmac_f32 v33, v39, v34
	v_dual_add_f32 v6, v6, v32 :: v_dual_add_f32 v24, v24, v33
	ds_load_2addr_b64 v[32:35], v29 offset0:192 offset1:208
	s_wait_dscnt 0x0
	v_dual_mul_f32 v38, v1, v33 :: v_dual_mul_f32 v39, v0, v33
	s_delay_alu instid0(VALU_DEP_1) | instskip(NEXT) | instid1(VALU_DEP_1)
	v_dual_fma_f32 v38, v0, v32, -v38 :: v_dual_fmac_f32 v39, v1, v32
	v_dual_add_f32 v44, v36, v38 :: v_dual_add_f32 v45, v37, v39
	v_mul_f32_e32 v36, v1, v35
	s_delay_alu instid0(VALU_DEP_1) | instskip(NEXT) | instid1(VALU_DEP_1)
	v_dual_fma_f32 v36, v0, v34, -v36 :: v_dual_mul_f32 v0, v0, v35
	v_dual_fmac_f32 v0, v1, v34 :: v_dual_add_f32 v1, v30, v36
	ds_load_b128 v[36:39], v31 offset:1072
	s_wait_dscnt 0x0
	v_dual_mul_f32 v30, v37, v33 :: v_dual_mul_f32 v33, v36, v33
	s_delay_alu instid0(VALU_DEP_1)
	v_fma_f32 v30, v36, v32, -v30
	v_add_f32_e32 v0, v40, v0
	ds_load_2addr_b64 v[40:43], v29 offset0:224 offset1:240
	v_dual_fmac_f32 v33, v37, v32 :: v_dual_mul_f32 v32, v36, v35
	v_dual_add_f32 v26, v26, v30 :: v_dual_mul_f32 v30, v37, v35
	s_wait_dscnt 0x0
	s_delay_alu instid0(VALU_DEP_2) | instskip(SKIP_1) | instid1(VALU_DEP_2)
	v_dual_add_f32 v28, v28, v33 :: v_dual_fmac_f32 v32, v37, v34
	s_barrier_signal -1
	v_fma_f32 v30, v36, v34, -v30
	s_barrier_wait -1
	s_delay_alu instid0(VALU_DEP_1) | instskip(SKIP_1) | instid1(VALU_DEP_1)
	v_dual_add_f32 v24, v24, v32 :: v_dual_add_f32 v6, v6, v30
	v_dual_mul_f32 v30, v3, v41 :: v_dual_mul_f32 v32, v2, v41
	v_dual_fma_f32 v30, v2, v40, -v30 :: v_dual_fmac_f32 v32, v3, v40
	s_delay_alu instid0(VALU_DEP_1) | instskip(SKIP_1) | instid1(VALU_DEP_1)
	v_dual_add_f32 v34, v44, v30 :: v_dual_add_f32 v36, v45, v32
	v_mul_f32_e32 v30, v3, v43
	v_dual_fma_f32 v30, v2, v42, -v30 :: v_dual_mul_f32 v2, v2, v43
	s_delay_alu instid0(VALU_DEP_1) | instskip(NEXT) | instid1(VALU_DEP_1)
	v_fmac_f32_e32 v2, v3, v42
	v_dual_add_f32 v32, v0, v2 :: v_dual_mul_f32 v0, v39, v41
	s_delay_alu instid0(VALU_DEP_3) | instskip(NEXT) | instid1(VALU_DEP_1)
	v_dual_add_f32 v30, v1, v30 :: v_dual_mul_f32 v1, v38, v41
	v_dual_fma_f32 v0, v38, v40, -v0 :: v_dual_fmac_f32 v1, v39, v40
	s_delay_alu instid0(VALU_DEP_1) | instskip(NEXT) | instid1(VALU_DEP_2)
	v_dual_add_f32 v26, v26, v0 :: v_dual_mul_f32 v0, v39, v43
	v_dual_add_f32 v28, v28, v1 :: v_dual_mul_f32 v1, v38, v43
	s_delay_alu instid0(VALU_DEP_1) | instskip(NEXT) | instid1(VALU_DEP_1)
	v_dual_fma_f32 v0, v38, v42, -v0 :: v_dual_fmac_f32 v1, v39, v42
	v_dual_add_f32 v6, v6, v0 :: v_dual_add_f32 v24, v24, v1
	s_cbranch_scc0 .LBB104_15
.LBB104_9:                              ;   Parent Loop BB104_6 Depth=1
                                        ; =>  This Inner Loop Header: Depth=2
	v_dual_mov_b32 v1, 0 :: v_dual_add_nc_u32 v0, s18, v25
	s_delay_alu instid0(VALU_DEP_1) | instskip(SKIP_2) | instid1(SALU_CYCLE_1)
	v_cmp_gt_i32_e32 vcc_lo, s5, v0
	v_mov_b32_e32 v0, 0
	s_and_b32 s27, s0, vcc_lo
	s_and_saveexec_b32 s19, s27
	s_cbranch_execz .LBB104_11
; %bb.10:                               ;   in Loop: Header=BB104_9 Depth=2
	global_load_b64 v[0:1], v[20:21], off
.LBB104_11:                             ;   in Loop: Header=BB104_9 Depth=2
	s_wait_xcnt 0x0
	s_or_b32 exec_lo, exec_lo, s19
	v_add_nc_u32_e32 v2, s18, v4
	s_wait_loadcnt 0x0
	ds_store_b64 v5, v[0:1]
	v_cmp_le_i32_e32 vcc_lo, s5, v2
	s_or_b32 s19, vcc_lo, s26
	s_delay_alu instid0(SALU_CYCLE_1) | instskip(NEXT) | instid1(SALU_CYCLE_1)
	s_and_saveexec_b32 s27, s19
	s_xor_b32 s19, exec_lo, s27
; %bb.12:                               ;   in Loop: Header=BB104_9 Depth=2
	ds_store_b32 v27, v7
; %bb.13:                               ;   in Loop: Header=BB104_9 Depth=2
	s_or_saveexec_b32 s19, s19
	v_mov_b32_e32 v0, 0
	s_xor_b32 exec_lo, exec_lo, s19
	s_cbranch_execz .LBB104_8
; %bb.14:                               ;   in Loop: Header=BB104_9 Depth=2
	global_load_b64 v[2:3], v[22:23], off offset:-4
	s_wait_loadcnt 0x0
	v_xor_b32_e32 v0, 0x80000000, v3
	ds_store_b32 v27, v2
	s_branch .LBB104_8
.LBB104_15:                             ;   in Loop: Header=BB104_6 Depth=1
	s_mul_u64 s[18:19], s[24:25], s[22:23]
	s_delay_alu instid0(SALU_CYCLE_1) | instskip(NEXT) | instid1(SALU_CYCLE_1)
	s_lshl_b64 s[18:19], s[18:19], 3
	s_add_nc_u64 s[18:19], s[12:13], s[18:19]
	s_delay_alu instid0(SALU_CYCLE_1)
	v_lshl_add_u64 v[0:1], v[10:11], 3, s[18:19]
	s_and_saveexec_b32 s27, s33
	s_cbranch_execz .LBB104_20
; %bb.16:                               ;   in Loop: Header=BB104_6 Depth=1
	v_mov_b64_e32 v[2:3], s[10:11]
	v_mov_b64_e32 v[20:21], s[6:7]
	s_and_b32 vcc_lo, exec_lo, s31
	s_mov_b32 s28, -1
	s_delay_alu instid0(VALU_DEP_2) | instskip(NEXT) | instid1(VALU_DEP_1)
	v_pk_mul_f32 v[2:3], v[36:37], v[2:3] op_sel_hi:[0,1]
	v_pk_fma_f32 v[22:23], v[34:35], v[20:21], v[2:3] op_sel_hi:[0,1,1]
	v_pk_fma_f32 v[2:3], v[34:35], v[20:21], v[2:3] neg_lo:[0,0,1] neg_hi:[0,0,1]
	v_lshl_add_u64 v[20:21], v[8:9], 3, v[0:1]
	s_delay_alu instid0(VALU_DEP_3)
	v_mov_b32_e32 v3, v23
	s_cbranch_vccz .LBB104_18
; %bb.17:                               ;   in Loop: Header=BB104_6 Depth=1
	global_load_b64 v[22:23], v[20:21], off
	v_mov_b64_e32 v[34:35], s[20:21]
	v_mov_b64_e32 v[36:37], s[2:3]
	s_mov_b32 s28, 0
	s_wait_loadcnt 0x0
	s_delay_alu instid0(VALU_DEP_2) | instskip(NEXT) | instid1(VALU_DEP_1)
	v_pk_mul_f32 v[34:35], v[22:23], v[34:35]
	v_pk_fma_f32 v[38:39], v[22:23], v[36:37], v[34:35] op_sel:[0,0,1] op_sel_hi:[1,1,0]
	v_pk_fma_f32 v[22:23], v[22:23], v[36:37], v[34:35] op_sel:[0,0,1] op_sel_hi:[1,1,0] neg_lo:[0,0,1] neg_hi:[0,0,1]
	s_delay_alu instid0(VALU_DEP_2) | instskip(NEXT) | instid1(VALU_DEP_1)
	v_mov_b32_e32 v23, v39
	v_pk_add_f32 v[22:23], v[2:3], v[22:23]
	global_store_b64 v[20:21], v[22:23], off
.LBB104_18:                             ;   in Loop: Header=BB104_6 Depth=1
	s_and_not1_b32 vcc_lo, exec_lo, s28
	s_cbranch_vccnz .LBB104_20
; %bb.19:                               ;   in Loop: Header=BB104_6 Depth=1
	global_store_b64 v[20:21], v[2:3], off
.LBB104_20:                             ;   in Loop: Header=BB104_6 Depth=1
	s_wait_xcnt 0x0
	s_or_b32 exec_lo, exec_lo, s27
	s_and_saveexec_b32 s27, s34
	s_cbranch_execz .LBB104_25
; %bb.21:                               ;   in Loop: Header=BB104_6 Depth=1
	v_mov_b64_e32 v[2:3], s[10:11]
	v_mov_b64_e32 v[20:21], s[6:7]
	v_lshl_add_u64 v[0:1], v[12:13], 3, v[0:1]
	s_and_not1_b32 vcc_lo, exec_lo, s31
	s_mov_b32 s28, -1
	s_delay_alu instid0(VALU_DEP_3) | instskip(NEXT) | instid1(VALU_DEP_1)
	v_pk_mul_f32 v[2:3], v[32:33], v[2:3] op_sel_hi:[0,1]
	v_pk_fma_f32 v[22:23], v[30:31], v[20:21], v[2:3] op_sel_hi:[0,1,1]
	v_pk_fma_f32 v[2:3], v[30:31], v[20:21], v[2:3] neg_lo:[0,0,1] neg_hi:[0,0,1]
	s_delay_alu instid0(VALU_DEP_2)
	v_mov_b32_e32 v3, v23
	s_cbranch_vccnz .LBB104_23
; %bb.22:                               ;   in Loop: Header=BB104_6 Depth=1
	global_load_b64 v[20:21], v[0:1], off
	v_mov_b64_e32 v[22:23], s[20:21]
	v_mov_b64_e32 v[32:33], s[2:3]
	s_mov_b32 s28, 0
	s_wait_loadcnt 0x0
	s_delay_alu instid0(VALU_DEP_2) | instskip(NEXT) | instid1(VALU_DEP_1)
	v_pk_mul_f32 v[22:23], v[20:21], v[22:23]
	v_pk_fma_f32 v[34:35], v[20:21], v[32:33], v[22:23] op_sel:[0,0,1] op_sel_hi:[1,1,0]
	v_pk_fma_f32 v[20:21], v[20:21], v[32:33], v[22:23] op_sel:[0,0,1] op_sel_hi:[1,1,0] neg_lo:[0,0,1] neg_hi:[0,0,1]
	s_delay_alu instid0(VALU_DEP_2) | instskip(NEXT) | instid1(VALU_DEP_1)
	v_mov_b32_e32 v21, v35
	v_pk_add_f32 v[20:21], v[2:3], v[20:21]
	global_store_b64 v[0:1], v[20:21], off
.LBB104_23:                             ;   in Loop: Header=BB104_6 Depth=1
	s_and_not1_b32 vcc_lo, exec_lo, s28
	s_cbranch_vccnz .LBB104_25
; %bb.24:                               ;   in Loop: Header=BB104_6 Depth=1
	global_store_b64 v[0:1], v[2:3], off
.LBB104_25:                             ;   in Loop: Header=BB104_6 Depth=1
	s_wait_xcnt 0x0
	s_or_b32 exec_lo, exec_lo, s27
	v_lshl_add_u64 v[0:1], v[14:15], 3, s[18:19]
	s_and_saveexec_b32 s18, s1
	s_cbranch_execz .LBB104_30
; %bb.26:                               ;   in Loop: Header=BB104_6 Depth=1
	v_mov_b64_e32 v[2:3], s[10:11]
	v_mov_b64_e32 v[20:21], s[6:7]
	s_and_not1_b32 vcc_lo, exec_lo, s31
	s_mov_b32 s19, -1
	s_delay_alu instid0(VALU_DEP_2) | instskip(NEXT) | instid1(VALU_DEP_1)
	v_pk_mul_f32 v[2:3], v[28:29], v[2:3] op_sel_hi:[0,1]
	v_pk_fma_f32 v[22:23], v[26:27], v[20:21], v[2:3] op_sel_hi:[0,1,1]
	v_pk_fma_f32 v[2:3], v[26:27], v[20:21], v[2:3] neg_lo:[0,0,1] neg_hi:[0,0,1]
	v_lshl_add_u64 v[20:21], v[8:9], 3, v[0:1]
	s_delay_alu instid0(VALU_DEP_3)
	v_mov_b32_e32 v3, v23
	s_cbranch_vccnz .LBB104_28
; %bb.27:                               ;   in Loop: Header=BB104_6 Depth=1
	global_load_b64 v[22:23], v[20:21], off
	v_mov_b64_e32 v[32:33], s[20:21]
	v_mov_b64_e32 v[34:35], s[2:3]
	s_mov_b32 s19, 0
	s_wait_loadcnt 0x0
	s_delay_alu instid0(VALU_DEP_2) | instskip(NEXT) | instid1(VALU_DEP_1)
	v_pk_mul_f32 v[32:33], v[22:23], v[32:33]
	v_pk_fma_f32 v[36:37], v[22:23], v[34:35], v[32:33] op_sel:[0,0,1] op_sel_hi:[1,1,0]
	v_pk_fma_f32 v[22:23], v[22:23], v[34:35], v[32:33] op_sel:[0,0,1] op_sel_hi:[1,1,0] neg_lo:[0,0,1] neg_hi:[0,0,1]
	s_delay_alu instid0(VALU_DEP_2) | instskip(NEXT) | instid1(VALU_DEP_1)
	v_mov_b32_e32 v23, v37
	v_pk_add_f32 v[22:23], v[2:3], v[22:23]
	global_store_b64 v[20:21], v[22:23], off
.LBB104_28:                             ;   in Loop: Header=BB104_6 Depth=1
	s_and_not1_b32 vcc_lo, exec_lo, s19
	s_cbranch_vccnz .LBB104_30
; %bb.29:                               ;   in Loop: Header=BB104_6 Depth=1
	global_store_b64 v[20:21], v[2:3], off
.LBB104_30:                             ;   in Loop: Header=BB104_6 Depth=1
	s_wait_xcnt 0x0
	s_or_b32 exec_lo, exec_lo, s18
	s_and_saveexec_b32 s18, s4
	s_cbranch_execz .LBB104_5
; %bb.31:                               ;   in Loop: Header=BB104_6 Depth=1
	v_mov_b64_e32 v[2:3], s[10:11]
	v_mov_b64_e32 v[20:21], s[6:7]
	v_lshl_add_u64 v[0:1], v[12:13], 3, v[0:1]
	s_and_not1_b32 vcc_lo, exec_lo, s31
	s_mov_b32 s19, -1
	s_delay_alu instid0(VALU_DEP_3) | instskip(NEXT) | instid1(VALU_DEP_1)
	v_pk_mul_f32 v[2:3], v[24:25], v[2:3] op_sel_hi:[0,1]
	v_pk_fma_f32 v[22:23], v[6:7], v[20:21], v[2:3] op_sel_hi:[0,1,1]
	v_pk_fma_f32 v[2:3], v[6:7], v[20:21], v[2:3] neg_lo:[0,0,1] neg_hi:[0,0,1]
	s_delay_alu instid0(VALU_DEP_2)
	v_mov_b32_e32 v3, v23
	s_cbranch_vccnz .LBB104_33
; %bb.32:                               ;   in Loop: Header=BB104_6 Depth=1
	global_load_b64 v[20:21], v[0:1], off
	v_mov_b64_e32 v[22:23], s[20:21]
	v_mov_b64_e32 v[32:33], s[2:3]
	s_mov_b32 s19, 0
	s_wait_loadcnt 0x0
	s_delay_alu instid0(VALU_DEP_2) | instskip(NEXT) | instid1(VALU_DEP_1)
	v_pk_mul_f32 v[22:23], v[20:21], v[22:23]
	v_pk_fma_f32 v[34:35], v[20:21], v[32:33], v[22:23] op_sel:[0,0,1] op_sel_hi:[1,1,0]
	v_pk_fma_f32 v[20:21], v[20:21], v[32:33], v[22:23] op_sel:[0,0,1] op_sel_hi:[1,1,0] neg_lo:[0,0,1] neg_hi:[0,0,1]
	s_delay_alu instid0(VALU_DEP_2) | instskip(NEXT) | instid1(VALU_DEP_1)
	v_mov_b32_e32 v21, v35
	v_pk_add_f32 v[20:21], v[2:3], v[20:21]
	global_store_b64 v[0:1], v[20:21], off
.LBB104_33:                             ;   in Loop: Header=BB104_6 Depth=1
	s_and_not1_b32 vcc_lo, exec_lo, s19
	s_cbranch_vccnz .LBB104_5
; %bb.34:                               ;   in Loop: Header=BB104_6 Depth=1
	global_store_b64 v[0:1], v[2:3], off
	s_branch .LBB104_5
.LBB104_35:
	s_endpgm
	.section	.rodata,"a",@progbits
	.p2align	6, 0x0
	.amdhsa_kernel _ZL29rocblas_internal_gemmt_kernelIiLi16ELi32ELi8ELc84ELc67ELc76ELb0ELb1E19rocblas_complex_numIfES1_PKS1_PS1_EviT_T9_T10_S5_lS7_S5_lS6_T11_S5_li
		.amdhsa_group_segment_fixed_size 4096
		.amdhsa_private_segment_fixed_size 0
		.amdhsa_kernarg_size 100
		.amdhsa_user_sgpr_count 2
		.amdhsa_user_sgpr_dispatch_ptr 0
		.amdhsa_user_sgpr_queue_ptr 0
		.amdhsa_user_sgpr_kernarg_segment_ptr 1
		.amdhsa_user_sgpr_dispatch_id 0
		.amdhsa_user_sgpr_kernarg_preload_length 0
		.amdhsa_user_sgpr_kernarg_preload_offset 0
		.amdhsa_user_sgpr_private_segment_size 0
		.amdhsa_wavefront_size32 1
		.amdhsa_uses_dynamic_stack 0
		.amdhsa_enable_private_segment 0
		.amdhsa_system_sgpr_workgroup_id_x 1
		.amdhsa_system_sgpr_workgroup_id_y 1
		.amdhsa_system_sgpr_workgroup_id_z 1
		.amdhsa_system_sgpr_workgroup_info 0
		.amdhsa_system_vgpr_workitem_id 1
		.amdhsa_next_free_vgpr 57
		.amdhsa_next_free_sgpr 36
		.amdhsa_named_barrier_count 0
		.amdhsa_reserve_vcc 1
		.amdhsa_float_round_mode_32 0
		.amdhsa_float_round_mode_16_64 0
		.amdhsa_float_denorm_mode_32 3
		.amdhsa_float_denorm_mode_16_64 3
		.amdhsa_fp16_overflow 0
		.amdhsa_memory_ordered 1
		.amdhsa_forward_progress 1
		.amdhsa_inst_pref_size 26
		.amdhsa_round_robin_scheduling 0
		.amdhsa_exception_fp_ieee_invalid_op 0
		.amdhsa_exception_fp_denorm_src 0
		.amdhsa_exception_fp_ieee_div_zero 0
		.amdhsa_exception_fp_ieee_overflow 0
		.amdhsa_exception_fp_ieee_underflow 0
		.amdhsa_exception_fp_ieee_inexact 0
		.amdhsa_exception_int_div_zero 0
	.end_amdhsa_kernel
	.section	.text._ZL29rocblas_internal_gemmt_kernelIiLi16ELi32ELi8ELc84ELc67ELc76ELb0ELb1E19rocblas_complex_numIfES1_PKS1_PS1_EviT_T9_T10_S5_lS7_S5_lS6_T11_S5_li,"axG",@progbits,_ZL29rocblas_internal_gemmt_kernelIiLi16ELi32ELi8ELc84ELc67ELc76ELb0ELb1E19rocblas_complex_numIfES1_PKS1_PS1_EviT_T9_T10_S5_lS7_S5_lS6_T11_S5_li,comdat
.Lfunc_end104:
	.size	_ZL29rocblas_internal_gemmt_kernelIiLi16ELi32ELi8ELc84ELc67ELc76ELb0ELb1E19rocblas_complex_numIfES1_PKS1_PS1_EviT_T9_T10_S5_lS7_S5_lS6_T11_S5_li, .Lfunc_end104-_ZL29rocblas_internal_gemmt_kernelIiLi16ELi32ELi8ELc84ELc67ELc76ELb0ELb1E19rocblas_complex_numIfES1_PKS1_PS1_EviT_T9_T10_S5_lS7_S5_lS6_T11_S5_li
                                        ; -- End function
	.set _ZL29rocblas_internal_gemmt_kernelIiLi16ELi32ELi8ELc84ELc67ELc76ELb0ELb1E19rocblas_complex_numIfES1_PKS1_PS1_EviT_T9_T10_S5_lS7_S5_lS6_T11_S5_li.num_vgpr, 57
	.set _ZL29rocblas_internal_gemmt_kernelIiLi16ELi32ELi8ELc84ELc67ELc76ELb0ELb1E19rocblas_complex_numIfES1_PKS1_PS1_EviT_T9_T10_S5_lS7_S5_lS6_T11_S5_li.num_agpr, 0
	.set _ZL29rocblas_internal_gemmt_kernelIiLi16ELi32ELi8ELc84ELc67ELc76ELb0ELb1E19rocblas_complex_numIfES1_PKS1_PS1_EviT_T9_T10_S5_lS7_S5_lS6_T11_S5_li.numbered_sgpr, 36
	.set _ZL29rocblas_internal_gemmt_kernelIiLi16ELi32ELi8ELc84ELc67ELc76ELb0ELb1E19rocblas_complex_numIfES1_PKS1_PS1_EviT_T9_T10_S5_lS7_S5_lS6_T11_S5_li.num_named_barrier, 0
	.set _ZL29rocblas_internal_gemmt_kernelIiLi16ELi32ELi8ELc84ELc67ELc76ELb0ELb1E19rocblas_complex_numIfES1_PKS1_PS1_EviT_T9_T10_S5_lS7_S5_lS6_T11_S5_li.private_seg_size, 0
	.set _ZL29rocblas_internal_gemmt_kernelIiLi16ELi32ELi8ELc84ELc67ELc76ELb0ELb1E19rocblas_complex_numIfES1_PKS1_PS1_EviT_T9_T10_S5_lS7_S5_lS6_T11_S5_li.uses_vcc, 1
	.set _ZL29rocblas_internal_gemmt_kernelIiLi16ELi32ELi8ELc84ELc67ELc76ELb0ELb1E19rocblas_complex_numIfES1_PKS1_PS1_EviT_T9_T10_S5_lS7_S5_lS6_T11_S5_li.uses_flat_scratch, 0
	.set _ZL29rocblas_internal_gemmt_kernelIiLi16ELi32ELi8ELc84ELc67ELc76ELb0ELb1E19rocblas_complex_numIfES1_PKS1_PS1_EviT_T9_T10_S5_lS7_S5_lS6_T11_S5_li.has_dyn_sized_stack, 0
	.set _ZL29rocblas_internal_gemmt_kernelIiLi16ELi32ELi8ELc84ELc67ELc76ELb0ELb1E19rocblas_complex_numIfES1_PKS1_PS1_EviT_T9_T10_S5_lS7_S5_lS6_T11_S5_li.has_recursion, 0
	.set _ZL29rocblas_internal_gemmt_kernelIiLi16ELi32ELi8ELc84ELc67ELc76ELb0ELb1E19rocblas_complex_numIfES1_PKS1_PS1_EviT_T9_T10_S5_lS7_S5_lS6_T11_S5_li.has_indirect_call, 0
	.section	.AMDGPU.csdata,"",@progbits
; Kernel info:
; codeLenInByte = 3228
; TotalNumSgprs: 38
; NumVgprs: 57
; ScratchSize: 0
; MemoryBound: 0
; FloatMode: 240
; IeeeMode: 1
; LDSByteSize: 4096 bytes/workgroup (compile time only)
; SGPRBlocks: 0
; VGPRBlocks: 3
; NumSGPRsForWavesPerEU: 38
; NumVGPRsForWavesPerEU: 57
; NamedBarCnt: 0
; Occupancy: 16
; WaveLimiterHint : 0
; COMPUTE_PGM_RSRC2:SCRATCH_EN: 0
; COMPUTE_PGM_RSRC2:USER_SGPR: 2
; COMPUTE_PGM_RSRC2:TRAP_HANDLER: 0
; COMPUTE_PGM_RSRC2:TGID_X_EN: 1
; COMPUTE_PGM_RSRC2:TGID_Y_EN: 1
; COMPUTE_PGM_RSRC2:TGID_Z_EN: 1
; COMPUTE_PGM_RSRC2:TIDIG_COMP_CNT: 1
	.section	.text._ZL29rocblas_internal_gemmt_kernelIiLi16ELi32ELi8ELc67ELc78ELc76ELb1ELb0E19rocblas_complex_numIfES1_PKS1_PS1_EviT_T9_T10_S5_lS7_S5_lS6_T11_S5_li,"axG",@progbits,_ZL29rocblas_internal_gemmt_kernelIiLi16ELi32ELi8ELc67ELc78ELc76ELb1ELb0E19rocblas_complex_numIfES1_PKS1_PS1_EviT_T9_T10_S5_lS7_S5_lS6_T11_S5_li,comdat
	.globl	_ZL29rocblas_internal_gemmt_kernelIiLi16ELi32ELi8ELc67ELc78ELc76ELb1ELb0E19rocblas_complex_numIfES1_PKS1_PS1_EviT_T9_T10_S5_lS7_S5_lS6_T11_S5_li ; -- Begin function _ZL29rocblas_internal_gemmt_kernelIiLi16ELi32ELi8ELc67ELc78ELc76ELb1ELb0E19rocblas_complex_numIfES1_PKS1_PS1_EviT_T9_T10_S5_lS7_S5_lS6_T11_S5_li
	.p2align	8
	.type	_ZL29rocblas_internal_gemmt_kernelIiLi16ELi32ELi8ELc67ELc78ELc76ELb1ELb0E19rocblas_complex_numIfES1_PKS1_PS1_EviT_T9_T10_S5_lS7_S5_lS6_T11_S5_li,@function
_ZL29rocblas_internal_gemmt_kernelIiLi16ELi32ELi8ELc67ELc78ELc76ELb1ELb0E19rocblas_complex_numIfES1_PKS1_PS1_EviT_T9_T10_S5_lS7_S5_lS6_T11_S5_li: ; @_ZL29rocblas_internal_gemmt_kernelIiLi16ELi32ELi8ELc67ELc78ELc76ELb1ELb0E19rocblas_complex_numIfES1_PKS1_PS1_EviT_T9_T10_S5_lS7_S5_lS6_T11_S5_li
; %bb.0:
	s_clause 0x1
	s_load_b64 s[20:21], s[0:1], 0x40
	s_load_b128 s[4:7], s[0:1], 0x0
	s_wait_kmcnt 0x0
	s_cmp_neq_f32 s20, 1.0
	s_cselect_b32 s2, -1, 0
	s_and_b32 s3, s21, 0x7fffffff
	s_delay_alu instid0(SALU_CYCLE_1) | instskip(SKIP_3) | instid1(SALU_CYCLE_1)
	s_cmp_eq_u32 s3, 0
	s_cselect_b32 s28, -1, 0
	s_cmp_lg_u32 s3, 0
	s_cselect_b32 s3, -1, 0
	s_or_b32 s2, s2, s3
	s_delay_alu instid0(SALU_CYCLE_1)
	s_and_b32 vcc_lo, exec_lo, s2
	s_cbranch_vccnz .LBB105_2
; %bb.1:
	s_cmp_lg_u32 s5, 0
	s_cselect_b32 s2, -1, 0
	s_cmp_neq_f32 s6, 0
	s_cselect_b32 s3, -1, 0
	s_cmp_neq_f32 s7, 0
	s_cselect_b32 s8, -1, 0
	s_delay_alu instid0(SALU_CYCLE_1) | instskip(NEXT) | instid1(SALU_CYCLE_1)
	s_or_b32 s3, s3, s8
	s_and_b32 s2, s2, s3
.LBB105_2:
	s_delay_alu instid0(SALU_CYCLE_1)
	s_and_not1_b32 vcc_lo, exec_lo, s2
	s_cbranch_vccnz .LBB105_35
; %bb.3:
	s_load_b32 s19, s[0:1], 0x60
	s_bfe_u32 s2, ttmp6, 0x40014
	s_lshr_b32 s3, ttmp7, 16
	s_add_co_i32 s2, s2, 1
	s_bfe_u32 s8, ttmp6, 0x40008
	s_mul_i32 s2, s3, s2
	s_getreg_b32 s29, hwreg(HW_REG_IB_STS2, 6, 4)
	s_add_co_i32 s8, s8, s2
	s_cmp_eq_u32 s29, 0
	s_mov_b32 s23, 0
	s_cselect_b32 s22, s3, s8
	s_wait_kmcnt 0x0
	s_cmp_ge_u32 s22, s19
	s_cbranch_scc1 .LBB105_35
; %bb.4:
	s_clause 0x2
	s_load_b96 s[16:18], s[0:1], 0x10
	s_load_b32 s2, s[0:1], 0x30
	s_load_b96 s[12:14], s[0:1], 0x48
	v_and_b32_e32 v4, 0x3ff, v0
	v_bfe_u32 v5, v0, 10, 10
	s_clause 0x2
	s_load_b128 s[8:11], s[0:1], 0x20
	s_load_b64 s[26:27], s[0:1], 0x38
	s_load_b64 s[24:25], s[0:1], 0x58
	s_wait_xcnt 0x0
	s_bfe_u32 s1, ttmp6, 0x4000c
	s_bfe_u32 s3, ttmp6, 0x40010
	s_and_b32 s30, ttmp7, 0xffff
	s_add_co_i32 s1, s1, 1
	s_add_co_i32 s3, s3, 1
	v_lshl_add_u32 v1, v5, 4, v4
	s_and_b32 s0, ttmp6, 15
	s_bfe_u32 s31, ttmp6, 0x40004
	s_mul_i32 s33, ttmp9, s1
	s_mul_i32 s34, s30, s3
	s_add_co_i32 s0, s0, s33
	s_add_co_i32 s31, s31, s34
	v_dual_lshrrev_b32 v3, 3, v1 :: v_dual_bitop2_b32 v6, 31, v1 bitop3:0x40
	s_wait_kmcnt 0x0
	s_ashr_i32 s1, s18, 31
	s_ashr_i32 s3, s2, 31
	;; [unrolled: 1-line block ×3, first 2 shown]
	s_cmp_eq_u32 s29, 0
	v_dual_lshrrev_b32 v23, 5, v1 :: v_dual_bitop2_b32 v25, 7, v0 bitop3:0x40
	s_cselect_b32 s0, ttmp9, s0
	s_cselect_b32 s29, s30, s31
	s_lshl_b32 s30, s0, 5
	s_lshl_b32 s29, s29, 5
	s_delay_alu instid0(SALU_CYCLE_1) | instskip(SKIP_2) | instid1(VALU_DEP_2)
	v_dual_add_nc_u32 v2, s29, v3 :: v_dual_bitop2_b32 v0, s30, v6 bitop3:0x54
	s_mov_b32 s0, s18
	v_dual_lshlrev_b32 v6, 3, v6 :: v_dual_add_nc_u32 v12, s29, v5
	v_dual_ashrrev_i32 v1, 31, v0 :: v_dual_lshlrev_b32 v14, 3, v25
	v_cmp_gt_i32_e32 vcc_lo, s4, v0
	s_cmp_neq_f32 s6, 0
	v_lshlrev_b32_e32 v31, 3, v4
	s_delay_alu instid0(VALU_DEP_3)
	v_mul_u64_e32 v[0:1], s[0:1], v[0:1]
	v_lshl_or_b32 v7, v3, 6, v14
	v_ashrrev_i32_e32 v3, 31, v2
	v_cmp_gt_i32_e64 s0, s4, v2
	v_dual_add_nc_u32 v16, 16, v12 :: v_dual_ashrrev_i32 v13, 31, v12
	s_cselect_b32 s31, -1, 0
	v_mul_u64_e32 v[2:3], s[2:3], v[2:3]
	s_cmp_neq_f32 s7, 0
	s_delay_alu instid0(VALU_DEP_2)
	v_ashrrev_i32_e32 v17, 31, v16
	v_add_nc_u32_e32 v4, s30, v4
	v_lshl_or_b32 v27, v23, 8, v6
	s_cselect_b32 s18, -1, 0
	v_add_nc_u32_e32 v29, 0x800, v7
	v_mul_u64_e32 v[6:7], s[14:15], v[12:13]
	v_mov_b32_e32 v13, 0
	v_mul_u64_e32 v[10:11], s[14:15], v[16:17]
	s_or_b32 s31, s31, s18
	s_cmp_gt_i32 s5, 0
	v_cmp_le_i32_e64 s1, v12, v4
	v_cmp_gt_i32_e64 s2, s4, v4
	v_add_nc_u32_e32 v8, 16, v4
	s_cselect_b32 s33, -1, 0
	s_cmp_neq_f32 s20, 0
	v_lshl_add_u32 v33, v5, 6, 0x800
	v_mov_b32_e32 v15, v13
	s_mov_b32 s14, s7
	s_cselect_b32 s3, -1, 0
	s_xor_b32 s18, s28, -1
	s_and_b32 s28, s1, s2
	v_cmp_le_i32_e64 s1, v12, v8
	v_dual_lshlrev_b32 v12, 3, v23 :: v_dual_ashrrev_i32 v5, 31, v4
	v_ashrrev_i32_e32 v9, 31, v8
	s_or_b32 s18, s3, s18
	v_cmp_gt_i32_e64 s3, s4, v8
	s_delay_alu instid0(VALU_DEP_3)
	v_lshl_add_u64 v[0:1], v[0:1], 3, v[12:13]
	v_cmp_le_i32_e64 s4, v16, v4
	s_mov_b32 s15, s6
	v_lshl_add_u64 v[2:3], v[2:3], 3, v[14:15]
	s_and_b32 s29, s1, s3
	v_add_nc_u64_e32 v[0:1], s[16:17], v[0:1]
	v_cmp_le_i32_e64 s1, v16, v8
	s_and_b32 s4, s4, s2
	v_add_nc_u64_e32 v[16:17], s[10:11], v[2:3]
	s_mov_b32 s2, s20
	s_and_b32 s30, s31, s33
	s_and_b32 s1, s1, s3
	v_add_nc_u64_e32 v[14:15], 4, v[0:1]
	s_mov_b32 s3, s20
	s_mov_b32 s20, s21
	s_lshl_b64 s[8:9], s[8:9], 3
	s_lshl_b64 s[10:11], s[26:27], 3
	s_xor_b32 s26, vcc_lo, -1
	s_branch .LBB105_6
.LBB105_5:                              ;   in Loop: Header=BB105_6 Depth=1
	s_wait_xcnt 0x0
	s_or_b32 exec_lo, exec_lo, s16
	s_add_co_i32 s22, s22, 0x10000
	s_delay_alu instid0(SALU_CYCLE_1)
	s_cmp_lt_u32 s22, s19
	s_cbranch_scc0 .LBB105_35
.LBB105_6:                              ; =>This Loop Header: Depth=1
                                        ;     Child Loop BB105_9 Depth 2
	v_dual_mov_b32 v32, 0 :: v_dual_mov_b32 v34, 0
	v_dual_mov_b32 v28, 0 :: v_dual_mov_b32 v30, 0
	;; [unrolled: 1-line block ×4, first 2 shown]
	s_and_not1_b32 vcc_lo, exec_lo, s30
	s_cbranch_vccnz .LBB105_15
; %bb.7:                                ;   in Loop: Header=BB105_6 Depth=1
	v_mad_nc_u64_u32 v[18:19], s8, s22, v[14:15]
	v_mad_nc_u64_u32 v[20:21], s10, s22, v[16:17]
	v_dual_mov_b32 v22, 0 :: v_dual_mov_b32 v12, 0
	v_dual_mov_b32 v26, 0 :: v_dual_mov_b32 v24, 0
	;; [unrolled: 1-line block ×4, first 2 shown]
	s_mov_b32 s16, 0
	v_mad_u32 v19, s9, s22, v19
	v_mad_u32 v21, s11, s22, v21
	s_branch .LBB105_9
.LBB105_8:                              ;   in Loop: Header=BB105_9 Depth=2
	s_wait_xcnt 0x0
	s_or_b32 exec_lo, exec_lo, s17
	s_wait_loadcnt 0x0
	ds_store_b64 v29, v[0:1]
	s_wait_dscnt 0x0
	s_barrier_signal -1
	s_barrier_wait -1
	ds_load_b128 v[36:39], v33
	ds_load_b128 v[40:43], v33 offset:16
	ds_load_b128 v[44:47], v33 offset:32
	ds_load_b128 v[0:3], v33 offset:48
	ds_load_2addr_b64 v[48:51], v31 offset1:16
	v_add_nc_u64_e32 v[18:19], 64, v[18:19]
	v_add_nc_u64_e32 v[20:21], 64, v[20:21]
	s_add_co_i32 s16, s16, 8
	s_delay_alu instid0(SALU_CYCLE_1) | instskip(SKIP_2) | instid1(VALU_DEP_1)
	s_cmp_lt_i32 s16, s5
	s_wait_dscnt 0x0
	v_dual_mul_f32 v35, v37, v49 :: v_dual_mul_f32 v52, v36, v49
	v_dual_fma_f32 v35, v36, v48, -v35 :: v_dual_fmac_f32 v52, v37, v48
	s_delay_alu instid0(VALU_DEP_1) | instskip(SKIP_1) | instid1(VALU_DEP_1)
	v_dual_add_f32 v32, v32, v35 :: v_dual_add_f32 v52, v34, v52
	v_dual_mul_f32 v34, v37, v51 :: v_dual_mul_f32 v35, v36, v51
	v_dual_fma_f32 v34, v36, v50, -v34 :: v_dual_fmac_f32 v35, v37, v50
	s_delay_alu instid0(VALU_DEP_1) | instskip(SKIP_3) | instid1(VALU_DEP_1)
	v_dual_add_f32 v28, v28, v34 :: v_dual_add_f32 v30, v30, v35
	ds_load_b128 v[34:37], v33 offset:1024
	s_wait_dscnt 0x0
	v_dual_mul_f32 v53, v35, v49 :: v_dual_mul_f32 v49, v34, v49
	v_fma_f32 v53, v34, v48, -v53
	s_delay_alu instid0(VALU_DEP_2) | instskip(NEXT) | instid1(VALU_DEP_1)
	v_dual_fmac_f32 v49, v35, v48 :: v_dual_mul_f32 v48, v35, v51
	v_dual_add_f32 v24, v24, v53 :: v_dual_fma_f32 v48, v34, v50, -v48
	v_mul_f32_e32 v34, v34, v51
	s_delay_alu instid0(VALU_DEP_1) | instskip(NEXT) | instid1(VALU_DEP_3)
	v_dual_add_f32 v26, v26, v49 :: v_dual_fmac_f32 v34, v35, v50
	v_add_f32_e32 v12, v12, v48
	ds_load_2addr_b64 v[48:51], v31 offset0:32 offset1:48
	s_wait_dscnt 0x0
	v_dual_add_f32 v22, v22, v34 :: v_dual_mul_f32 v34, v39, v49
	s_delay_alu instid0(VALU_DEP_1) | instskip(NEXT) | instid1(VALU_DEP_1)
	v_dual_mul_f32 v35, v38, v49 :: v_dual_fma_f32 v34, v38, v48, -v34
	v_dual_fmac_f32 v35, v39, v48 :: v_dual_add_f32 v32, v32, v34
	v_mul_f32_e32 v34, v39, v51
	s_delay_alu instid0(VALU_DEP_1) | instskip(NEXT) | instid1(VALU_DEP_1)
	v_dual_add_f32 v52, v52, v35 :: v_dual_fma_f32 v34, v38, v50, -v34
	v_dual_mul_f32 v35, v38, v51 :: v_dual_add_f32 v28, v28, v34
	s_delay_alu instid0(VALU_DEP_1) | instskip(NEXT) | instid1(VALU_DEP_1)
	v_dual_fmac_f32 v35, v39, v50 :: v_dual_mul_f32 v34, v37, v49
	v_dual_add_f32 v30, v30, v35 :: v_dual_fma_f32 v34, v36, v48, -v34
	v_mul_f32_e32 v35, v36, v49
	s_delay_alu instid0(VALU_DEP_2) | instskip(NEXT) | instid1(VALU_DEP_1)
	v_dual_add_f32 v24, v24, v34 :: v_dual_mul_f32 v34, v37, v51
	v_dual_fmac_f32 v35, v37, v48 :: v_dual_fma_f32 v34, v36, v50, -v34
	s_delay_alu instid0(VALU_DEP_1) | instskip(SKIP_1) | instid1(VALU_DEP_1)
	v_add_f32_e32 v26, v26, v35
	v_mul_f32_e32 v35, v36, v51
	v_fmac_f32_e32 v35, v37, v50
	s_delay_alu instid0(VALU_DEP_1) | instskip(SKIP_3) | instid1(VALU_DEP_1)
	v_dual_add_f32 v12, v12, v34 :: v_dual_add_f32 v22, v22, v35
	ds_load_2addr_b64 v[34:37], v31 offset0:64 offset1:80
	s_wait_dscnt 0x0
	v_dual_mul_f32 v38, v41, v35 :: v_dual_mul_f32 v39, v40, v35
	v_dual_fma_f32 v38, v40, v34, -v38 :: v_dual_fmac_f32 v39, v41, v34
	s_delay_alu instid0(VALU_DEP_1) | instskip(SKIP_1) | instid1(VALU_DEP_3)
	v_add_f32_e32 v48, v52, v39
	v_mul_f32_e32 v39, v40, v37
	v_dual_add_f32 v32, v32, v38 :: v_dual_mul_f32 v38, v41, v37
	s_delay_alu instid0(VALU_DEP_1) | instskip(NEXT) | instid1(VALU_DEP_1)
	v_dual_fmac_f32 v39, v41, v36 :: v_dual_fma_f32 v38, v40, v36, -v38
	v_dual_add_f32 v30, v30, v39 :: v_dual_add_f32 v28, v28, v38
	ds_load_b128 v[38:41], v33 offset:1040
	s_wait_dscnt 0x0
	v_dual_mul_f32 v49, v39, v35 :: v_dual_mul_f32 v35, v38, v35
	s_delay_alu instid0(VALU_DEP_1) | instskip(SKIP_1) | instid1(VALU_DEP_2)
	v_dual_fma_f32 v49, v38, v34, -v49 :: v_dual_fmac_f32 v35, v39, v34
	v_mul_f32_e32 v34, v39, v37
	v_dual_add_f32 v24, v24, v49 :: v_dual_add_f32 v26, v26, v35
	s_delay_alu instid0(VALU_DEP_2) | instskip(NEXT) | instid1(VALU_DEP_1)
	v_dual_mul_f32 v35, v38, v37 :: v_dual_fma_f32 v34, v38, v36, -v34
	v_dual_fmac_f32 v35, v39, v36 :: v_dual_add_f32 v12, v12, v34
	s_delay_alu instid0(VALU_DEP_1) | instskip(SKIP_3) | instid1(VALU_DEP_1)
	v_add_f32_e32 v22, v22, v35
	ds_load_2addr_b64 v[34:37], v31 offset0:96 offset1:112
	s_wait_dscnt 0x0
	v_dual_mul_f32 v38, v43, v35 :: v_dual_mul_f32 v39, v42, v35
	v_dual_fma_f32 v38, v42, v34, -v38 :: v_dual_fmac_f32 v39, v43, v34
	s_delay_alu instid0(VALU_DEP_1) | instskip(NEXT) | instid1(VALU_DEP_2)
	v_add_f32_e32 v32, v32, v38
	v_dual_add_f32 v38, v48, v39 :: v_dual_mul_f32 v39, v43, v37
	s_delay_alu instid0(VALU_DEP_1) | instskip(NEXT) | instid1(VALU_DEP_1)
	v_dual_fma_f32 v39, v42, v36, -v39 :: v_dual_mul_f32 v42, v42, v37
	v_dual_add_f32 v28, v28, v39 :: v_dual_fmac_f32 v42, v43, v36
	v_dual_mul_f32 v39, v41, v35 :: v_dual_mul_f32 v35, v40, v35
	s_delay_alu instid0(VALU_DEP_2) | instskip(NEXT) | instid1(VALU_DEP_2)
	v_add_f32_e32 v30, v30, v42
	v_fmac_f32_e32 v35, v41, v34
	s_delay_alu instid0(VALU_DEP_3) | instskip(NEXT) | instid1(VALU_DEP_2)
	v_dual_fma_f32 v39, v40, v34, -v39 :: v_dual_mul_f32 v34, v41, v37
	v_dual_add_f32 v26, v26, v35 :: v_dual_mul_f32 v35, v40, v37
	s_delay_alu instid0(VALU_DEP_2) | instskip(NEXT) | instid1(VALU_DEP_2)
	v_fma_f32 v34, v40, v36, -v34
	v_dual_add_f32 v24, v24, v39 :: v_dual_fmac_f32 v35, v41, v36
	s_delay_alu instid0(VALU_DEP_1) | instskip(SKIP_3) | instid1(VALU_DEP_1)
	v_dual_add_f32 v12, v12, v34 :: v_dual_add_f32 v22, v22, v35
	ds_load_2addr_b64 v[34:37], v31 offset0:128 offset1:144
	s_wait_dscnt 0x0
	v_dual_mul_f32 v39, v45, v35 :: v_dual_mul_f32 v40, v44, v35
	v_dual_fma_f32 v39, v44, v34, -v39 :: v_dual_fmac_f32 v40, v45, v34
	s_delay_alu instid0(VALU_DEP_1) | instskip(SKIP_1) | instid1(VALU_DEP_1)
	v_dual_add_f32 v32, v32, v39 :: v_dual_add_f32 v42, v38, v40
	v_dual_mul_f32 v38, v45, v37 :: v_dual_mul_f32 v39, v44, v37
	v_dual_fma_f32 v38, v44, v36, -v38 :: v_dual_fmac_f32 v39, v45, v36
	s_delay_alu instid0(VALU_DEP_1) | instskip(SKIP_3) | instid1(VALU_DEP_1)
	v_dual_add_f32 v28, v28, v38 :: v_dual_add_f32 v30, v30, v39
	ds_load_b128 v[38:41], v33 offset:1056
	s_wait_dscnt 0x0
	v_dual_mul_f32 v43, v39, v35 :: v_dual_mul_f32 v35, v38, v35
	v_fma_f32 v43, v38, v34, -v43
	s_delay_alu instid0(VALU_DEP_2) | instskip(NEXT) | instid1(VALU_DEP_2)
	v_dual_fmac_f32 v35, v39, v34 :: v_dual_mul_f32 v34, v39, v37
	v_add_f32_e32 v24, v24, v43
	s_delay_alu instid0(VALU_DEP_2) | instskip(NEXT) | instid1(VALU_DEP_3)
	v_add_f32_e32 v26, v26, v35
	v_dual_fma_f32 v34, v38, v36, -v34 :: v_dual_mul_f32 v35, v38, v37
	s_delay_alu instid0(VALU_DEP_1) | instskip(NEXT) | instid1(VALU_DEP_1)
	v_dual_fmac_f32 v35, v39, v36 :: v_dual_add_f32 v12, v12, v34
	v_add_f32_e32 v22, v22, v35
	ds_load_2addr_b64 v[34:37], v31 offset0:160 offset1:176
	s_wait_dscnt 0x0
	v_dual_mul_f32 v38, v47, v35 :: v_dual_mul_f32 v39, v46, v35
	s_delay_alu instid0(VALU_DEP_1) | instskip(NEXT) | instid1(VALU_DEP_1)
	v_dual_fma_f32 v38, v46, v34, -v38 :: v_dual_fmac_f32 v39, v47, v34
	v_dual_add_f32 v32, v32, v38 :: v_dual_add_f32 v38, v42, v39
	v_dual_mul_f32 v39, v47, v37 :: v_dual_mul_f32 v42, v46, v37
	s_delay_alu instid0(VALU_DEP_1) | instskip(NEXT) | instid1(VALU_DEP_1)
	v_dual_fma_f32 v39, v46, v36, -v39 :: v_dual_fmac_f32 v42, v47, v36
	v_dual_add_f32 v28, v28, v39 :: v_dual_add_f32 v30, v30, v42
	v_dual_mul_f32 v39, v41, v35 :: v_dual_mul_f32 v35, v40, v35
	s_delay_alu instid0(VALU_DEP_1) | instskip(NEXT) | instid1(VALU_DEP_2)
	v_fmac_f32_e32 v35, v41, v34
	v_dual_fma_f32 v39, v40, v34, -v39 :: v_dual_mul_f32 v34, v41, v37
	s_delay_alu instid0(VALU_DEP_2) | instskip(NEXT) | instid1(VALU_DEP_2)
	v_dual_add_f32 v26, v26, v35 :: v_dual_mul_f32 v35, v40, v37
	v_fma_f32 v34, v40, v36, -v34
	s_delay_alu instid0(VALU_DEP_2) | instskip(NEXT) | instid1(VALU_DEP_1)
	v_dual_add_f32 v24, v24, v39 :: v_dual_fmac_f32 v35, v41, v36
	v_dual_add_f32 v12, v12, v34 :: v_dual_add_f32 v22, v22, v35
	ds_load_2addr_b64 v[34:37], v31 offset0:192 offset1:208
	s_wait_dscnt 0x0
	v_dual_mul_f32 v39, v1, v35 :: v_dual_mul_f32 v40, v0, v35
	s_delay_alu instid0(VALU_DEP_1) | instskip(NEXT) | instid1(VALU_DEP_1)
	v_dual_fma_f32 v39, v0, v34, -v39 :: v_dual_fmac_f32 v40, v1, v34
	v_dual_add_f32 v32, v32, v39 :: v_dual_add_f32 v42, v38, v40
	v_mul_f32_e32 v38, v1, v37
	s_delay_alu instid0(VALU_DEP_1) | instskip(NEXT) | instid1(VALU_DEP_1)
	v_dual_fma_f32 v38, v0, v36, -v38 :: v_dual_mul_f32 v0, v0, v37
	v_dual_fmac_f32 v0, v1, v36 :: v_dual_add_f32 v1, v28, v38
	ds_load_b128 v[38:41], v33 offset:1072
	s_wait_dscnt 0x0
	v_dual_add_f32 v0, v30, v0 :: v_dual_mul_f32 v28, v39, v35
	s_delay_alu instid0(VALU_DEP_1) | instskip(NEXT) | instid1(VALU_DEP_1)
	v_dual_mul_f32 v30, v38, v35 :: v_dual_fma_f32 v28, v38, v34, -v28
	v_dual_fmac_f32 v30, v39, v34 :: v_dual_add_f32 v24, v24, v28
	s_delay_alu instid0(VALU_DEP_1) | instskip(NEXT) | instid1(VALU_DEP_1)
	v_dual_add_f32 v26, v26, v30 :: v_dual_mul_f32 v28, v39, v37
	v_dual_mul_f32 v30, v38, v37 :: v_dual_fma_f32 v28, v38, v36, -v28
	s_delay_alu instid0(VALU_DEP_1)
	v_fmac_f32_e32 v30, v39, v36
	ds_load_2addr_b64 v[36:39], v31 offset0:224 offset1:240
	s_wait_dscnt 0x0
	s_barrier_signal -1
	v_dual_add_f32 v12, v12, v28 :: v_dual_add_f32 v22, v22, v30
	s_barrier_wait -1
	v_dual_mul_f32 v28, v3, v37 :: v_dual_mul_f32 v30, v2, v37
	s_delay_alu instid0(VALU_DEP_1) | instskip(NEXT) | instid1(VALU_DEP_1)
	v_dual_fma_f32 v28, v2, v36, -v28 :: v_dual_fmac_f32 v30, v3, v36
	v_dual_add_f32 v32, v32, v28 :: v_dual_add_f32 v34, v42, v30
	v_mul_f32_e32 v28, v3, v39
	s_delay_alu instid0(VALU_DEP_1) | instskip(NEXT) | instid1(VALU_DEP_1)
	v_dual_fma_f32 v28, v2, v38, -v28 :: v_dual_mul_f32 v2, v2, v39
	v_dual_fmac_f32 v2, v3, v38 :: v_dual_add_f32 v28, v1, v28
	v_mul_f32_e32 v1, v40, v37
	s_delay_alu instid0(VALU_DEP_2) | instskip(NEXT) | instid1(VALU_DEP_1)
	v_dual_add_f32 v30, v0, v2 :: v_dual_mul_f32 v0, v41, v37
	v_dual_fmac_f32 v1, v41, v36 :: v_dual_fma_f32 v0, v40, v36, -v0
	s_delay_alu instid0(VALU_DEP_1) | instskip(NEXT) | instid1(VALU_DEP_2)
	v_dual_add_f32 v26, v26, v1 :: v_dual_mul_f32 v1, v40, v39
	v_dual_add_f32 v24, v24, v0 :: v_dual_mul_f32 v0, v41, v39
	s_delay_alu instid0(VALU_DEP_1) | instskip(NEXT) | instid1(VALU_DEP_1)
	v_dual_fmac_f32 v1, v41, v38 :: v_dual_fma_f32 v0, v40, v38, -v0
	v_dual_add_f32 v22, v22, v1 :: v_dual_add_f32 v12, v12, v0
	s_cbranch_scc0 .LBB105_15
.LBB105_9:                              ;   Parent Loop BB105_6 Depth=1
                                        ; =>  This Inner Loop Header: Depth=2
	v_add_nc_u32_e32 v0, s16, v23
	s_delay_alu instid0(VALU_DEP_1) | instskip(SKIP_1) | instid1(SALU_CYCLE_1)
	v_cmp_le_i32_e32 vcc_lo, s5, v0
	s_or_b32 s17, s26, vcc_lo
	s_and_saveexec_b32 s27, s17
	s_delay_alu instid0(SALU_CYCLE_1)
	s_xor_b32 s17, exec_lo, s27
; %bb.10:                               ;   in Loop: Header=BB105_9 Depth=2
	ds_store_b32 v27, v13
; %bb.11:                               ;   in Loop: Header=BB105_9 Depth=2
	s_or_saveexec_b32 s17, s17
	v_dual_mov_b32 v0, 0 :: v_dual_mov_b32 v2, 0
	s_xor_b32 exec_lo, exec_lo, s17
	s_cbranch_execz .LBB105_13
; %bb.12:                               ;   in Loop: Header=BB105_9 Depth=2
	global_load_b64 v[36:37], v[18:19], off offset:-4
	s_wait_loadcnt 0x0
	v_xor_b32_e32 v2, 0x80000000, v37
	ds_store_b32 v27, v36
.LBB105_13:                             ;   in Loop: Header=BB105_9 Depth=2
	s_wait_xcnt 0x0
	s_or_b32 exec_lo, exec_lo, s17
	v_add_nc_u32_e32 v1, s16, v25
	ds_store_b32 v27, v2 offset:4
	v_cmp_gt_i32_e32 vcc_lo, s5, v1
	v_mov_b32_e32 v1, 0
	s_and_b32 s27, vcc_lo, s0
	s_delay_alu instid0(SALU_CYCLE_1)
	s_and_saveexec_b32 s17, s27
	s_cbranch_execz .LBB105_8
; %bb.14:                               ;   in Loop: Header=BB105_9 Depth=2
	global_load_b64 v[0:1], v[20:21], off
	s_branch .LBB105_8
.LBB105_15:                             ;   in Loop: Header=BB105_6 Depth=1
	s_mul_u64 s[16:17], s[24:25], s[22:23]
	s_delay_alu instid0(SALU_CYCLE_1) | instskip(NEXT) | instid1(SALU_CYCLE_1)
	s_lshl_b64 s[16:17], s[16:17], 3
	s_add_nc_u64 s[16:17], s[12:13], s[16:17]
	s_delay_alu instid0(SALU_CYCLE_1)
	v_lshl_add_u64 v[0:1], v[6:7], 3, s[16:17]
	s_and_saveexec_b32 s27, s28
	s_cbranch_execz .LBB105_20
; %bb.16:                               ;   in Loop: Header=BB105_6 Depth=1
	v_mov_b64_e32 v[2:3], s[14:15]
	v_mov_b64_e32 v[18:19], s[6:7]
	s_and_b32 vcc_lo, exec_lo, s18
	s_mov_b32 s31, -1
	s_delay_alu instid0(VALU_DEP_2) | instskip(NEXT) | instid1(VALU_DEP_1)
	v_pk_mul_f32 v[2:3], v[34:35], v[2:3] op_sel_hi:[0,1]
	v_pk_fma_f32 v[20:21], v[32:33], v[18:19], v[2:3] op_sel_hi:[0,1,1]
	v_pk_fma_f32 v[2:3], v[32:33], v[18:19], v[2:3] neg_lo:[0,0,1] neg_hi:[0,0,1]
	v_lshl_add_u64 v[18:19], v[4:5], 3, v[0:1]
	s_delay_alu instid0(VALU_DEP_3)
	v_mov_b32_e32 v3, v21
	s_cbranch_vccz .LBB105_18
; %bb.17:                               ;   in Loop: Header=BB105_6 Depth=1
	global_load_b64 v[20:21], v[18:19], off
	v_mov_b64_e32 v[34:35], s[20:21]
	v_mov_b64_e32 v[36:37], s[2:3]
	s_mov_b32 s31, 0
	s_wait_loadcnt 0x0
	s_delay_alu instid0(VALU_DEP_2) | instskip(NEXT) | instid1(VALU_DEP_1)
	v_pk_mul_f32 v[34:35], v[20:21], v[34:35]
	v_pk_fma_f32 v[38:39], v[20:21], v[36:37], v[34:35] op_sel:[0,0,1] op_sel_hi:[1,1,0]
	v_pk_fma_f32 v[20:21], v[20:21], v[36:37], v[34:35] op_sel:[0,0,1] op_sel_hi:[1,1,0] neg_lo:[0,0,1] neg_hi:[0,0,1]
	s_delay_alu instid0(VALU_DEP_2) | instskip(NEXT) | instid1(VALU_DEP_1)
	v_mov_b32_e32 v21, v39
	v_pk_add_f32 v[20:21], v[2:3], v[20:21]
	global_store_b64 v[18:19], v[20:21], off
.LBB105_18:                             ;   in Loop: Header=BB105_6 Depth=1
	s_and_not1_b32 vcc_lo, exec_lo, s31
	s_cbranch_vccnz .LBB105_20
; %bb.19:                               ;   in Loop: Header=BB105_6 Depth=1
	global_store_b64 v[18:19], v[2:3], off
.LBB105_20:                             ;   in Loop: Header=BB105_6 Depth=1
	s_wait_xcnt 0x0
	s_or_b32 exec_lo, exec_lo, s27
	s_and_saveexec_b32 s27, s29
	s_cbranch_execz .LBB105_25
; %bb.21:                               ;   in Loop: Header=BB105_6 Depth=1
	v_mov_b64_e32 v[2:3], s[14:15]
	v_mov_b64_e32 v[18:19], s[6:7]
	v_lshl_add_u64 v[0:1], v[8:9], 3, v[0:1]
	s_and_not1_b32 vcc_lo, exec_lo, s18
	s_mov_b32 s31, -1
	s_delay_alu instid0(VALU_DEP_3) | instskip(NEXT) | instid1(VALU_DEP_1)
	v_pk_mul_f32 v[2:3], v[30:31], v[2:3] op_sel_hi:[0,1]
	v_pk_fma_f32 v[20:21], v[28:29], v[18:19], v[2:3] op_sel_hi:[0,1,1]
	v_pk_fma_f32 v[2:3], v[28:29], v[18:19], v[2:3] neg_lo:[0,0,1] neg_hi:[0,0,1]
	s_delay_alu instid0(VALU_DEP_2)
	v_mov_b32_e32 v3, v21
	s_cbranch_vccnz .LBB105_23
; %bb.22:                               ;   in Loop: Header=BB105_6 Depth=1
	global_load_b64 v[18:19], v[0:1], off
	v_mov_b64_e32 v[20:21], s[20:21]
	v_mov_b64_e32 v[34:35], s[2:3]
	s_mov_b32 s31, 0
	s_wait_loadcnt 0x0
	s_delay_alu instid0(VALU_DEP_2) | instskip(NEXT) | instid1(VALU_DEP_1)
	v_pk_mul_f32 v[20:21], v[18:19], v[20:21]
	v_pk_fma_f32 v[36:37], v[18:19], v[34:35], v[20:21] op_sel:[0,0,1] op_sel_hi:[1,1,0]
	v_pk_fma_f32 v[18:19], v[18:19], v[34:35], v[20:21] op_sel:[0,0,1] op_sel_hi:[1,1,0] neg_lo:[0,0,1] neg_hi:[0,0,1]
	s_delay_alu instid0(VALU_DEP_2) | instskip(NEXT) | instid1(VALU_DEP_1)
	v_mov_b32_e32 v19, v37
	v_pk_add_f32 v[18:19], v[2:3], v[18:19]
	global_store_b64 v[0:1], v[18:19], off
.LBB105_23:                             ;   in Loop: Header=BB105_6 Depth=1
	s_and_not1_b32 vcc_lo, exec_lo, s31
	s_cbranch_vccnz .LBB105_25
; %bb.24:                               ;   in Loop: Header=BB105_6 Depth=1
	global_store_b64 v[0:1], v[2:3], off
.LBB105_25:                             ;   in Loop: Header=BB105_6 Depth=1
	s_wait_xcnt 0x0
	s_or_b32 exec_lo, exec_lo, s27
	v_lshl_add_u64 v[0:1], v[10:11], 3, s[16:17]
	s_and_saveexec_b32 s16, s4
	s_cbranch_execz .LBB105_30
; %bb.26:                               ;   in Loop: Header=BB105_6 Depth=1
	v_mov_b64_e32 v[2:3], s[14:15]
	v_mov_b64_e32 v[18:19], s[6:7]
	s_and_not1_b32 vcc_lo, exec_lo, s18
	s_mov_b32 s17, -1
	s_delay_alu instid0(VALU_DEP_2) | instskip(NEXT) | instid1(VALU_DEP_1)
	v_pk_mul_f32 v[2:3], v[26:27], v[2:3] op_sel_hi:[0,1]
	v_pk_fma_f32 v[20:21], v[24:25], v[18:19], v[2:3] op_sel_hi:[0,1,1]
	v_pk_fma_f32 v[2:3], v[24:25], v[18:19], v[2:3] neg_lo:[0,0,1] neg_hi:[0,0,1]
	v_lshl_add_u64 v[18:19], v[4:5], 3, v[0:1]
	s_delay_alu instid0(VALU_DEP_3)
	v_mov_b32_e32 v3, v21
	s_cbranch_vccnz .LBB105_28
; %bb.27:                               ;   in Loop: Header=BB105_6 Depth=1
	global_load_b64 v[20:21], v[18:19], off
	v_mov_b64_e32 v[34:35], s[20:21]
	v_mov_b64_e32 v[36:37], s[2:3]
	s_mov_b32 s17, 0
	s_wait_loadcnt 0x0
	s_delay_alu instid0(VALU_DEP_2) | instskip(NEXT) | instid1(VALU_DEP_1)
	v_pk_mul_f32 v[34:35], v[20:21], v[34:35]
	v_pk_fma_f32 v[38:39], v[20:21], v[36:37], v[34:35] op_sel:[0,0,1] op_sel_hi:[1,1,0]
	v_pk_fma_f32 v[20:21], v[20:21], v[36:37], v[34:35] op_sel:[0,0,1] op_sel_hi:[1,1,0] neg_lo:[0,0,1] neg_hi:[0,0,1]
	s_delay_alu instid0(VALU_DEP_2) | instskip(NEXT) | instid1(VALU_DEP_1)
	v_mov_b32_e32 v21, v39
	v_pk_add_f32 v[20:21], v[2:3], v[20:21]
	global_store_b64 v[18:19], v[20:21], off
.LBB105_28:                             ;   in Loop: Header=BB105_6 Depth=1
	s_and_not1_b32 vcc_lo, exec_lo, s17
	s_cbranch_vccnz .LBB105_30
; %bb.29:                               ;   in Loop: Header=BB105_6 Depth=1
	global_store_b64 v[18:19], v[2:3], off
.LBB105_30:                             ;   in Loop: Header=BB105_6 Depth=1
	s_wait_xcnt 0x0
	s_or_b32 exec_lo, exec_lo, s16
	s_and_saveexec_b32 s16, s1
	s_cbranch_execz .LBB105_5
; %bb.31:                               ;   in Loop: Header=BB105_6 Depth=1
	v_mov_b64_e32 v[2:3], s[14:15]
	v_mov_b64_e32 v[18:19], s[6:7]
	v_lshl_add_u64 v[0:1], v[8:9], 3, v[0:1]
	s_and_not1_b32 vcc_lo, exec_lo, s18
	s_mov_b32 s17, -1
	s_delay_alu instid0(VALU_DEP_3) | instskip(NEXT) | instid1(VALU_DEP_1)
	v_pk_mul_f32 v[2:3], v[22:23], v[2:3] op_sel_hi:[0,1]
	v_pk_fma_f32 v[20:21], v[12:13], v[18:19], v[2:3] op_sel_hi:[0,1,1]
	v_pk_fma_f32 v[2:3], v[12:13], v[18:19], v[2:3] neg_lo:[0,0,1] neg_hi:[0,0,1]
	s_delay_alu instid0(VALU_DEP_2)
	v_mov_b32_e32 v3, v21
	s_cbranch_vccnz .LBB105_33
; %bb.32:                               ;   in Loop: Header=BB105_6 Depth=1
	global_load_b64 v[18:19], v[0:1], off
	v_mov_b64_e32 v[20:21], s[20:21]
	v_mov_b64_e32 v[34:35], s[2:3]
	s_mov_b32 s17, 0
	s_wait_loadcnt 0x0
	s_delay_alu instid0(VALU_DEP_2) | instskip(NEXT) | instid1(VALU_DEP_1)
	v_pk_mul_f32 v[20:21], v[18:19], v[20:21]
	v_pk_fma_f32 v[36:37], v[18:19], v[34:35], v[20:21] op_sel:[0,0,1] op_sel_hi:[1,1,0]
	v_pk_fma_f32 v[18:19], v[18:19], v[34:35], v[20:21] op_sel:[0,0,1] op_sel_hi:[1,1,0] neg_lo:[0,0,1] neg_hi:[0,0,1]
	s_delay_alu instid0(VALU_DEP_2) | instskip(NEXT) | instid1(VALU_DEP_1)
	v_mov_b32_e32 v19, v37
	v_pk_add_f32 v[18:19], v[2:3], v[18:19]
	global_store_b64 v[0:1], v[18:19], off
.LBB105_33:                             ;   in Loop: Header=BB105_6 Depth=1
	s_and_not1_b32 vcc_lo, exec_lo, s17
	s_cbranch_vccnz .LBB105_5
; %bb.34:                               ;   in Loop: Header=BB105_6 Depth=1
	global_store_b64 v[0:1], v[2:3], off
	s_branch .LBB105_5
.LBB105_35:
	s_endpgm
	.section	.rodata,"a",@progbits
	.p2align	6, 0x0
	.amdhsa_kernel _ZL29rocblas_internal_gemmt_kernelIiLi16ELi32ELi8ELc67ELc78ELc76ELb1ELb0E19rocblas_complex_numIfES1_PKS1_PS1_EviT_T9_T10_S5_lS7_S5_lS6_T11_S5_li
		.amdhsa_group_segment_fixed_size 4096
		.amdhsa_private_segment_fixed_size 0
		.amdhsa_kernarg_size 100
		.amdhsa_user_sgpr_count 2
		.amdhsa_user_sgpr_dispatch_ptr 0
		.amdhsa_user_sgpr_queue_ptr 0
		.amdhsa_user_sgpr_kernarg_segment_ptr 1
		.amdhsa_user_sgpr_dispatch_id 0
		.amdhsa_user_sgpr_kernarg_preload_length 0
		.amdhsa_user_sgpr_kernarg_preload_offset 0
		.amdhsa_user_sgpr_private_segment_size 0
		.amdhsa_wavefront_size32 1
		.amdhsa_uses_dynamic_stack 0
		.amdhsa_enable_private_segment 0
		.amdhsa_system_sgpr_workgroup_id_x 1
		.amdhsa_system_sgpr_workgroup_id_y 1
		.amdhsa_system_sgpr_workgroup_id_z 1
		.amdhsa_system_sgpr_workgroup_info 0
		.amdhsa_system_vgpr_workitem_id 1
		.amdhsa_next_free_vgpr 54
		.amdhsa_next_free_sgpr 35
		.amdhsa_named_barrier_count 0
		.amdhsa_reserve_vcc 1
		.amdhsa_float_round_mode_32 0
		.amdhsa_float_round_mode_16_64 0
		.amdhsa_float_denorm_mode_32 3
		.amdhsa_float_denorm_mode_16_64 3
		.amdhsa_fp16_overflow 0
		.amdhsa_memory_ordered 1
		.amdhsa_forward_progress 1
		.amdhsa_inst_pref_size 26
		.amdhsa_round_robin_scheduling 0
		.amdhsa_exception_fp_ieee_invalid_op 0
		.amdhsa_exception_fp_denorm_src 0
		.amdhsa_exception_fp_ieee_div_zero 0
		.amdhsa_exception_fp_ieee_overflow 0
		.amdhsa_exception_fp_ieee_underflow 0
		.amdhsa_exception_fp_ieee_inexact 0
		.amdhsa_exception_int_div_zero 0
	.end_amdhsa_kernel
	.section	.text._ZL29rocblas_internal_gemmt_kernelIiLi16ELi32ELi8ELc67ELc78ELc76ELb1ELb0E19rocblas_complex_numIfES1_PKS1_PS1_EviT_T9_T10_S5_lS7_S5_lS6_T11_S5_li,"axG",@progbits,_ZL29rocblas_internal_gemmt_kernelIiLi16ELi32ELi8ELc67ELc78ELc76ELb1ELb0E19rocblas_complex_numIfES1_PKS1_PS1_EviT_T9_T10_S5_lS7_S5_lS6_T11_S5_li,comdat
.Lfunc_end105:
	.size	_ZL29rocblas_internal_gemmt_kernelIiLi16ELi32ELi8ELc67ELc78ELc76ELb1ELb0E19rocblas_complex_numIfES1_PKS1_PS1_EviT_T9_T10_S5_lS7_S5_lS6_T11_S5_li, .Lfunc_end105-_ZL29rocblas_internal_gemmt_kernelIiLi16ELi32ELi8ELc67ELc78ELc76ELb1ELb0E19rocblas_complex_numIfES1_PKS1_PS1_EviT_T9_T10_S5_lS7_S5_lS6_T11_S5_li
                                        ; -- End function
	.set _ZL29rocblas_internal_gemmt_kernelIiLi16ELi32ELi8ELc67ELc78ELc76ELb1ELb0E19rocblas_complex_numIfES1_PKS1_PS1_EviT_T9_T10_S5_lS7_S5_lS6_T11_S5_li.num_vgpr, 54
	.set _ZL29rocblas_internal_gemmt_kernelIiLi16ELi32ELi8ELc67ELc78ELc76ELb1ELb0E19rocblas_complex_numIfES1_PKS1_PS1_EviT_T9_T10_S5_lS7_S5_lS6_T11_S5_li.num_agpr, 0
	.set _ZL29rocblas_internal_gemmt_kernelIiLi16ELi32ELi8ELc67ELc78ELc76ELb1ELb0E19rocblas_complex_numIfES1_PKS1_PS1_EviT_T9_T10_S5_lS7_S5_lS6_T11_S5_li.numbered_sgpr, 35
	.set _ZL29rocblas_internal_gemmt_kernelIiLi16ELi32ELi8ELc67ELc78ELc76ELb1ELb0E19rocblas_complex_numIfES1_PKS1_PS1_EviT_T9_T10_S5_lS7_S5_lS6_T11_S5_li.num_named_barrier, 0
	.set _ZL29rocblas_internal_gemmt_kernelIiLi16ELi32ELi8ELc67ELc78ELc76ELb1ELb0E19rocblas_complex_numIfES1_PKS1_PS1_EviT_T9_T10_S5_lS7_S5_lS6_T11_S5_li.private_seg_size, 0
	.set _ZL29rocblas_internal_gemmt_kernelIiLi16ELi32ELi8ELc67ELc78ELc76ELb1ELb0E19rocblas_complex_numIfES1_PKS1_PS1_EviT_T9_T10_S5_lS7_S5_lS6_T11_S5_li.uses_vcc, 1
	.set _ZL29rocblas_internal_gemmt_kernelIiLi16ELi32ELi8ELc67ELc78ELc76ELb1ELb0E19rocblas_complex_numIfES1_PKS1_PS1_EviT_T9_T10_S5_lS7_S5_lS6_T11_S5_li.uses_flat_scratch, 0
	.set _ZL29rocblas_internal_gemmt_kernelIiLi16ELi32ELi8ELc67ELc78ELc76ELb1ELb0E19rocblas_complex_numIfES1_PKS1_PS1_EviT_T9_T10_S5_lS7_S5_lS6_T11_S5_li.has_dyn_sized_stack, 0
	.set _ZL29rocblas_internal_gemmt_kernelIiLi16ELi32ELi8ELc67ELc78ELc76ELb1ELb0E19rocblas_complex_numIfES1_PKS1_PS1_EviT_T9_T10_S5_lS7_S5_lS6_T11_S5_li.has_recursion, 0
	.set _ZL29rocblas_internal_gemmt_kernelIiLi16ELi32ELi8ELc67ELc78ELc76ELb1ELb0E19rocblas_complex_numIfES1_PKS1_PS1_EviT_T9_T10_S5_lS7_S5_lS6_T11_S5_li.has_indirect_call, 0
	.section	.AMDGPU.csdata,"",@progbits
; Kernel info:
; codeLenInByte = 3272
; TotalNumSgprs: 37
; NumVgprs: 54
; ScratchSize: 0
; MemoryBound: 0
; FloatMode: 240
; IeeeMode: 1
; LDSByteSize: 4096 bytes/workgroup (compile time only)
; SGPRBlocks: 0
; VGPRBlocks: 3
; NumSGPRsForWavesPerEU: 37
; NumVGPRsForWavesPerEU: 54
; NamedBarCnt: 0
; Occupancy: 16
; WaveLimiterHint : 0
; COMPUTE_PGM_RSRC2:SCRATCH_EN: 0
; COMPUTE_PGM_RSRC2:USER_SGPR: 2
; COMPUTE_PGM_RSRC2:TRAP_HANDLER: 0
; COMPUTE_PGM_RSRC2:TGID_X_EN: 1
; COMPUTE_PGM_RSRC2:TGID_Y_EN: 1
; COMPUTE_PGM_RSRC2:TGID_Z_EN: 1
; COMPUTE_PGM_RSRC2:TIDIG_COMP_CNT: 1
	.section	.text._ZL29rocblas_internal_gemmt_kernelIiLi16ELi32ELi8ELc67ELc84ELc76ELb1ELb0E19rocblas_complex_numIfES1_PKS1_PS1_EviT_T9_T10_S5_lS7_S5_lS6_T11_S5_li,"axG",@progbits,_ZL29rocblas_internal_gemmt_kernelIiLi16ELi32ELi8ELc67ELc84ELc76ELb1ELb0E19rocblas_complex_numIfES1_PKS1_PS1_EviT_T9_T10_S5_lS7_S5_lS6_T11_S5_li,comdat
	.globl	_ZL29rocblas_internal_gemmt_kernelIiLi16ELi32ELi8ELc67ELc84ELc76ELb1ELb0E19rocblas_complex_numIfES1_PKS1_PS1_EviT_T9_T10_S5_lS7_S5_lS6_T11_S5_li ; -- Begin function _ZL29rocblas_internal_gemmt_kernelIiLi16ELi32ELi8ELc67ELc84ELc76ELb1ELb0E19rocblas_complex_numIfES1_PKS1_PS1_EviT_T9_T10_S5_lS7_S5_lS6_T11_S5_li
	.p2align	8
	.type	_ZL29rocblas_internal_gemmt_kernelIiLi16ELi32ELi8ELc67ELc84ELc76ELb1ELb0E19rocblas_complex_numIfES1_PKS1_PS1_EviT_T9_T10_S5_lS7_S5_lS6_T11_S5_li,@function
_ZL29rocblas_internal_gemmt_kernelIiLi16ELi32ELi8ELc67ELc84ELc76ELb1ELb0E19rocblas_complex_numIfES1_PKS1_PS1_EviT_T9_T10_S5_lS7_S5_lS6_T11_S5_li: ; @_ZL29rocblas_internal_gemmt_kernelIiLi16ELi32ELi8ELc67ELc84ELc76ELb1ELb0E19rocblas_complex_numIfES1_PKS1_PS1_EviT_T9_T10_S5_lS7_S5_lS6_T11_S5_li
; %bb.0:
	s_clause 0x1
	s_load_b64 s[20:21], s[0:1], 0x40
	s_load_b128 s[4:7], s[0:1], 0x0
	s_wait_kmcnt 0x0
	s_cmp_neq_f32 s20, 1.0
	s_cselect_b32 s2, -1, 0
	s_and_b32 s8, s21, 0x7fffffff
	s_delay_alu instid0(SALU_CYCLE_1) | instskip(SKIP_3) | instid1(SALU_CYCLE_1)
	s_cmp_eq_u32 s8, 0
	s_cselect_b32 s3, -1, 0
	s_cmp_lg_u32 s8, 0
	s_cselect_b32 s8, -1, 0
	s_or_b32 s2, s2, s8
	s_delay_alu instid0(SALU_CYCLE_1)
	s_and_b32 vcc_lo, exec_lo, s2
	s_cbranch_vccnz .LBB106_2
; %bb.1:
	s_cmp_lg_u32 s5, 0
	s_cselect_b32 s2, -1, 0
	s_cmp_neq_f32 s6, 0
	s_cselect_b32 s8, -1, 0
	s_cmp_neq_f32 s7, 0
	s_cselect_b32 s9, -1, 0
	s_delay_alu instid0(SALU_CYCLE_1) | instskip(NEXT) | instid1(SALU_CYCLE_1)
	s_or_b32 s8, s8, s9
	s_and_b32 s2, s2, s8
.LBB106_2:
	s_delay_alu instid0(SALU_CYCLE_1)
	s_and_not1_b32 vcc_lo, exec_lo, s2
	s_cbranch_vccnz .LBB106_35
; %bb.3:
	s_load_b32 s30, s[0:1], 0x60
	s_bfe_u32 s2, ttmp6, 0x40014
	s_lshr_b32 s8, ttmp7, 16
	s_add_co_i32 s2, s2, 1
	s_bfe_u32 s10, ttmp6, 0x40008
	s_mul_i32 s9, s8, s2
	s_getreg_b32 s2, hwreg(HW_REG_IB_STS2, 6, 4)
	s_add_co_i32 s10, s10, s9
	s_cmp_eq_u32 s2, 0
	s_mov_b32 s23, 0
	s_cselect_b32 s22, s8, s10
	s_wait_kmcnt 0x0
	s_cmp_ge_u32 s22, s30
	s_cbranch_scc1 .LBB106_35
; %bb.4:
	s_clause 0x2
	s_load_b96 s[16:18], s[0:1], 0x10
	s_load_b32 s26, s[0:1], 0x30
	s_load_b96 s[12:14], s[0:1], 0x48
	v_and_b32_e32 v6, 0x3ff, v0
	v_bfe_u32 v9, v0, 10, 10
	s_clause 0x2
	s_load_b128 s[8:11], s[0:1], 0x20
	s_load_b64 s[28:29], s[0:1], 0x38
	s_load_b64 s[24:25], s[0:1], 0x58
	s_wait_xcnt 0x0
	s_bfe_u32 s1, ttmp6, 0x4000c
	s_bfe_u32 s15, ttmp6, 0x40010
	s_and_b32 s19, ttmp7, 0xffff
	s_add_co_i32 s1, s1, 1
	s_add_co_i32 s15, s15, 1
	v_lshl_add_u32 v1, v9, 4, v6
	s_and_b32 s0, ttmp6, 15
	s_bfe_u32 s31, ttmp6, 0x40004
	s_mul_i32 s33, ttmp9, s1
	s_mul_i32 s34, s19, s15
	s_add_co_i32 s0, s0, s33
	s_add_co_i32 s31, s31, s34
	v_dual_lshrrev_b32 v3, 3, v1 :: v_dual_bitop2_b32 v5, 31, v1 bitop3:0x40
	s_wait_kmcnt 0x0
	s_ashr_i32 s1, s18, 31
	s_ashr_i32 s27, s26, 31
	;; [unrolled: 1-line block ×3, first 2 shown]
	s_cmp_eq_u32 s2, 0
	v_dual_lshrrev_b32 v25, 5, v1 :: v_dual_bitop2_b32 v4, 7, v0 bitop3:0x40
	s_cselect_b32 s0, ttmp9, s0
	s_cselect_b32 s2, s19, s31
	s_lshl_b32 s19, s0, 5
	s_lshl_b32 s2, s2, 5
	s_delay_alu instid0(SALU_CYCLE_1) | instskip(SKIP_2) | instid1(VALU_DEP_2)
	v_dual_add_nc_u32 v2, s2, v3 :: v_dual_bitop2_b32 v0, s19, v5 bitop3:0x54
	v_dual_lshlrev_b32 v7, 3, v4 :: v_dual_lshlrev_b32 v5, 3, v5
	s_mov_b32 s0, s18
	v_ashrrev_i32_e32 v1, 31, v0
	v_cmp_gt_i32_e32 vcc_lo, s4, v0
	s_delay_alu instid0(VALU_DEP_3)
	v_lshl_or_b32 v3, v3, 6, v7
	v_mov_b32_e32 v7, 0
	v_lshl_or_b32 v27, v25, 8, v5
	v_mul_u64_e32 v[16:17], s[0:1], v[0:1]
	v_add_nc_u32_e32 v0, s2, v9
	v_add_nc_u32_e32 v29, 0x800, v3
	v_dual_mov_b32 v5, v7 :: v_dual_ashrrev_i32 v3, 31, v2
	s_delay_alu instid0(VALU_DEP_3) | instskip(SKIP_1) | instid1(VALU_DEP_3)
	v_dual_lshlrev_b32 v31, 3, v6 :: v_dual_ashrrev_i32 v1, 31, v0
	v_add_nc_u32_e32 v20, 16, v0
	v_mul_u64_e32 v[18:19], s[26:27], v[4:5]
	v_add_nc_u32_e32 v8, s19, v6
	s_cmp_neq_f32 s6, 0
	v_mul_u64_e32 v[10:11], s[14:15], v[0:1]
	v_dual_ashrrev_i32 v21, 31, v20 :: v_dual_lshlrev_b32 v6, 3, v25
	s_delay_alu instid0(VALU_DEP_3) | instskip(SKIP_2) | instid1(VALU_DEP_2)
	v_add_nc_u32_e32 v12, 16, v8
	s_cselect_b32 s31, -1, 0
	s_cmp_neq_f32 s7, 0
	v_mul_u64_e32 v[14:15], s[14:15], v[20:21]
	v_cmp_gt_i32_e64 s0, s4, v2
	v_cmp_le_i32_e64 s1, v0, v8
	s_cselect_b32 s18, -1, 0
	v_lshlrev_b64_e32 v[2:3], 3, v[2:3]
	s_or_b32 s18, s31, s18
	s_cmp_gt_i32 s5, 0
	v_cmp_gt_i32_e64 s2, s4, v8
	s_cselect_b32 s35, -1, 0
	s_cmp_neq_f32 s20, 0
	v_cmp_gt_i32_e64 s4, s4, v12
	v_lshl_add_u32 v5, v9, 6, 0x800
	v_ashrrev_i32_e32 v9, 31, v8
	s_cselect_b32 s19, -1, 0
	s_xor_b32 s14, s3, -1
	v_cmp_le_i32_e64 s3, v0, v12
	v_lshl_add_u64 v[0:1], v[16:17], 3, v[6:7]
	s_and_b32 s33, s1, s2
	v_cmp_le_i32_e64 s1, v20, v8
	v_ashrrev_i32_e32 v13, 31, v12
	s_and_b32 s34, s3, s4
	v_add_nc_u64_e32 v[0:1], s[16:17], v[0:1]
	v_cmp_le_i32_e64 s3, v20, v12
	v_lshl_add_u64 v[2:3], v[18:19], 3, v[2:3]
	s_or_b32 s31, s19, s14
	s_and_b32 s1, s1, s2
	s_mov_b32 s2, s20
	s_and_b32 s4, s3, s4
	v_add_nc_u64_e32 v[16:17], 4, v[0:1]
	v_add_nc_u64_e32 v[18:19], s[10:11], v[2:3]
	s_mov_b32 s3, s20
	s_mov_b32 s20, s21
	;; [unrolled: 1-line block ×4, first 2 shown]
	s_lshl_b64 s[8:9], s[8:9], 3
	s_and_b32 s35, s18, s35
	s_lshl_b64 s[10:11], s[28:29], 3
	s_lshl_b64 s[16:17], s[26:27], 6
	s_xor_b32 s26, vcc_lo, -1
	s_branch .LBB106_6
.LBB106_5:                              ;   in Loop: Header=BB106_6 Depth=1
	s_wait_xcnt 0x0
	s_or_b32 exec_lo, exec_lo, s18
	s_add_co_i32 s22, s22, 0x10000
	s_delay_alu instid0(SALU_CYCLE_1)
	s_cmp_lt_u32 s22, s30
	s_cbranch_scc0 .LBB106_35
.LBB106_6:                              ; =>This Loop Header: Depth=1
                                        ;     Child Loop BB106_9 Depth 2
	v_dual_mov_b32 v34, 0 :: v_dual_mov_b32 v36, 0
	v_dual_mov_b32 v30, 0 :: v_dual_mov_b32 v32, 0
	;; [unrolled: 1-line block ×4, first 2 shown]
	s_and_not1_b32 vcc_lo, exec_lo, s35
	s_cbranch_vccnz .LBB106_15
; %bb.7:                                ;   in Loop: Header=BB106_6 Depth=1
	v_mad_nc_u64_u32 v[20:21], s8, s22, v[16:17]
	v_mad_nc_u64_u32 v[22:23], s10, s22, v[18:19]
	v_dual_mov_b32 v24, 0 :: v_dual_mov_b32 v6, 0
	v_dual_mov_b32 v28, 0 :: v_dual_mov_b32 v26, 0
	;; [unrolled: 1-line block ×4, first 2 shown]
	s_mov_b32 s18, 0
	v_mad_u32 v21, s9, s22, v21
	v_mad_u32 v23, s11, s22, v23
	s_branch .LBB106_9
.LBB106_8:                              ;   in Loop: Header=BB106_9 Depth=2
	s_wait_xcnt 0x0
	s_or_b32 exec_lo, exec_lo, s19
	s_wait_loadcnt 0x0
	ds_store_b64 v29, v[0:1]
	s_wait_dscnt 0x0
	s_barrier_signal -1
	s_barrier_wait -1
	ds_load_b128 v[38:41], v5
	ds_load_b128 v[42:45], v5 offset:16
	ds_load_b128 v[46:49], v5 offset:32
	;; [unrolled: 1-line block ×3, first 2 shown]
	ds_load_2addr_b64 v[50:53], v31 offset1:16
	v_add_nc_u64_e32 v[20:21], 64, v[20:21]
	v_add_nc_u64_e32 v[22:23], s[16:17], v[22:23]
	s_add_co_i32 s18, s18, 8
	s_delay_alu instid0(SALU_CYCLE_1) | instskip(SKIP_2) | instid1(VALU_DEP_1)
	s_cmp_lt_i32 s18, s5
	s_wait_dscnt 0x0
	v_dual_mul_f32 v33, v39, v51 :: v_dual_mul_f32 v35, v38, v51
	v_dual_fma_f32 v33, v38, v50, -v33 :: v_dual_fmac_f32 v35, v39, v50
	s_delay_alu instid0(VALU_DEP_1) | instskip(SKIP_1) | instid1(VALU_DEP_1)
	v_dual_add_f32 v54, v34, v33 :: v_dual_add_f32 v55, v36, v35
	v_dual_mul_f32 v33, v39, v53 :: v_dual_mul_f32 v34, v38, v53
	v_dual_fma_f32 v33, v38, v52, -v33 :: v_dual_fmac_f32 v34, v39, v52
	s_delay_alu instid0(VALU_DEP_1) | instskip(SKIP_3) | instid1(VALU_DEP_1)
	v_dual_add_f32 v30, v30, v33 :: v_dual_add_f32 v56, v32, v34
	ds_load_b128 v[32:35], v5 offset:1024
	s_wait_dscnt 0x0
	v_dual_mul_f32 v36, v33, v51 :: v_dual_mul_f32 v37, v32, v51
	v_dual_fma_f32 v36, v32, v50, -v36 :: v_dual_fmac_f32 v37, v33, v50
	s_delay_alu instid0(VALU_DEP_1) | instskip(SKIP_1) | instid1(VALU_DEP_1)
	v_dual_add_f32 v26, v26, v36 :: v_dual_add_f32 v28, v28, v37
	v_mul_f32_e32 v36, v33, v53
	v_dual_fma_f32 v36, v32, v52, -v36 :: v_dual_mul_f32 v32, v32, v53
	s_delay_alu instid0(VALU_DEP_1) | instskip(SKIP_3) | instid1(VALU_DEP_1)
	v_add_f32_e32 v6, v6, v36
	ds_load_2addr_b64 v[36:39], v31 offset0:32 offset1:48
	s_wait_dscnt 0x0
	v_dual_fmac_f32 v32, v33, v52 :: v_dual_mul_f32 v33, v40, v37
	v_dual_add_f32 v24, v24, v32 :: v_dual_mul_f32 v32, v41, v37
	s_delay_alu instid0(VALU_DEP_1) | instskip(NEXT) | instid1(VALU_DEP_1)
	v_dual_fmac_f32 v33, v41, v36 :: v_dual_fma_f32 v32, v40, v36, -v32
	v_dual_add_f32 v50, v54, v32 :: v_dual_mul_f32 v32, v41, v39
	s_delay_alu instid0(VALU_DEP_1) | instskip(NEXT) | instid1(VALU_DEP_1)
	v_dual_add_f32 v51, v55, v33 :: v_dual_fma_f32 v32, v40, v38, -v32
	v_dual_mul_f32 v33, v40, v39 :: v_dual_add_f32 v30, v30, v32
	s_delay_alu instid0(VALU_DEP_1) | instskip(NEXT) | instid1(VALU_DEP_1)
	v_dual_fmac_f32 v33, v41, v38 :: v_dual_mul_f32 v32, v35, v37
	v_dual_add_f32 v40, v56, v33 :: v_dual_fma_f32 v32, v34, v36, -v32
	v_mul_f32_e32 v33, v34, v37
	s_delay_alu instid0(VALU_DEP_2) | instskip(NEXT) | instid1(VALU_DEP_1)
	v_dual_add_f32 v26, v26, v32 :: v_dual_mul_f32 v32, v35, v39
	v_dual_fmac_f32 v33, v35, v36 :: v_dual_fma_f32 v32, v34, v38, -v32
	s_delay_alu instid0(VALU_DEP_1) | instskip(NEXT) | instid1(VALU_DEP_1)
	v_dual_add_f32 v28, v28, v33 :: v_dual_mul_f32 v33, v34, v39
	v_dual_add_f32 v6, v6, v32 :: v_dual_fmac_f32 v33, v35, v38
	s_delay_alu instid0(VALU_DEP_1) | instskip(SKIP_3) | instid1(VALU_DEP_1)
	v_add_f32_e32 v24, v24, v33
	ds_load_2addr_b64 v[32:35], v31 offset0:64 offset1:80
	s_wait_dscnt 0x0
	v_dual_mul_f32 v36, v43, v33 :: v_dual_mul_f32 v37, v42, v33
	v_dual_fma_f32 v36, v42, v32, -v36 :: v_dual_fmac_f32 v37, v43, v32
	s_delay_alu instid0(VALU_DEP_1) | instskip(SKIP_1) | instid1(VALU_DEP_1)
	v_dual_add_f32 v41, v50, v36 :: v_dual_add_f32 v50, v51, v37
	v_dual_mul_f32 v36, v43, v35 :: v_dual_mul_f32 v37, v42, v35
	v_dual_fma_f32 v36, v42, v34, -v36 :: v_dual_fmac_f32 v37, v43, v34
	s_delay_alu instid0(VALU_DEP_1) | instskip(SKIP_3) | instid1(VALU_DEP_1)
	v_dual_add_f32 v30, v30, v36 :: v_dual_add_f32 v40, v40, v37
	ds_load_b128 v[36:39], v5 offset:1040
	s_wait_dscnt 0x0
	v_dual_mul_f32 v42, v37, v33 :: v_dual_mul_f32 v33, v36, v33
	v_dual_fma_f32 v42, v36, v32, -v42 :: v_dual_fmac_f32 v33, v37, v32
	s_delay_alu instid0(VALU_DEP_1) | instskip(NEXT) | instid1(VALU_DEP_2)
	v_dual_mul_f32 v32, v37, v35 :: v_dual_add_f32 v26, v26, v42
	v_add_f32_e32 v28, v28, v33
	s_delay_alu instid0(VALU_DEP_2) | instskip(NEXT) | instid1(VALU_DEP_1)
	v_dual_mul_f32 v33, v36, v35 :: v_dual_fma_f32 v32, v36, v34, -v32
	v_dual_fmac_f32 v33, v37, v34 :: v_dual_add_f32 v6, v6, v32
	s_delay_alu instid0(VALU_DEP_1) | instskip(SKIP_3) | instid1(VALU_DEP_1)
	v_add_f32_e32 v24, v24, v33
	ds_load_2addr_b64 v[32:35], v31 offset0:96 offset1:112
	s_wait_dscnt 0x0
	v_dual_mul_f32 v36, v45, v33 :: v_dual_mul_f32 v37, v44, v33
	v_dual_mul_f32 v42, v44, v35 :: v_dual_fma_f32 v36, v44, v32, -v36
	s_delay_alu instid0(VALU_DEP_1) | instskip(NEXT) | instid1(VALU_DEP_1)
	v_dual_fmac_f32 v37, v45, v32 :: v_dual_fmac_f32 v42, v45, v34
	v_dual_add_f32 v36, v41, v36 :: v_dual_add_f32 v37, v50, v37
	s_delay_alu instid0(VALU_DEP_2) | instskip(NEXT) | instid1(VALU_DEP_1)
	v_dual_mul_f32 v41, v45, v35 :: v_dual_add_f32 v40, v40, v42
	v_fma_f32 v41, v44, v34, -v41
	s_delay_alu instid0(VALU_DEP_1) | instskip(SKIP_1) | instid1(VALU_DEP_1)
	v_add_f32_e32 v30, v30, v41
	v_dual_mul_f32 v41, v39, v33 :: v_dual_mul_f32 v33, v38, v33
	v_fmac_f32_e32 v33, v39, v32
	s_delay_alu instid0(VALU_DEP_2) | instskip(NEXT) | instid1(VALU_DEP_2)
	v_dual_fma_f32 v41, v38, v32, -v41 :: v_dual_mul_f32 v32, v39, v35
	v_dual_add_f32 v28, v28, v33 :: v_dual_mul_f32 v33, v38, v35
	s_delay_alu instid0(VALU_DEP_2) | instskip(NEXT) | instid1(VALU_DEP_2)
	v_fma_f32 v32, v38, v34, -v32
	v_dual_add_f32 v26, v26, v41 :: v_dual_fmac_f32 v33, v39, v34
	s_delay_alu instid0(VALU_DEP_1) | instskip(SKIP_3) | instid1(VALU_DEP_1)
	v_dual_add_f32 v6, v6, v32 :: v_dual_add_f32 v24, v24, v33
	ds_load_2addr_b64 v[32:35], v31 offset0:128 offset1:144
	s_wait_dscnt 0x0
	v_dual_mul_f32 v38, v47, v33 :: v_dual_mul_f32 v39, v46, v33
	v_dual_fma_f32 v38, v46, v32, -v38 :: v_dual_fmac_f32 v39, v47, v32
	s_delay_alu instid0(VALU_DEP_1) | instskip(SKIP_1) | instid1(VALU_DEP_1)
	v_dual_add_f32 v41, v36, v38 :: v_dual_add_f32 v42, v37, v39
	v_dual_mul_f32 v36, v47, v35 :: v_dual_mul_f32 v37, v46, v35
	v_dual_fma_f32 v36, v46, v34, -v36 :: v_dual_fmac_f32 v37, v47, v34
	s_delay_alu instid0(VALU_DEP_1) | instskip(SKIP_3) | instid1(VALU_DEP_1)
	v_dual_add_f32 v30, v30, v36 :: v_dual_add_f32 v40, v40, v37
	ds_load_b128 v[36:39], v5 offset:1056
	s_wait_dscnt 0x0
	v_dual_mul_f32 v43, v37, v33 :: v_dual_mul_f32 v33, v36, v33
	v_dual_fma_f32 v43, v36, v32, -v43 :: v_dual_fmac_f32 v33, v37, v32
	v_mul_f32_e32 v32, v37, v35
	s_delay_alu instid0(VALU_DEP_2) | instskip(NEXT) | instid1(VALU_DEP_2)
	v_dual_add_f32 v26, v26, v43 :: v_dual_add_f32 v28, v28, v33
	v_dual_mul_f32 v33, v36, v35 :: v_dual_fma_f32 v32, v36, v34, -v32
	s_delay_alu instid0(VALU_DEP_1) | instskip(NEXT) | instid1(VALU_DEP_1)
	v_dual_fmac_f32 v33, v37, v34 :: v_dual_add_f32 v6, v6, v32
	v_add_f32_e32 v24, v24, v33
	ds_load_2addr_b64 v[32:35], v31 offset0:160 offset1:176
	s_wait_dscnt 0x0
	v_dual_mul_f32 v36, v49, v33 :: v_dual_mul_f32 v37, v48, v33
	s_delay_alu instid0(VALU_DEP_1) | instskip(NEXT) | instid1(VALU_DEP_1)
	v_dual_fma_f32 v36, v48, v32, -v36 :: v_dual_fmac_f32 v37, v49, v32
	v_dual_add_f32 v36, v41, v36 :: v_dual_add_f32 v37, v42, v37
	v_dual_mul_f32 v41, v49, v35 :: v_dual_mul_f32 v42, v48, v35
	s_delay_alu instid0(VALU_DEP_1) | instskip(NEXT) | instid1(VALU_DEP_1)
	v_dual_fma_f32 v41, v48, v34, -v41 :: v_dual_fmac_f32 v42, v49, v34
	v_dual_add_f32 v30, v30, v41 :: v_dual_add_f32 v40, v40, v42
	v_dual_mul_f32 v41, v39, v33 :: v_dual_mul_f32 v33, v38, v33
	s_delay_alu instid0(VALU_DEP_1) | instskip(NEXT) | instid1(VALU_DEP_2)
	v_fmac_f32_e32 v33, v39, v32
	v_dual_fma_f32 v41, v38, v32, -v41 :: v_dual_mul_f32 v32, v39, v35
	s_delay_alu instid0(VALU_DEP_2) | instskip(NEXT) | instid1(VALU_DEP_2)
	v_dual_add_f32 v28, v28, v33 :: v_dual_mul_f32 v33, v38, v35
	v_fma_f32 v32, v38, v34, -v32
	s_delay_alu instid0(VALU_DEP_2) | instskip(NEXT) | instid1(VALU_DEP_1)
	v_dual_add_f32 v26, v26, v41 :: v_dual_fmac_f32 v33, v39, v34
	v_dual_add_f32 v6, v6, v32 :: v_dual_add_f32 v24, v24, v33
	ds_load_2addr_b64 v[32:35], v31 offset0:192 offset1:208
	s_wait_dscnt 0x0
	v_dual_mul_f32 v38, v1, v33 :: v_dual_mul_f32 v39, v0, v33
	s_delay_alu instid0(VALU_DEP_1) | instskip(NEXT) | instid1(VALU_DEP_1)
	v_dual_fma_f32 v38, v0, v32, -v38 :: v_dual_fmac_f32 v39, v1, v32
	v_dual_add_f32 v44, v36, v38 :: v_dual_add_f32 v45, v37, v39
	v_mul_f32_e32 v36, v1, v35
	s_delay_alu instid0(VALU_DEP_1) | instskip(NEXT) | instid1(VALU_DEP_1)
	v_dual_fma_f32 v36, v0, v34, -v36 :: v_dual_mul_f32 v0, v0, v35
	v_dual_fmac_f32 v0, v1, v34 :: v_dual_add_f32 v1, v30, v36
	ds_load_b128 v[36:39], v5 offset:1072
	s_wait_dscnt 0x0
	v_dual_mul_f32 v30, v37, v33 :: v_dual_mul_f32 v33, v36, v33
	s_delay_alu instid0(VALU_DEP_1)
	v_fma_f32 v30, v36, v32, -v30
	v_add_f32_e32 v0, v40, v0
	ds_load_2addr_b64 v[40:43], v31 offset0:224 offset1:240
	v_dual_fmac_f32 v33, v37, v32 :: v_dual_mul_f32 v32, v36, v35
	v_dual_add_f32 v26, v26, v30 :: v_dual_mul_f32 v30, v37, v35
	s_wait_dscnt 0x0
	s_delay_alu instid0(VALU_DEP_2) | instskip(SKIP_1) | instid1(VALU_DEP_2)
	v_dual_add_f32 v28, v28, v33 :: v_dual_fmac_f32 v32, v37, v34
	s_barrier_signal -1
	v_fma_f32 v30, v36, v34, -v30
	s_barrier_wait -1
	s_delay_alu instid0(VALU_DEP_1) | instskip(SKIP_1) | instid1(VALU_DEP_1)
	v_dual_add_f32 v24, v24, v32 :: v_dual_add_f32 v6, v6, v30
	v_dual_mul_f32 v30, v3, v41 :: v_dual_mul_f32 v32, v2, v41
	v_dual_fma_f32 v30, v2, v40, -v30 :: v_dual_fmac_f32 v32, v3, v40
	s_delay_alu instid0(VALU_DEP_1) | instskip(SKIP_1) | instid1(VALU_DEP_1)
	v_dual_add_f32 v34, v44, v30 :: v_dual_add_f32 v36, v45, v32
	v_mul_f32_e32 v30, v3, v43
	v_dual_fma_f32 v30, v2, v42, -v30 :: v_dual_mul_f32 v2, v2, v43
	s_delay_alu instid0(VALU_DEP_1) | instskip(NEXT) | instid1(VALU_DEP_1)
	v_fmac_f32_e32 v2, v3, v42
	v_dual_add_f32 v32, v0, v2 :: v_dual_mul_f32 v0, v39, v41
	s_delay_alu instid0(VALU_DEP_3) | instskip(NEXT) | instid1(VALU_DEP_1)
	v_dual_add_f32 v30, v1, v30 :: v_dual_mul_f32 v1, v38, v41
	v_dual_fma_f32 v0, v38, v40, -v0 :: v_dual_fmac_f32 v1, v39, v40
	s_delay_alu instid0(VALU_DEP_1) | instskip(NEXT) | instid1(VALU_DEP_2)
	v_dual_add_f32 v26, v26, v0 :: v_dual_mul_f32 v0, v39, v43
	v_dual_add_f32 v28, v28, v1 :: v_dual_mul_f32 v1, v38, v43
	s_delay_alu instid0(VALU_DEP_1) | instskip(NEXT) | instid1(VALU_DEP_1)
	v_dual_fma_f32 v0, v38, v42, -v0 :: v_dual_fmac_f32 v1, v39, v42
	v_dual_add_f32 v6, v6, v0 :: v_dual_add_f32 v24, v24, v1
	s_cbranch_scc0 .LBB106_15
.LBB106_9:                              ;   Parent Loop BB106_6 Depth=1
                                        ; =>  This Inner Loop Header: Depth=2
	v_add_nc_u32_e32 v0, s18, v25
	s_delay_alu instid0(VALU_DEP_1) | instskip(SKIP_1) | instid1(SALU_CYCLE_1)
	v_cmp_le_i32_e32 vcc_lo, s5, v0
	s_or_b32 s19, s26, vcc_lo
	s_and_saveexec_b32 s27, s19
	s_delay_alu instid0(SALU_CYCLE_1)
	s_xor_b32 s19, exec_lo, s27
; %bb.10:                               ;   in Loop: Header=BB106_9 Depth=2
	ds_store_b32 v27, v7
; %bb.11:                               ;   in Loop: Header=BB106_9 Depth=2
	s_or_saveexec_b32 s19, s19
	v_dual_mov_b32 v0, 0 :: v_dual_mov_b32 v2, 0
	s_xor_b32 exec_lo, exec_lo, s19
	s_cbranch_execz .LBB106_13
; %bb.12:                               ;   in Loop: Header=BB106_9 Depth=2
	global_load_b64 v[38:39], v[20:21], off offset:-4
	s_wait_loadcnt 0x0
	v_xor_b32_e32 v2, 0x80000000, v39
	ds_store_b32 v27, v38
.LBB106_13:                             ;   in Loop: Header=BB106_9 Depth=2
	s_wait_xcnt 0x0
	s_or_b32 exec_lo, exec_lo, s19
	v_add_nc_u32_e32 v1, s18, v4
	ds_store_b32 v27, v2 offset:4
	v_cmp_gt_i32_e32 vcc_lo, s5, v1
	v_mov_b32_e32 v1, 0
	s_and_b32 s27, vcc_lo, s0
	s_delay_alu instid0(SALU_CYCLE_1)
	s_and_saveexec_b32 s19, s27
	s_cbranch_execz .LBB106_8
; %bb.14:                               ;   in Loop: Header=BB106_9 Depth=2
	global_load_b64 v[0:1], v[22:23], off
	s_branch .LBB106_8
.LBB106_15:                             ;   in Loop: Header=BB106_6 Depth=1
	s_mul_u64 s[18:19], s[24:25], s[22:23]
	s_delay_alu instid0(SALU_CYCLE_1) | instskip(NEXT) | instid1(SALU_CYCLE_1)
	s_lshl_b64 s[18:19], s[18:19], 3
	s_add_nc_u64 s[18:19], s[12:13], s[18:19]
	s_delay_alu instid0(SALU_CYCLE_1)
	v_lshl_add_u64 v[0:1], v[10:11], 3, s[18:19]
	s_and_saveexec_b32 s27, s33
	s_cbranch_execz .LBB106_20
; %bb.16:                               ;   in Loop: Header=BB106_6 Depth=1
	v_mov_b64_e32 v[2:3], s[14:15]
	v_mov_b64_e32 v[20:21], s[6:7]
	s_and_b32 vcc_lo, exec_lo, s31
	s_mov_b32 s28, -1
	s_delay_alu instid0(VALU_DEP_2) | instskip(NEXT) | instid1(VALU_DEP_1)
	v_pk_mul_f32 v[2:3], v[36:37], v[2:3] op_sel_hi:[0,1]
	v_pk_fma_f32 v[22:23], v[34:35], v[20:21], v[2:3] op_sel_hi:[0,1,1]
	v_pk_fma_f32 v[2:3], v[34:35], v[20:21], v[2:3] neg_lo:[0,0,1] neg_hi:[0,0,1]
	v_lshl_add_u64 v[20:21], v[8:9], 3, v[0:1]
	s_delay_alu instid0(VALU_DEP_3)
	v_mov_b32_e32 v3, v23
	s_cbranch_vccz .LBB106_18
; %bb.17:                               ;   in Loop: Header=BB106_6 Depth=1
	global_load_b64 v[22:23], v[20:21], off
	v_mov_b64_e32 v[34:35], s[20:21]
	v_mov_b64_e32 v[36:37], s[2:3]
	s_mov_b32 s28, 0
	s_wait_loadcnt 0x0
	s_delay_alu instid0(VALU_DEP_2) | instskip(NEXT) | instid1(VALU_DEP_1)
	v_pk_mul_f32 v[34:35], v[22:23], v[34:35]
	v_pk_fma_f32 v[38:39], v[22:23], v[36:37], v[34:35] op_sel:[0,0,1] op_sel_hi:[1,1,0]
	v_pk_fma_f32 v[22:23], v[22:23], v[36:37], v[34:35] op_sel:[0,0,1] op_sel_hi:[1,1,0] neg_lo:[0,0,1] neg_hi:[0,0,1]
	s_delay_alu instid0(VALU_DEP_2) | instskip(NEXT) | instid1(VALU_DEP_1)
	v_mov_b32_e32 v23, v39
	v_pk_add_f32 v[22:23], v[2:3], v[22:23]
	global_store_b64 v[20:21], v[22:23], off
.LBB106_18:                             ;   in Loop: Header=BB106_6 Depth=1
	s_and_not1_b32 vcc_lo, exec_lo, s28
	s_cbranch_vccnz .LBB106_20
; %bb.19:                               ;   in Loop: Header=BB106_6 Depth=1
	global_store_b64 v[20:21], v[2:3], off
.LBB106_20:                             ;   in Loop: Header=BB106_6 Depth=1
	s_wait_xcnt 0x0
	s_or_b32 exec_lo, exec_lo, s27
	s_and_saveexec_b32 s27, s34
	s_cbranch_execz .LBB106_25
; %bb.21:                               ;   in Loop: Header=BB106_6 Depth=1
	v_mov_b64_e32 v[2:3], s[14:15]
	v_mov_b64_e32 v[20:21], s[6:7]
	v_lshl_add_u64 v[0:1], v[12:13], 3, v[0:1]
	s_and_not1_b32 vcc_lo, exec_lo, s31
	s_mov_b32 s28, -1
	s_delay_alu instid0(VALU_DEP_3) | instskip(NEXT) | instid1(VALU_DEP_1)
	v_pk_mul_f32 v[2:3], v[32:33], v[2:3] op_sel_hi:[0,1]
	v_pk_fma_f32 v[22:23], v[30:31], v[20:21], v[2:3] op_sel_hi:[0,1,1]
	v_pk_fma_f32 v[2:3], v[30:31], v[20:21], v[2:3] neg_lo:[0,0,1] neg_hi:[0,0,1]
	s_delay_alu instid0(VALU_DEP_2)
	v_mov_b32_e32 v3, v23
	s_cbranch_vccnz .LBB106_23
; %bb.22:                               ;   in Loop: Header=BB106_6 Depth=1
	global_load_b64 v[20:21], v[0:1], off
	v_mov_b64_e32 v[22:23], s[20:21]
	v_mov_b64_e32 v[32:33], s[2:3]
	s_mov_b32 s28, 0
	s_wait_loadcnt 0x0
	s_delay_alu instid0(VALU_DEP_2) | instskip(NEXT) | instid1(VALU_DEP_1)
	v_pk_mul_f32 v[22:23], v[20:21], v[22:23]
	v_pk_fma_f32 v[34:35], v[20:21], v[32:33], v[22:23] op_sel:[0,0,1] op_sel_hi:[1,1,0]
	v_pk_fma_f32 v[20:21], v[20:21], v[32:33], v[22:23] op_sel:[0,0,1] op_sel_hi:[1,1,0] neg_lo:[0,0,1] neg_hi:[0,0,1]
	s_delay_alu instid0(VALU_DEP_2) | instskip(NEXT) | instid1(VALU_DEP_1)
	v_mov_b32_e32 v21, v35
	v_pk_add_f32 v[20:21], v[2:3], v[20:21]
	global_store_b64 v[0:1], v[20:21], off
.LBB106_23:                             ;   in Loop: Header=BB106_6 Depth=1
	s_and_not1_b32 vcc_lo, exec_lo, s28
	s_cbranch_vccnz .LBB106_25
; %bb.24:                               ;   in Loop: Header=BB106_6 Depth=1
	global_store_b64 v[0:1], v[2:3], off
.LBB106_25:                             ;   in Loop: Header=BB106_6 Depth=1
	s_wait_xcnt 0x0
	s_or_b32 exec_lo, exec_lo, s27
	v_lshl_add_u64 v[0:1], v[14:15], 3, s[18:19]
	s_and_saveexec_b32 s18, s1
	s_cbranch_execz .LBB106_30
; %bb.26:                               ;   in Loop: Header=BB106_6 Depth=1
	v_mov_b64_e32 v[2:3], s[14:15]
	v_mov_b64_e32 v[20:21], s[6:7]
	s_and_not1_b32 vcc_lo, exec_lo, s31
	s_mov_b32 s19, -1
	s_delay_alu instid0(VALU_DEP_2) | instskip(NEXT) | instid1(VALU_DEP_1)
	v_pk_mul_f32 v[2:3], v[28:29], v[2:3] op_sel_hi:[0,1]
	v_pk_fma_f32 v[22:23], v[26:27], v[20:21], v[2:3] op_sel_hi:[0,1,1]
	v_pk_fma_f32 v[2:3], v[26:27], v[20:21], v[2:3] neg_lo:[0,0,1] neg_hi:[0,0,1]
	v_lshl_add_u64 v[20:21], v[8:9], 3, v[0:1]
	s_delay_alu instid0(VALU_DEP_3)
	v_mov_b32_e32 v3, v23
	s_cbranch_vccnz .LBB106_28
; %bb.27:                               ;   in Loop: Header=BB106_6 Depth=1
	global_load_b64 v[22:23], v[20:21], off
	v_mov_b64_e32 v[32:33], s[20:21]
	v_mov_b64_e32 v[34:35], s[2:3]
	s_mov_b32 s19, 0
	s_wait_loadcnt 0x0
	s_delay_alu instid0(VALU_DEP_2) | instskip(NEXT) | instid1(VALU_DEP_1)
	v_pk_mul_f32 v[32:33], v[22:23], v[32:33]
	v_pk_fma_f32 v[36:37], v[22:23], v[34:35], v[32:33] op_sel:[0,0,1] op_sel_hi:[1,1,0]
	v_pk_fma_f32 v[22:23], v[22:23], v[34:35], v[32:33] op_sel:[0,0,1] op_sel_hi:[1,1,0] neg_lo:[0,0,1] neg_hi:[0,0,1]
	s_delay_alu instid0(VALU_DEP_2) | instskip(NEXT) | instid1(VALU_DEP_1)
	v_mov_b32_e32 v23, v37
	v_pk_add_f32 v[22:23], v[2:3], v[22:23]
	global_store_b64 v[20:21], v[22:23], off
.LBB106_28:                             ;   in Loop: Header=BB106_6 Depth=1
	s_and_not1_b32 vcc_lo, exec_lo, s19
	s_cbranch_vccnz .LBB106_30
; %bb.29:                               ;   in Loop: Header=BB106_6 Depth=1
	global_store_b64 v[20:21], v[2:3], off
.LBB106_30:                             ;   in Loop: Header=BB106_6 Depth=1
	s_wait_xcnt 0x0
	s_or_b32 exec_lo, exec_lo, s18
	s_and_saveexec_b32 s18, s4
	s_cbranch_execz .LBB106_5
; %bb.31:                               ;   in Loop: Header=BB106_6 Depth=1
	v_mov_b64_e32 v[2:3], s[14:15]
	v_mov_b64_e32 v[20:21], s[6:7]
	v_lshl_add_u64 v[0:1], v[12:13], 3, v[0:1]
	s_and_not1_b32 vcc_lo, exec_lo, s31
	s_mov_b32 s19, -1
	s_delay_alu instid0(VALU_DEP_3) | instskip(NEXT) | instid1(VALU_DEP_1)
	v_pk_mul_f32 v[2:3], v[24:25], v[2:3] op_sel_hi:[0,1]
	v_pk_fma_f32 v[22:23], v[6:7], v[20:21], v[2:3] op_sel_hi:[0,1,1]
	v_pk_fma_f32 v[2:3], v[6:7], v[20:21], v[2:3] neg_lo:[0,0,1] neg_hi:[0,0,1]
	s_delay_alu instid0(VALU_DEP_2)
	v_mov_b32_e32 v3, v23
	s_cbranch_vccnz .LBB106_33
; %bb.32:                               ;   in Loop: Header=BB106_6 Depth=1
	global_load_b64 v[20:21], v[0:1], off
	v_mov_b64_e32 v[22:23], s[20:21]
	v_mov_b64_e32 v[32:33], s[2:3]
	s_mov_b32 s19, 0
	s_wait_loadcnt 0x0
	s_delay_alu instid0(VALU_DEP_2) | instskip(NEXT) | instid1(VALU_DEP_1)
	v_pk_mul_f32 v[22:23], v[20:21], v[22:23]
	v_pk_fma_f32 v[34:35], v[20:21], v[32:33], v[22:23] op_sel:[0,0,1] op_sel_hi:[1,1,0]
	v_pk_fma_f32 v[20:21], v[20:21], v[32:33], v[22:23] op_sel:[0,0,1] op_sel_hi:[1,1,0] neg_lo:[0,0,1] neg_hi:[0,0,1]
	s_delay_alu instid0(VALU_DEP_2) | instskip(NEXT) | instid1(VALU_DEP_1)
	v_mov_b32_e32 v21, v35
	v_pk_add_f32 v[20:21], v[2:3], v[20:21]
	global_store_b64 v[0:1], v[20:21], off
.LBB106_33:                             ;   in Loop: Header=BB106_6 Depth=1
	s_and_not1_b32 vcc_lo, exec_lo, s19
	s_cbranch_vccnz .LBB106_5
; %bb.34:                               ;   in Loop: Header=BB106_6 Depth=1
	global_store_b64 v[0:1], v[2:3], off
	s_branch .LBB106_5
.LBB106_35:
	s_endpgm
	.section	.rodata,"a",@progbits
	.p2align	6, 0x0
	.amdhsa_kernel _ZL29rocblas_internal_gemmt_kernelIiLi16ELi32ELi8ELc67ELc84ELc76ELb1ELb0E19rocblas_complex_numIfES1_PKS1_PS1_EviT_T9_T10_S5_lS7_S5_lS6_T11_S5_li
		.amdhsa_group_segment_fixed_size 4096
		.amdhsa_private_segment_fixed_size 0
		.amdhsa_kernarg_size 100
		.amdhsa_user_sgpr_count 2
		.amdhsa_user_sgpr_dispatch_ptr 0
		.amdhsa_user_sgpr_queue_ptr 0
		.amdhsa_user_sgpr_kernarg_segment_ptr 1
		.amdhsa_user_sgpr_dispatch_id 0
		.amdhsa_user_sgpr_kernarg_preload_length 0
		.amdhsa_user_sgpr_kernarg_preload_offset 0
		.amdhsa_user_sgpr_private_segment_size 0
		.amdhsa_wavefront_size32 1
		.amdhsa_uses_dynamic_stack 0
		.amdhsa_enable_private_segment 0
		.amdhsa_system_sgpr_workgroup_id_x 1
		.amdhsa_system_sgpr_workgroup_id_y 1
		.amdhsa_system_sgpr_workgroup_id_z 1
		.amdhsa_system_sgpr_workgroup_info 0
		.amdhsa_system_vgpr_workitem_id 1
		.amdhsa_next_free_vgpr 57
		.amdhsa_next_free_sgpr 36
		.amdhsa_named_barrier_count 0
		.amdhsa_reserve_vcc 1
		.amdhsa_float_round_mode_32 0
		.amdhsa_float_round_mode_16_64 0
		.amdhsa_float_denorm_mode_32 3
		.amdhsa_float_denorm_mode_16_64 3
		.amdhsa_fp16_overflow 0
		.amdhsa_memory_ordered 1
		.amdhsa_forward_progress 1
		.amdhsa_inst_pref_size 26
		.amdhsa_round_robin_scheduling 0
		.amdhsa_exception_fp_ieee_invalid_op 0
		.amdhsa_exception_fp_denorm_src 0
		.amdhsa_exception_fp_ieee_div_zero 0
		.amdhsa_exception_fp_ieee_overflow 0
		.amdhsa_exception_fp_ieee_underflow 0
		.amdhsa_exception_fp_ieee_inexact 0
		.amdhsa_exception_int_div_zero 0
	.end_amdhsa_kernel
	.section	.text._ZL29rocblas_internal_gemmt_kernelIiLi16ELi32ELi8ELc67ELc84ELc76ELb1ELb0E19rocblas_complex_numIfES1_PKS1_PS1_EviT_T9_T10_S5_lS7_S5_lS6_T11_S5_li,"axG",@progbits,_ZL29rocblas_internal_gemmt_kernelIiLi16ELi32ELi8ELc67ELc84ELc76ELb1ELb0E19rocblas_complex_numIfES1_PKS1_PS1_EviT_T9_T10_S5_lS7_S5_lS6_T11_S5_li,comdat
.Lfunc_end106:
	.size	_ZL29rocblas_internal_gemmt_kernelIiLi16ELi32ELi8ELc67ELc84ELc76ELb1ELb0E19rocblas_complex_numIfES1_PKS1_PS1_EviT_T9_T10_S5_lS7_S5_lS6_T11_S5_li, .Lfunc_end106-_ZL29rocblas_internal_gemmt_kernelIiLi16ELi32ELi8ELc67ELc84ELc76ELb1ELb0E19rocblas_complex_numIfES1_PKS1_PS1_EviT_T9_T10_S5_lS7_S5_lS6_T11_S5_li
                                        ; -- End function
	.set _ZL29rocblas_internal_gemmt_kernelIiLi16ELi32ELi8ELc67ELc84ELc76ELb1ELb0E19rocblas_complex_numIfES1_PKS1_PS1_EviT_T9_T10_S5_lS7_S5_lS6_T11_S5_li.num_vgpr, 57
	.set _ZL29rocblas_internal_gemmt_kernelIiLi16ELi32ELi8ELc67ELc84ELc76ELb1ELb0E19rocblas_complex_numIfES1_PKS1_PS1_EviT_T9_T10_S5_lS7_S5_lS6_T11_S5_li.num_agpr, 0
	.set _ZL29rocblas_internal_gemmt_kernelIiLi16ELi32ELi8ELc67ELc84ELc76ELb1ELb0E19rocblas_complex_numIfES1_PKS1_PS1_EviT_T9_T10_S5_lS7_S5_lS6_T11_S5_li.numbered_sgpr, 36
	.set _ZL29rocblas_internal_gemmt_kernelIiLi16ELi32ELi8ELc67ELc84ELc76ELb1ELb0E19rocblas_complex_numIfES1_PKS1_PS1_EviT_T9_T10_S5_lS7_S5_lS6_T11_S5_li.num_named_barrier, 0
	.set _ZL29rocblas_internal_gemmt_kernelIiLi16ELi32ELi8ELc67ELc84ELc76ELb1ELb0E19rocblas_complex_numIfES1_PKS1_PS1_EviT_T9_T10_S5_lS7_S5_lS6_T11_S5_li.private_seg_size, 0
	.set _ZL29rocblas_internal_gemmt_kernelIiLi16ELi32ELi8ELc67ELc84ELc76ELb1ELb0E19rocblas_complex_numIfES1_PKS1_PS1_EviT_T9_T10_S5_lS7_S5_lS6_T11_S5_li.uses_vcc, 1
	.set _ZL29rocblas_internal_gemmt_kernelIiLi16ELi32ELi8ELc67ELc84ELc76ELb1ELb0E19rocblas_complex_numIfES1_PKS1_PS1_EviT_T9_T10_S5_lS7_S5_lS6_T11_S5_li.uses_flat_scratch, 0
	.set _ZL29rocblas_internal_gemmt_kernelIiLi16ELi32ELi8ELc67ELc84ELc76ELb1ELb0E19rocblas_complex_numIfES1_PKS1_PS1_EviT_T9_T10_S5_lS7_S5_lS6_T11_S5_li.has_dyn_sized_stack, 0
	.set _ZL29rocblas_internal_gemmt_kernelIiLi16ELi32ELi8ELc67ELc84ELc76ELb1ELb0E19rocblas_complex_numIfES1_PKS1_PS1_EviT_T9_T10_S5_lS7_S5_lS6_T11_S5_li.has_recursion, 0
	.set _ZL29rocblas_internal_gemmt_kernelIiLi16ELi32ELi8ELc67ELc84ELc76ELb1ELb0E19rocblas_complex_numIfES1_PKS1_PS1_EviT_T9_T10_S5_lS7_S5_lS6_T11_S5_li.has_indirect_call, 0
	.section	.AMDGPU.csdata,"",@progbits
; Kernel info:
; codeLenInByte = 3244
; TotalNumSgprs: 38
; NumVgprs: 57
; ScratchSize: 0
; MemoryBound: 0
; FloatMode: 240
; IeeeMode: 1
; LDSByteSize: 4096 bytes/workgroup (compile time only)
; SGPRBlocks: 0
; VGPRBlocks: 3
; NumSGPRsForWavesPerEU: 38
; NumVGPRsForWavesPerEU: 57
; NamedBarCnt: 0
; Occupancy: 16
; WaveLimiterHint : 0
; COMPUTE_PGM_RSRC2:SCRATCH_EN: 0
; COMPUTE_PGM_RSRC2:USER_SGPR: 2
; COMPUTE_PGM_RSRC2:TRAP_HANDLER: 0
; COMPUTE_PGM_RSRC2:TGID_X_EN: 1
; COMPUTE_PGM_RSRC2:TGID_Y_EN: 1
; COMPUTE_PGM_RSRC2:TGID_Z_EN: 1
; COMPUTE_PGM_RSRC2:TIDIG_COMP_CNT: 1
	.section	.text._ZL29rocblas_internal_gemmt_kernelIiLi16ELi32ELi8ELc67ELc67ELc76ELb1ELb1E19rocblas_complex_numIfES1_PKS1_PS1_EviT_T9_T10_S5_lS7_S5_lS6_T11_S5_li,"axG",@progbits,_ZL29rocblas_internal_gemmt_kernelIiLi16ELi32ELi8ELc67ELc67ELc76ELb1ELb1E19rocblas_complex_numIfES1_PKS1_PS1_EviT_T9_T10_S5_lS7_S5_lS6_T11_S5_li,comdat
	.globl	_ZL29rocblas_internal_gemmt_kernelIiLi16ELi32ELi8ELc67ELc67ELc76ELb1ELb1E19rocblas_complex_numIfES1_PKS1_PS1_EviT_T9_T10_S5_lS7_S5_lS6_T11_S5_li ; -- Begin function _ZL29rocblas_internal_gemmt_kernelIiLi16ELi32ELi8ELc67ELc67ELc76ELb1ELb1E19rocblas_complex_numIfES1_PKS1_PS1_EviT_T9_T10_S5_lS7_S5_lS6_T11_S5_li
	.p2align	8
	.type	_ZL29rocblas_internal_gemmt_kernelIiLi16ELi32ELi8ELc67ELc67ELc76ELb1ELb1E19rocblas_complex_numIfES1_PKS1_PS1_EviT_T9_T10_S5_lS7_S5_lS6_T11_S5_li,@function
_ZL29rocblas_internal_gemmt_kernelIiLi16ELi32ELi8ELc67ELc67ELc76ELb1ELb1E19rocblas_complex_numIfES1_PKS1_PS1_EviT_T9_T10_S5_lS7_S5_lS6_T11_S5_li: ; @_ZL29rocblas_internal_gemmt_kernelIiLi16ELi32ELi8ELc67ELc67ELc76ELb1ELb1E19rocblas_complex_numIfES1_PKS1_PS1_EviT_T9_T10_S5_lS7_S5_lS6_T11_S5_li
; %bb.0:
	s_clause 0x1
	s_load_b64 s[20:21], s[0:1], 0x40
	s_load_b128 s[4:7], s[0:1], 0x0
	s_wait_kmcnt 0x0
	s_cmp_neq_f32 s20, 1.0
	s_cselect_b32 s2, -1, 0
	s_and_b32 s3, s21, 0x7fffffff
	s_delay_alu instid0(SALU_CYCLE_1) | instskip(SKIP_3) | instid1(SALU_CYCLE_1)
	s_cmp_eq_u32 s3, 0
	s_cselect_b32 s30, -1, 0
	s_cmp_lg_u32 s3, 0
	s_cselect_b32 s3, -1, 0
	s_or_b32 s2, s2, s3
	s_delay_alu instid0(SALU_CYCLE_1)
	s_and_b32 vcc_lo, exec_lo, s2
	s_cbranch_vccnz .LBB107_2
; %bb.1:
	s_cmp_lg_u32 s5, 0
	s_cselect_b32 s2, -1, 0
	s_cmp_neq_f32 s6, 0
	s_cselect_b32 s3, -1, 0
	s_cmp_neq_f32 s7, 0
	s_cselect_b32 s8, -1, 0
	s_delay_alu instid0(SALU_CYCLE_1) | instskip(NEXT) | instid1(SALU_CYCLE_1)
	s_or_b32 s3, s3, s8
	s_and_b32 s2, s2, s3
.LBB107_2:
	s_delay_alu instid0(SALU_CYCLE_1)
	s_and_not1_b32 vcc_lo, exec_lo, s2
	s_cbranch_vccnz .LBB107_37
; %bb.3:
	s_load_b32 s19, s[0:1], 0x60
	s_bfe_u32 s2, ttmp6, 0x40014
	s_lshr_b32 s3, ttmp7, 16
	s_add_co_i32 s2, s2, 1
	s_bfe_u32 s9, ttmp6, 0x40008
	s_mul_i32 s8, s3, s2
	s_getreg_b32 s2, hwreg(HW_REG_IB_STS2, 6, 4)
	s_add_co_i32 s9, s9, s8
	s_cmp_eq_u32 s2, 0
	s_mov_b32 s23, 0
	s_cselect_b32 s22, s3, s9
	s_wait_kmcnt 0x0
	s_cmp_ge_u32 s22, s19
	s_cbranch_scc1 .LBB107_37
; %bb.4:
	s_clause 0x2
	s_load_b96 s[16:18], s[0:1], 0x10
	s_load_b32 s26, s[0:1], 0x30
	s_load_b96 s[12:14], s[0:1], 0x48
	v_and_b32_e32 v6, 0x3ff, v0
	v_bfe_u32 v8, v0, 10, 10
	s_clause 0x2
	s_load_b128 s[8:11], s[0:1], 0x20
	s_load_b64 s[28:29], s[0:1], 0x38
	s_load_b64 s[24:25], s[0:1], 0x58
	s_wait_xcnt 0x0
	s_bfe_u32 s1, ttmp6, 0x4000c
	s_bfe_u32 s3, ttmp6, 0x40010
	s_and_b32 s31, ttmp7, 0xffff
	v_lshl_add_u32 v1, v8, 4, v6
	s_add_co_i32 s1, s1, 1
	s_add_co_i32 s3, s3, 1
	s_and_b32 s0, ttmp6, 15
	s_mul_i32 s1, ttmp9, s1
	s_mul_i32 s33, s31, s3
	s_bfe_u32 s34, ttmp6, 0x40004
	v_dual_lshrrev_b32 v25, 5, v1 :: v_dual_bitop2_b32 v4, 7, v0 bitop3:0x40
	s_add_co_i32 s0, s0, s1
	s_add_co_i32 s34, s34, s33
	s_wait_kmcnt 0x0
	s_ashr_i32 s3, s18, 31
	s_ashr_i32 s27, s26, 31
	;; [unrolled: 1-line block ×3, first 2 shown]
	v_dual_mov_b32 v7, 0 :: v_dual_lshlrev_b32 v9, 3, v4
	s_cmp_eq_u32 s2, 0
	v_dual_lshrrev_b32 v1, 3, v1 :: v_dual_bitop2_b32 v3, 31, v1 bitop3:0x40
	s_cselect_b32 s0, ttmp9, s0
	s_cselect_b32 s1, s31, s34
	s_lshl_b32 s31, s0, 5
	v_mov_b32_e32 v5, v7
	s_lshl_b32 s1, s1, 5
	s_delay_alu instid0(SALU_CYCLE_1) | instskip(SKIP_1) | instid1(VALU_DEP_3)
	v_dual_add_nc_u32 v2, s1, v1 :: v_dual_bitop2_b32 v0, s31, v3 bitop3:0x54
	v_lshlrev_b32_e32 v3, 3, v3
	v_mul_u64_e32 v[16:17], s[26:27], v[4:5]
	v_lshl_or_b32 v9, v1, 6, v9
	s_delay_alu instid0(VALU_DEP_4)
	v_ashrrev_i32_e32 v1, 31, v0
	v_dual_add_nc_u32 v18, s1, v8 :: v_dual_lshlrev_b32 v29, 3, v6
	s_mov_b32 s2, s18
	v_cmp_gt_i32_e32 vcc_lo, s4, v0
	v_lshl_or_b32 v5, v25, 8, v3
	v_ashrrev_i32_e32 v3, 31, v2
	v_mul_u64_e32 v[0:1], s[2:3], v[0:1]
	v_dual_add_nc_u32 v20, 16, v18 :: v_dual_ashrrev_i32 v19, 31, v18
	v_lshl_add_u32 v31, v8, 6, 0x800
	v_add_nc_u32_e32 v8, s31, v6
	s_cmp_neq_f32 s6, 0
	s_delay_alu instid0(VALU_DEP_3)
	v_ashrrev_i32_e32 v21, 31, v20
	v_mul_u64_e32 v[12:13], s[14:15], v[18:19]
	v_add_nc_u32_e32 v27, 0x800, v9
	s_cselect_b32 s0, -1, 0
	s_cmp_neq_f32 s7, 0
	v_mul_u64_e32 v[14:15], s[14:15], v[20:21]
	v_dual_add_nc_u32 v10, 16, v8 :: v_dual_ashrrev_i32 v9, 31, v8
	s_cselect_b32 s18, -1, 0
	v_lshlrev_b32_e32 v6, 3, v25
	s_or_b32 s34, s0, s18
	v_cmp_gt_i32_e64 s0, s4, v2
	v_lshlrev_b64_e32 v[2:3], 3, v[2:3]
	v_ashrrev_i32_e32 v11, 31, v10
	s_cmp_gt_i32 s5, 0
	v_cmp_le_i32_e64 s1, v18, v8
	s_cselect_b32 s35, -1, 0
	s_cmp_neq_f32 s20, 0
	v_cmp_gt_i32_e64 s2, s4, v8
	v_lshl_add_u64 v[2:3], v[16:17], 3, v[2:3]
	v_cmp_le_i32_e64 s3, v18, v10
	v_cmp_gt_i32_e64 s4, s4, v10
	s_cselect_b32 s18, -1, 0
	s_xor_b32 s30, s30, -1
	v_add_nc_u64_e32 v[2:3], s[10:11], v[2:3]
	s_or_b32 s18, s18, s30
	v_lshl_add_u64 v[0:1], v[0:1], 3, v[6:7]
	s_and_b32 s30, s1, s2
	s_and_b32 s31, s3, s4
	v_cmp_le_i32_e64 s1, v20, v8
	v_cmp_le_i32_e64 s3, v20, v10
	v_add_nc_u64_e32 v[16:17], s[16:17], v[0:1]
	v_add_nc_u64_e32 v[18:19], 4, v[2:3]
	s_mov_b32 s10, s7
	s_and_b32 s33, s1, s2
	s_and_b32 s4, s3, s4
	s_mov_b32 s2, s20
	s_mov_b32 s3, s20
	;; [unrolled: 1-line block ×4, first 2 shown]
	s_lshl_b64 s[8:9], s[8:9], 3
	s_lshl_b64 s[14:15], s[28:29], 3
	s_and_b32 s28, s34, s35
	s_lshl_b64 s[16:17], s[26:27], 6
	s_xor_b32 s26, vcc_lo, -1
	s_xor_b32 s27, s0, -1
	s_branch .LBB107_6
.LBB107_5:                              ;   in Loop: Header=BB107_6 Depth=1
	s_wait_xcnt 0x0
	s_or_b32 exec_lo, exec_lo, s0
	s_add_co_i32 s22, s22, 0x10000
	s_delay_alu instid0(SALU_CYCLE_1)
	s_cmp_lt_u32 s22, s19
	s_cbranch_scc0 .LBB107_37
.LBB107_6:                              ; =>This Loop Header: Depth=1
                                        ;     Child Loop BB107_9 Depth 2
	v_dual_mov_b32 v34, 0 :: v_dual_mov_b32 v36, 0
	v_dual_mov_b32 v30, 0 :: v_dual_mov_b32 v32, 0
	;; [unrolled: 1-line block ×4, first 2 shown]
	s_and_not1_b32 vcc_lo, exec_lo, s28
	s_cbranch_vccnz .LBB107_17
; %bb.7:                                ;   in Loop: Header=BB107_6 Depth=1
	v_mad_nc_u64_u32 v[20:21], s8, s22, v[16:17]
	v_mad_nc_u64_u32 v[22:23], s14, s22, v[18:19]
	v_dual_mov_b32 v24, 0 :: v_dual_mov_b32 v6, 0
	v_dual_mov_b32 v28, 0 :: v_dual_mov_b32 v26, 0
	;; [unrolled: 1-line block ×4, first 2 shown]
	s_mov_b32 s0, 0
	v_mad_u32 v21, s9, s22, v21
	v_mad_u32 v23, s15, s22, v23
	s_branch .LBB107_9
.LBB107_8:                              ;   in Loop: Header=BB107_9 Depth=2
	s_wait_xcnt 0x0
	s_or_b32 exec_lo, exec_lo, s1
	ds_store_b32 v27, v0 offset:4
	s_wait_dscnt 0x0
	s_barrier_signal -1
	s_barrier_wait -1
	ds_load_b128 v[38:41], v31
	ds_load_b128 v[42:45], v31 offset:16
	ds_load_b128 v[46:49], v31 offset:32
	;; [unrolled: 1-line block ×3, first 2 shown]
	ds_load_2addr_b64 v[50:53], v29 offset1:16
	v_add_nc_u64_e32 v[20:21], 64, v[20:21]
	v_add_nc_u64_e32 v[22:23], s[16:17], v[22:23]
	s_add_co_i32 s0, s0, 8
	s_delay_alu instid0(SALU_CYCLE_1) | instskip(SKIP_2) | instid1(VALU_DEP_1)
	s_cmp_lt_i32 s0, s5
	s_wait_dscnt 0x0
	v_dual_mul_f32 v33, v39, v51 :: v_dual_mul_f32 v35, v38, v51
	v_dual_fma_f32 v33, v38, v50, -v33 :: v_dual_fmac_f32 v35, v39, v50
	s_delay_alu instid0(VALU_DEP_1) | instskip(SKIP_1) | instid1(VALU_DEP_1)
	v_dual_add_f32 v54, v34, v33 :: v_dual_add_f32 v55, v36, v35
	v_dual_mul_f32 v33, v39, v53 :: v_dual_mul_f32 v34, v38, v53
	v_dual_fma_f32 v33, v38, v52, -v33 :: v_dual_fmac_f32 v34, v39, v52
	s_delay_alu instid0(VALU_DEP_1) | instskip(SKIP_3) | instid1(VALU_DEP_1)
	v_dual_add_f32 v30, v30, v33 :: v_dual_add_f32 v56, v32, v34
	ds_load_b128 v[32:35], v31 offset:1024
	s_wait_dscnt 0x0
	v_dual_mul_f32 v36, v33, v51 :: v_dual_mul_f32 v37, v32, v51
	v_dual_fma_f32 v36, v32, v50, -v36 :: v_dual_fmac_f32 v37, v33, v50
	s_delay_alu instid0(VALU_DEP_1) | instskip(SKIP_1) | instid1(VALU_DEP_1)
	v_dual_add_f32 v26, v26, v36 :: v_dual_add_f32 v28, v28, v37
	v_mul_f32_e32 v36, v33, v53
	v_dual_fma_f32 v36, v32, v52, -v36 :: v_dual_mul_f32 v32, v32, v53
	s_delay_alu instid0(VALU_DEP_1) | instskip(SKIP_3) | instid1(VALU_DEP_1)
	v_add_f32_e32 v6, v6, v36
	ds_load_2addr_b64 v[36:39], v29 offset0:32 offset1:48
	s_wait_dscnt 0x0
	v_dual_fmac_f32 v32, v33, v52 :: v_dual_mul_f32 v33, v40, v37
	v_dual_add_f32 v24, v24, v32 :: v_dual_mul_f32 v32, v41, v37
	s_delay_alu instid0(VALU_DEP_1) | instskip(NEXT) | instid1(VALU_DEP_1)
	v_dual_fmac_f32 v33, v41, v36 :: v_dual_fma_f32 v32, v40, v36, -v32
	v_dual_add_f32 v50, v54, v32 :: v_dual_mul_f32 v32, v41, v39
	s_delay_alu instid0(VALU_DEP_1) | instskip(NEXT) | instid1(VALU_DEP_1)
	v_dual_add_f32 v51, v55, v33 :: v_dual_fma_f32 v32, v40, v38, -v32
	v_dual_mul_f32 v33, v40, v39 :: v_dual_add_f32 v30, v30, v32
	s_delay_alu instid0(VALU_DEP_1) | instskip(NEXT) | instid1(VALU_DEP_1)
	v_dual_fmac_f32 v33, v41, v38 :: v_dual_mul_f32 v32, v35, v37
	v_dual_add_f32 v40, v56, v33 :: v_dual_fma_f32 v32, v34, v36, -v32
	v_mul_f32_e32 v33, v34, v37
	s_delay_alu instid0(VALU_DEP_2) | instskip(NEXT) | instid1(VALU_DEP_1)
	v_dual_add_f32 v26, v26, v32 :: v_dual_mul_f32 v32, v35, v39
	v_dual_fmac_f32 v33, v35, v36 :: v_dual_fma_f32 v32, v34, v38, -v32
	s_delay_alu instid0(VALU_DEP_1) | instskip(NEXT) | instid1(VALU_DEP_1)
	v_dual_add_f32 v28, v28, v33 :: v_dual_mul_f32 v33, v34, v39
	v_dual_add_f32 v6, v6, v32 :: v_dual_fmac_f32 v33, v35, v38
	s_delay_alu instid0(VALU_DEP_1) | instskip(SKIP_3) | instid1(VALU_DEP_1)
	v_add_f32_e32 v24, v24, v33
	ds_load_2addr_b64 v[32:35], v29 offset0:64 offset1:80
	s_wait_dscnt 0x0
	v_dual_mul_f32 v36, v43, v33 :: v_dual_mul_f32 v37, v42, v33
	v_dual_fma_f32 v36, v42, v32, -v36 :: v_dual_fmac_f32 v37, v43, v32
	s_delay_alu instid0(VALU_DEP_1) | instskip(SKIP_1) | instid1(VALU_DEP_1)
	v_dual_add_f32 v41, v50, v36 :: v_dual_add_f32 v50, v51, v37
	v_dual_mul_f32 v36, v43, v35 :: v_dual_mul_f32 v37, v42, v35
	v_dual_fma_f32 v36, v42, v34, -v36 :: v_dual_fmac_f32 v37, v43, v34
	s_delay_alu instid0(VALU_DEP_1) | instskip(SKIP_3) | instid1(VALU_DEP_1)
	v_dual_add_f32 v30, v30, v36 :: v_dual_add_f32 v40, v40, v37
	ds_load_b128 v[36:39], v31 offset:1040
	s_wait_dscnt 0x0
	v_dual_mul_f32 v42, v37, v33 :: v_dual_mul_f32 v33, v36, v33
	v_dual_fma_f32 v42, v36, v32, -v42 :: v_dual_fmac_f32 v33, v37, v32
	s_delay_alu instid0(VALU_DEP_1) | instskip(NEXT) | instid1(VALU_DEP_2)
	v_dual_mul_f32 v32, v37, v35 :: v_dual_add_f32 v26, v26, v42
	v_add_f32_e32 v28, v28, v33
	s_delay_alu instid0(VALU_DEP_2) | instskip(NEXT) | instid1(VALU_DEP_1)
	v_dual_mul_f32 v33, v36, v35 :: v_dual_fma_f32 v32, v36, v34, -v32
	v_dual_fmac_f32 v33, v37, v34 :: v_dual_add_f32 v6, v6, v32
	s_delay_alu instid0(VALU_DEP_1) | instskip(SKIP_3) | instid1(VALU_DEP_1)
	v_add_f32_e32 v24, v24, v33
	ds_load_2addr_b64 v[32:35], v29 offset0:96 offset1:112
	s_wait_dscnt 0x0
	v_dual_mul_f32 v36, v45, v33 :: v_dual_mul_f32 v37, v44, v33
	v_dual_mul_f32 v42, v44, v35 :: v_dual_fma_f32 v36, v44, v32, -v36
	s_delay_alu instid0(VALU_DEP_1) | instskip(NEXT) | instid1(VALU_DEP_1)
	v_dual_fmac_f32 v37, v45, v32 :: v_dual_fmac_f32 v42, v45, v34
	v_dual_add_f32 v36, v41, v36 :: v_dual_add_f32 v37, v50, v37
	s_delay_alu instid0(VALU_DEP_2) | instskip(NEXT) | instid1(VALU_DEP_1)
	v_dual_mul_f32 v41, v45, v35 :: v_dual_add_f32 v40, v40, v42
	v_fma_f32 v41, v44, v34, -v41
	s_delay_alu instid0(VALU_DEP_1) | instskip(SKIP_1) | instid1(VALU_DEP_1)
	v_add_f32_e32 v30, v30, v41
	v_dual_mul_f32 v41, v39, v33 :: v_dual_mul_f32 v33, v38, v33
	v_fmac_f32_e32 v33, v39, v32
	s_delay_alu instid0(VALU_DEP_2) | instskip(NEXT) | instid1(VALU_DEP_2)
	v_dual_fma_f32 v41, v38, v32, -v41 :: v_dual_mul_f32 v32, v39, v35
	v_dual_add_f32 v28, v28, v33 :: v_dual_mul_f32 v33, v38, v35
	s_delay_alu instid0(VALU_DEP_2) | instskip(NEXT) | instid1(VALU_DEP_2)
	v_fma_f32 v32, v38, v34, -v32
	v_dual_add_f32 v26, v26, v41 :: v_dual_fmac_f32 v33, v39, v34
	s_delay_alu instid0(VALU_DEP_1) | instskip(SKIP_3) | instid1(VALU_DEP_1)
	v_dual_add_f32 v6, v6, v32 :: v_dual_add_f32 v24, v24, v33
	ds_load_2addr_b64 v[32:35], v29 offset0:128 offset1:144
	s_wait_dscnt 0x0
	v_dual_mul_f32 v38, v47, v33 :: v_dual_mul_f32 v39, v46, v33
	v_dual_fma_f32 v38, v46, v32, -v38 :: v_dual_fmac_f32 v39, v47, v32
	s_delay_alu instid0(VALU_DEP_1) | instskip(SKIP_1) | instid1(VALU_DEP_1)
	v_dual_add_f32 v41, v36, v38 :: v_dual_add_f32 v42, v37, v39
	v_dual_mul_f32 v36, v47, v35 :: v_dual_mul_f32 v37, v46, v35
	v_dual_fma_f32 v36, v46, v34, -v36 :: v_dual_fmac_f32 v37, v47, v34
	s_delay_alu instid0(VALU_DEP_1) | instskip(SKIP_3) | instid1(VALU_DEP_1)
	v_dual_add_f32 v30, v30, v36 :: v_dual_add_f32 v40, v40, v37
	ds_load_b128 v[36:39], v31 offset:1056
	s_wait_dscnt 0x0
	v_dual_mul_f32 v43, v37, v33 :: v_dual_mul_f32 v33, v36, v33
	v_dual_fma_f32 v43, v36, v32, -v43 :: v_dual_fmac_f32 v33, v37, v32
	v_mul_f32_e32 v32, v37, v35
	s_delay_alu instid0(VALU_DEP_2) | instskip(NEXT) | instid1(VALU_DEP_2)
	v_dual_add_f32 v26, v26, v43 :: v_dual_add_f32 v28, v28, v33
	v_dual_mul_f32 v33, v36, v35 :: v_dual_fma_f32 v32, v36, v34, -v32
	s_delay_alu instid0(VALU_DEP_1) | instskip(NEXT) | instid1(VALU_DEP_1)
	v_dual_fmac_f32 v33, v37, v34 :: v_dual_add_f32 v6, v6, v32
	v_add_f32_e32 v24, v24, v33
	ds_load_2addr_b64 v[32:35], v29 offset0:160 offset1:176
	s_wait_dscnt 0x0
	v_dual_mul_f32 v36, v49, v33 :: v_dual_mul_f32 v37, v48, v33
	s_delay_alu instid0(VALU_DEP_1) | instskip(NEXT) | instid1(VALU_DEP_1)
	v_dual_fma_f32 v36, v48, v32, -v36 :: v_dual_fmac_f32 v37, v49, v32
	v_dual_add_f32 v36, v41, v36 :: v_dual_add_f32 v37, v42, v37
	v_dual_mul_f32 v41, v49, v35 :: v_dual_mul_f32 v42, v48, v35
	s_delay_alu instid0(VALU_DEP_1) | instskip(NEXT) | instid1(VALU_DEP_1)
	v_dual_fma_f32 v41, v48, v34, -v41 :: v_dual_fmac_f32 v42, v49, v34
	v_dual_add_f32 v30, v30, v41 :: v_dual_add_f32 v40, v40, v42
	v_dual_mul_f32 v41, v39, v33 :: v_dual_mul_f32 v33, v38, v33
	s_delay_alu instid0(VALU_DEP_1) | instskip(NEXT) | instid1(VALU_DEP_2)
	v_fmac_f32_e32 v33, v39, v32
	v_dual_fma_f32 v41, v38, v32, -v41 :: v_dual_mul_f32 v32, v39, v35
	s_delay_alu instid0(VALU_DEP_2) | instskip(NEXT) | instid1(VALU_DEP_2)
	v_dual_add_f32 v28, v28, v33 :: v_dual_mul_f32 v33, v38, v35
	v_fma_f32 v32, v38, v34, -v32
	s_delay_alu instid0(VALU_DEP_2) | instskip(NEXT) | instid1(VALU_DEP_1)
	v_dual_add_f32 v26, v26, v41 :: v_dual_fmac_f32 v33, v39, v34
	v_dual_add_f32 v6, v6, v32 :: v_dual_add_f32 v24, v24, v33
	ds_load_2addr_b64 v[32:35], v29 offset0:192 offset1:208
	s_wait_dscnt 0x0
	v_dual_mul_f32 v38, v1, v33 :: v_dual_mul_f32 v39, v0, v33
	s_delay_alu instid0(VALU_DEP_1) | instskip(NEXT) | instid1(VALU_DEP_1)
	v_dual_fma_f32 v38, v0, v32, -v38 :: v_dual_fmac_f32 v39, v1, v32
	v_dual_add_f32 v44, v36, v38 :: v_dual_add_f32 v45, v37, v39
	v_mul_f32_e32 v36, v1, v35
	s_delay_alu instid0(VALU_DEP_1) | instskip(NEXT) | instid1(VALU_DEP_1)
	v_dual_fma_f32 v36, v0, v34, -v36 :: v_dual_mul_f32 v0, v0, v35
	v_dual_fmac_f32 v0, v1, v34 :: v_dual_add_f32 v1, v30, v36
	ds_load_b128 v[36:39], v31 offset:1072
	s_wait_dscnt 0x0
	v_dual_mul_f32 v30, v37, v33 :: v_dual_mul_f32 v33, v36, v33
	s_delay_alu instid0(VALU_DEP_1)
	v_fma_f32 v30, v36, v32, -v30
	v_add_f32_e32 v0, v40, v0
	ds_load_2addr_b64 v[40:43], v29 offset0:224 offset1:240
	v_dual_fmac_f32 v33, v37, v32 :: v_dual_mul_f32 v32, v36, v35
	v_dual_add_f32 v26, v26, v30 :: v_dual_mul_f32 v30, v37, v35
	s_wait_dscnt 0x0
	s_delay_alu instid0(VALU_DEP_2) | instskip(SKIP_1) | instid1(VALU_DEP_2)
	v_dual_add_f32 v28, v28, v33 :: v_dual_fmac_f32 v32, v37, v34
	s_barrier_signal -1
	v_fma_f32 v30, v36, v34, -v30
	s_barrier_wait -1
	s_delay_alu instid0(VALU_DEP_1) | instskip(SKIP_1) | instid1(VALU_DEP_1)
	v_dual_add_f32 v24, v24, v32 :: v_dual_add_f32 v6, v6, v30
	v_dual_mul_f32 v30, v3, v41 :: v_dual_mul_f32 v32, v2, v41
	v_dual_fma_f32 v30, v2, v40, -v30 :: v_dual_fmac_f32 v32, v3, v40
	s_delay_alu instid0(VALU_DEP_1) | instskip(SKIP_1) | instid1(VALU_DEP_1)
	v_dual_add_f32 v34, v44, v30 :: v_dual_add_f32 v36, v45, v32
	v_mul_f32_e32 v30, v3, v43
	v_dual_fma_f32 v30, v2, v42, -v30 :: v_dual_mul_f32 v2, v2, v43
	s_delay_alu instid0(VALU_DEP_1) | instskip(NEXT) | instid1(VALU_DEP_1)
	v_fmac_f32_e32 v2, v3, v42
	v_dual_add_f32 v32, v0, v2 :: v_dual_mul_f32 v0, v39, v41
	s_delay_alu instid0(VALU_DEP_3) | instskip(NEXT) | instid1(VALU_DEP_1)
	v_dual_add_f32 v30, v1, v30 :: v_dual_mul_f32 v1, v38, v41
	v_dual_fma_f32 v0, v38, v40, -v0 :: v_dual_fmac_f32 v1, v39, v40
	s_delay_alu instid0(VALU_DEP_1) | instskip(NEXT) | instid1(VALU_DEP_2)
	v_dual_add_f32 v26, v26, v0 :: v_dual_mul_f32 v0, v39, v43
	v_dual_add_f32 v28, v28, v1 :: v_dual_mul_f32 v1, v38, v43
	s_delay_alu instid0(VALU_DEP_1) | instskip(NEXT) | instid1(VALU_DEP_1)
	v_dual_fma_f32 v0, v38, v42, -v0 :: v_dual_fmac_f32 v1, v39, v42
	v_dual_add_f32 v6, v6, v0 :: v_dual_add_f32 v24, v24, v1
	s_cbranch_scc0 .LBB107_17
.LBB107_9:                              ;   Parent Loop BB107_6 Depth=1
                                        ; =>  This Inner Loop Header: Depth=2
	v_add_nc_u32_e32 v0, s0, v25
	s_delay_alu instid0(VALU_DEP_1) | instskip(SKIP_1) | instid1(SALU_CYCLE_1)
	v_cmp_le_i32_e32 vcc_lo, s5, v0
	s_or_b32 s1, s26, vcc_lo
	s_and_saveexec_b32 s29, s1
	s_delay_alu instid0(SALU_CYCLE_1)
	s_xor_b32 s1, exec_lo, s29
; %bb.10:                               ;   in Loop: Header=BB107_9 Depth=2
	ds_store_b32 v5, v7
; %bb.11:                               ;   in Loop: Header=BB107_9 Depth=2
	s_or_saveexec_b32 s1, s1
	v_mov_b32_e32 v0, 0
	s_xor_b32 exec_lo, exec_lo, s1
	s_cbranch_execz .LBB107_13
; %bb.12:                               ;   in Loop: Header=BB107_9 Depth=2
	global_load_b64 v[2:3], v[20:21], off
	s_wait_loadcnt 0x0
	v_xor_b32_e32 v0, 0x80000000, v3
	ds_store_b32 v5, v2
.LBB107_13:                             ;   in Loop: Header=BB107_9 Depth=2
	s_wait_xcnt 0x0
	s_or_b32 exec_lo, exec_lo, s1
	v_add_nc_u32_e32 v1, s0, v4
	ds_store_b32 v5, v0 offset:4
	v_cmp_le_i32_e32 vcc_lo, s5, v1
	s_or_b32 s1, vcc_lo, s27
	s_delay_alu instid0(SALU_CYCLE_1) | instskip(NEXT) | instid1(SALU_CYCLE_1)
	s_and_saveexec_b32 s29, s1
	s_xor_b32 s1, exec_lo, s29
; %bb.14:                               ;   in Loop: Header=BB107_9 Depth=2
	ds_store_b32 v27, v7
; %bb.15:                               ;   in Loop: Header=BB107_9 Depth=2
	s_or_saveexec_b32 s1, s1
	v_mov_b32_e32 v0, 0
	s_xor_b32 exec_lo, exec_lo, s1
	s_cbranch_execz .LBB107_8
; %bb.16:                               ;   in Loop: Header=BB107_9 Depth=2
	global_load_b64 v[2:3], v[22:23], off offset:-4
	s_wait_loadcnt 0x0
	v_xor_b32_e32 v0, 0x80000000, v3
	ds_store_b32 v27, v2
	s_branch .LBB107_8
.LBB107_17:                             ;   in Loop: Header=BB107_6 Depth=1
	s_mul_u64 s[0:1], s[24:25], s[22:23]
	s_delay_alu instid0(SALU_CYCLE_1) | instskip(NEXT) | instid1(SALU_CYCLE_1)
	s_lshl_b64 s[0:1], s[0:1], 3
	s_add_nc_u64 s[0:1], s[12:13], s[0:1]
	s_delay_alu instid0(SALU_CYCLE_1)
	v_lshl_add_u64 v[0:1], v[12:13], 3, s[0:1]
	s_and_saveexec_b32 s29, s30
	s_cbranch_execz .LBB107_22
; %bb.18:                               ;   in Loop: Header=BB107_6 Depth=1
	v_mov_b64_e32 v[2:3], s[10:11]
	v_mov_b64_e32 v[20:21], s[6:7]
	s_and_b32 vcc_lo, exec_lo, s18
	s_mov_b32 s34, -1
	s_delay_alu instid0(VALU_DEP_2) | instskip(NEXT) | instid1(VALU_DEP_1)
	v_pk_mul_f32 v[2:3], v[36:37], v[2:3] op_sel_hi:[0,1]
	v_pk_fma_f32 v[22:23], v[34:35], v[20:21], v[2:3] op_sel_hi:[0,1,1]
	v_pk_fma_f32 v[2:3], v[34:35], v[20:21], v[2:3] neg_lo:[0,0,1] neg_hi:[0,0,1]
	v_lshl_add_u64 v[20:21], v[8:9], 3, v[0:1]
	s_delay_alu instid0(VALU_DEP_3)
	v_mov_b32_e32 v3, v23
	s_cbranch_vccz .LBB107_20
; %bb.19:                               ;   in Loop: Header=BB107_6 Depth=1
	global_load_b64 v[22:23], v[20:21], off
	v_mov_b64_e32 v[34:35], s[20:21]
	v_mov_b64_e32 v[36:37], s[2:3]
	s_mov_b32 s34, 0
	s_wait_loadcnt 0x0
	s_delay_alu instid0(VALU_DEP_2) | instskip(NEXT) | instid1(VALU_DEP_1)
	v_pk_mul_f32 v[34:35], v[22:23], v[34:35]
	v_pk_fma_f32 v[38:39], v[22:23], v[36:37], v[34:35] op_sel:[0,0,1] op_sel_hi:[1,1,0]
	v_pk_fma_f32 v[22:23], v[22:23], v[36:37], v[34:35] op_sel:[0,0,1] op_sel_hi:[1,1,0] neg_lo:[0,0,1] neg_hi:[0,0,1]
	s_delay_alu instid0(VALU_DEP_2) | instskip(NEXT) | instid1(VALU_DEP_1)
	v_mov_b32_e32 v23, v39
	v_pk_add_f32 v[22:23], v[2:3], v[22:23]
	global_store_b64 v[20:21], v[22:23], off
.LBB107_20:                             ;   in Loop: Header=BB107_6 Depth=1
	s_and_not1_b32 vcc_lo, exec_lo, s34
	s_cbranch_vccnz .LBB107_22
; %bb.21:                               ;   in Loop: Header=BB107_6 Depth=1
	global_store_b64 v[20:21], v[2:3], off
.LBB107_22:                             ;   in Loop: Header=BB107_6 Depth=1
	s_wait_xcnt 0x0
	s_or_b32 exec_lo, exec_lo, s29
	s_and_saveexec_b32 s29, s31
	s_cbranch_execz .LBB107_27
; %bb.23:                               ;   in Loop: Header=BB107_6 Depth=1
	v_mov_b64_e32 v[2:3], s[10:11]
	v_mov_b64_e32 v[20:21], s[6:7]
	v_lshl_add_u64 v[0:1], v[10:11], 3, v[0:1]
	s_and_not1_b32 vcc_lo, exec_lo, s18
	s_mov_b32 s34, -1
	s_delay_alu instid0(VALU_DEP_3) | instskip(NEXT) | instid1(VALU_DEP_1)
	v_pk_mul_f32 v[2:3], v[32:33], v[2:3] op_sel_hi:[0,1]
	v_pk_fma_f32 v[22:23], v[30:31], v[20:21], v[2:3] op_sel_hi:[0,1,1]
	v_pk_fma_f32 v[2:3], v[30:31], v[20:21], v[2:3] neg_lo:[0,0,1] neg_hi:[0,0,1]
	s_delay_alu instid0(VALU_DEP_2)
	v_mov_b32_e32 v3, v23
	s_cbranch_vccnz .LBB107_25
; %bb.24:                               ;   in Loop: Header=BB107_6 Depth=1
	global_load_b64 v[20:21], v[0:1], off
	v_mov_b64_e32 v[22:23], s[20:21]
	v_mov_b64_e32 v[32:33], s[2:3]
	s_mov_b32 s34, 0
	s_wait_loadcnt 0x0
	s_delay_alu instid0(VALU_DEP_2) | instskip(NEXT) | instid1(VALU_DEP_1)
	v_pk_mul_f32 v[22:23], v[20:21], v[22:23]
	v_pk_fma_f32 v[34:35], v[20:21], v[32:33], v[22:23] op_sel:[0,0,1] op_sel_hi:[1,1,0]
	v_pk_fma_f32 v[20:21], v[20:21], v[32:33], v[22:23] op_sel:[0,0,1] op_sel_hi:[1,1,0] neg_lo:[0,0,1] neg_hi:[0,0,1]
	s_delay_alu instid0(VALU_DEP_2) | instskip(NEXT) | instid1(VALU_DEP_1)
	v_mov_b32_e32 v21, v35
	v_pk_add_f32 v[20:21], v[2:3], v[20:21]
	global_store_b64 v[0:1], v[20:21], off
.LBB107_25:                             ;   in Loop: Header=BB107_6 Depth=1
	s_and_not1_b32 vcc_lo, exec_lo, s34
	s_cbranch_vccnz .LBB107_27
; %bb.26:                               ;   in Loop: Header=BB107_6 Depth=1
	global_store_b64 v[0:1], v[2:3], off
.LBB107_27:                             ;   in Loop: Header=BB107_6 Depth=1
	s_wait_xcnt 0x0
	s_or_b32 exec_lo, exec_lo, s29
	v_lshl_add_u64 v[0:1], v[14:15], 3, s[0:1]
	s_and_saveexec_b32 s0, s33
	s_cbranch_execz .LBB107_32
; %bb.28:                               ;   in Loop: Header=BB107_6 Depth=1
	v_mov_b64_e32 v[2:3], s[10:11]
	v_mov_b64_e32 v[20:21], s[6:7]
	s_and_not1_b32 vcc_lo, exec_lo, s18
	s_mov_b32 s1, -1
	s_delay_alu instid0(VALU_DEP_2) | instskip(NEXT) | instid1(VALU_DEP_1)
	v_pk_mul_f32 v[2:3], v[28:29], v[2:3] op_sel_hi:[0,1]
	v_pk_fma_f32 v[22:23], v[26:27], v[20:21], v[2:3] op_sel_hi:[0,1,1]
	v_pk_fma_f32 v[2:3], v[26:27], v[20:21], v[2:3] neg_lo:[0,0,1] neg_hi:[0,0,1]
	v_lshl_add_u64 v[20:21], v[8:9], 3, v[0:1]
	s_delay_alu instid0(VALU_DEP_3)
	v_mov_b32_e32 v3, v23
	s_cbranch_vccnz .LBB107_30
; %bb.29:                               ;   in Loop: Header=BB107_6 Depth=1
	global_load_b64 v[22:23], v[20:21], off
	v_mov_b64_e32 v[32:33], s[20:21]
	v_mov_b64_e32 v[34:35], s[2:3]
	s_mov_b32 s1, 0
	s_wait_loadcnt 0x0
	s_delay_alu instid0(VALU_DEP_2) | instskip(NEXT) | instid1(VALU_DEP_1)
	v_pk_mul_f32 v[32:33], v[22:23], v[32:33]
	v_pk_fma_f32 v[36:37], v[22:23], v[34:35], v[32:33] op_sel:[0,0,1] op_sel_hi:[1,1,0]
	v_pk_fma_f32 v[22:23], v[22:23], v[34:35], v[32:33] op_sel:[0,0,1] op_sel_hi:[1,1,0] neg_lo:[0,0,1] neg_hi:[0,0,1]
	s_delay_alu instid0(VALU_DEP_2) | instskip(NEXT) | instid1(VALU_DEP_1)
	v_mov_b32_e32 v23, v37
	v_pk_add_f32 v[22:23], v[2:3], v[22:23]
	global_store_b64 v[20:21], v[22:23], off
.LBB107_30:                             ;   in Loop: Header=BB107_6 Depth=1
	s_and_not1_b32 vcc_lo, exec_lo, s1
	s_cbranch_vccnz .LBB107_32
; %bb.31:                               ;   in Loop: Header=BB107_6 Depth=1
	global_store_b64 v[20:21], v[2:3], off
.LBB107_32:                             ;   in Loop: Header=BB107_6 Depth=1
	s_wait_xcnt 0x0
	s_or_b32 exec_lo, exec_lo, s0
	s_and_saveexec_b32 s0, s4
	s_cbranch_execz .LBB107_5
; %bb.33:                               ;   in Loop: Header=BB107_6 Depth=1
	v_mov_b64_e32 v[2:3], s[10:11]
	v_mov_b64_e32 v[20:21], s[6:7]
	v_lshl_add_u64 v[0:1], v[10:11], 3, v[0:1]
	s_and_not1_b32 vcc_lo, exec_lo, s18
	s_mov_b32 s1, -1
	s_delay_alu instid0(VALU_DEP_3) | instskip(NEXT) | instid1(VALU_DEP_1)
	v_pk_mul_f32 v[2:3], v[24:25], v[2:3] op_sel_hi:[0,1]
	v_pk_fma_f32 v[22:23], v[6:7], v[20:21], v[2:3] op_sel_hi:[0,1,1]
	v_pk_fma_f32 v[2:3], v[6:7], v[20:21], v[2:3] neg_lo:[0,0,1] neg_hi:[0,0,1]
	s_delay_alu instid0(VALU_DEP_2)
	v_mov_b32_e32 v3, v23
	s_cbranch_vccnz .LBB107_35
; %bb.34:                               ;   in Loop: Header=BB107_6 Depth=1
	global_load_b64 v[20:21], v[0:1], off
	v_mov_b64_e32 v[22:23], s[20:21]
	v_mov_b64_e32 v[32:33], s[2:3]
	s_mov_b32 s1, 0
	s_wait_loadcnt 0x0
	s_delay_alu instid0(VALU_DEP_2) | instskip(NEXT) | instid1(VALU_DEP_1)
	v_pk_mul_f32 v[22:23], v[20:21], v[22:23]
	v_pk_fma_f32 v[34:35], v[20:21], v[32:33], v[22:23] op_sel:[0,0,1] op_sel_hi:[1,1,0]
	v_pk_fma_f32 v[20:21], v[20:21], v[32:33], v[22:23] op_sel:[0,0,1] op_sel_hi:[1,1,0] neg_lo:[0,0,1] neg_hi:[0,0,1]
	s_delay_alu instid0(VALU_DEP_2) | instskip(NEXT) | instid1(VALU_DEP_1)
	v_mov_b32_e32 v21, v35
	v_pk_add_f32 v[20:21], v[2:3], v[20:21]
	global_store_b64 v[0:1], v[20:21], off
.LBB107_35:                             ;   in Loop: Header=BB107_6 Depth=1
	s_and_not1_b32 vcc_lo, exec_lo, s1
	s_cbranch_vccnz .LBB107_5
; %bb.36:                               ;   in Loop: Header=BB107_6 Depth=1
	global_store_b64 v[0:1], v[2:3], off
	s_branch .LBB107_5
.LBB107_37:
	s_endpgm
	.section	.rodata,"a",@progbits
	.p2align	6, 0x0
	.amdhsa_kernel _ZL29rocblas_internal_gemmt_kernelIiLi16ELi32ELi8ELc67ELc67ELc76ELb1ELb1E19rocblas_complex_numIfES1_PKS1_PS1_EviT_T9_T10_S5_lS7_S5_lS6_T11_S5_li
		.amdhsa_group_segment_fixed_size 4096
		.amdhsa_private_segment_fixed_size 0
		.amdhsa_kernarg_size 100
		.amdhsa_user_sgpr_count 2
		.amdhsa_user_sgpr_dispatch_ptr 0
		.amdhsa_user_sgpr_queue_ptr 0
		.amdhsa_user_sgpr_kernarg_segment_ptr 1
		.amdhsa_user_sgpr_dispatch_id 0
		.amdhsa_user_sgpr_kernarg_preload_length 0
		.amdhsa_user_sgpr_kernarg_preload_offset 0
		.amdhsa_user_sgpr_private_segment_size 0
		.amdhsa_wavefront_size32 1
		.amdhsa_uses_dynamic_stack 0
		.amdhsa_enable_private_segment 0
		.amdhsa_system_sgpr_workgroup_id_x 1
		.amdhsa_system_sgpr_workgroup_id_y 1
		.amdhsa_system_sgpr_workgroup_id_z 1
		.amdhsa_system_sgpr_workgroup_info 0
		.amdhsa_system_vgpr_workitem_id 1
		.amdhsa_next_free_vgpr 57
		.amdhsa_next_free_sgpr 36
		.amdhsa_named_barrier_count 0
		.amdhsa_reserve_vcc 1
		.amdhsa_float_round_mode_32 0
		.amdhsa_float_round_mode_16_64 0
		.amdhsa_float_denorm_mode_32 3
		.amdhsa_float_denorm_mode_16_64 3
		.amdhsa_fp16_overflow 0
		.amdhsa_memory_ordered 1
		.amdhsa_forward_progress 1
		.amdhsa_inst_pref_size 26
		.amdhsa_round_robin_scheduling 0
		.amdhsa_exception_fp_ieee_invalid_op 0
		.amdhsa_exception_fp_denorm_src 0
		.amdhsa_exception_fp_ieee_div_zero 0
		.amdhsa_exception_fp_ieee_overflow 0
		.amdhsa_exception_fp_ieee_underflow 0
		.amdhsa_exception_fp_ieee_inexact 0
		.amdhsa_exception_int_div_zero 0
	.end_amdhsa_kernel
	.section	.text._ZL29rocblas_internal_gemmt_kernelIiLi16ELi32ELi8ELc67ELc67ELc76ELb1ELb1E19rocblas_complex_numIfES1_PKS1_PS1_EviT_T9_T10_S5_lS7_S5_lS6_T11_S5_li,"axG",@progbits,_ZL29rocblas_internal_gemmt_kernelIiLi16ELi32ELi8ELc67ELc67ELc76ELb1ELb1E19rocblas_complex_numIfES1_PKS1_PS1_EviT_T9_T10_S5_lS7_S5_lS6_T11_S5_li,comdat
.Lfunc_end107:
	.size	_ZL29rocblas_internal_gemmt_kernelIiLi16ELi32ELi8ELc67ELc67ELc76ELb1ELb1E19rocblas_complex_numIfES1_PKS1_PS1_EviT_T9_T10_S5_lS7_S5_lS6_T11_S5_li, .Lfunc_end107-_ZL29rocblas_internal_gemmt_kernelIiLi16ELi32ELi8ELc67ELc67ELc76ELb1ELb1E19rocblas_complex_numIfES1_PKS1_PS1_EviT_T9_T10_S5_lS7_S5_lS6_T11_S5_li
                                        ; -- End function
	.set _ZL29rocblas_internal_gemmt_kernelIiLi16ELi32ELi8ELc67ELc67ELc76ELb1ELb1E19rocblas_complex_numIfES1_PKS1_PS1_EviT_T9_T10_S5_lS7_S5_lS6_T11_S5_li.num_vgpr, 57
	.set _ZL29rocblas_internal_gemmt_kernelIiLi16ELi32ELi8ELc67ELc67ELc76ELb1ELb1E19rocblas_complex_numIfES1_PKS1_PS1_EviT_T9_T10_S5_lS7_S5_lS6_T11_S5_li.num_agpr, 0
	.set _ZL29rocblas_internal_gemmt_kernelIiLi16ELi32ELi8ELc67ELc67ELc76ELb1ELb1E19rocblas_complex_numIfES1_PKS1_PS1_EviT_T9_T10_S5_lS7_S5_lS6_T11_S5_li.numbered_sgpr, 36
	.set _ZL29rocblas_internal_gemmt_kernelIiLi16ELi32ELi8ELc67ELc67ELc76ELb1ELb1E19rocblas_complex_numIfES1_PKS1_PS1_EviT_T9_T10_S5_lS7_S5_lS6_T11_S5_li.num_named_barrier, 0
	.set _ZL29rocblas_internal_gemmt_kernelIiLi16ELi32ELi8ELc67ELc67ELc76ELb1ELb1E19rocblas_complex_numIfES1_PKS1_PS1_EviT_T9_T10_S5_lS7_S5_lS6_T11_S5_li.private_seg_size, 0
	.set _ZL29rocblas_internal_gemmt_kernelIiLi16ELi32ELi8ELc67ELc67ELc76ELb1ELb1E19rocblas_complex_numIfES1_PKS1_PS1_EviT_T9_T10_S5_lS7_S5_lS6_T11_S5_li.uses_vcc, 1
	.set _ZL29rocblas_internal_gemmt_kernelIiLi16ELi32ELi8ELc67ELc67ELc76ELb1ELb1E19rocblas_complex_numIfES1_PKS1_PS1_EviT_T9_T10_S5_lS7_S5_lS6_T11_S5_li.uses_flat_scratch, 0
	.set _ZL29rocblas_internal_gemmt_kernelIiLi16ELi32ELi8ELc67ELc67ELc76ELb1ELb1E19rocblas_complex_numIfES1_PKS1_PS1_EviT_T9_T10_S5_lS7_S5_lS6_T11_S5_li.has_dyn_sized_stack, 0
	.set _ZL29rocblas_internal_gemmt_kernelIiLi16ELi32ELi8ELc67ELc67ELc76ELb1ELb1E19rocblas_complex_numIfES1_PKS1_PS1_EviT_T9_T10_S5_lS7_S5_lS6_T11_S5_li.has_recursion, 0
	.set _ZL29rocblas_internal_gemmt_kernelIiLi16ELi32ELi8ELc67ELc67ELc76ELb1ELb1E19rocblas_complex_numIfES1_PKS1_PS1_EviT_T9_T10_S5_lS7_S5_lS6_T11_S5_li.has_indirect_call, 0
	.section	.AMDGPU.csdata,"",@progbits
; Kernel info:
; codeLenInByte = 3272
; TotalNumSgprs: 38
; NumVgprs: 57
; ScratchSize: 0
; MemoryBound: 0
; FloatMode: 240
; IeeeMode: 1
; LDSByteSize: 4096 bytes/workgroup (compile time only)
; SGPRBlocks: 0
; VGPRBlocks: 3
; NumSGPRsForWavesPerEU: 38
; NumVGPRsForWavesPerEU: 57
; NamedBarCnt: 0
; Occupancy: 16
; WaveLimiterHint : 0
; COMPUTE_PGM_RSRC2:SCRATCH_EN: 0
; COMPUTE_PGM_RSRC2:USER_SGPR: 2
; COMPUTE_PGM_RSRC2:TRAP_HANDLER: 0
; COMPUTE_PGM_RSRC2:TGID_X_EN: 1
; COMPUTE_PGM_RSRC2:TGID_Y_EN: 1
; COMPUTE_PGM_RSRC2:TGID_Z_EN: 1
; COMPUTE_PGM_RSRC2:TIDIG_COMP_CNT: 1
	.section	.text._ZL29rocblas_internal_gemmt_kernelIiLi16ELi32ELi8ELc78ELc78ELc85ELb0ELb0E19rocblas_complex_numIdEPKS1_S3_PS1_EviT_T9_T10_S5_lS7_S5_lS6_T11_S5_li,"axG",@progbits,_ZL29rocblas_internal_gemmt_kernelIiLi16ELi32ELi8ELc78ELc78ELc85ELb0ELb0E19rocblas_complex_numIdEPKS1_S3_PS1_EviT_T9_T10_S5_lS7_S5_lS6_T11_S5_li,comdat
	.globl	_ZL29rocblas_internal_gemmt_kernelIiLi16ELi32ELi8ELc78ELc78ELc85ELb0ELb0E19rocblas_complex_numIdEPKS1_S3_PS1_EviT_T9_T10_S5_lS7_S5_lS6_T11_S5_li ; -- Begin function _ZL29rocblas_internal_gemmt_kernelIiLi16ELi32ELi8ELc78ELc78ELc85ELb0ELb0E19rocblas_complex_numIdEPKS1_S3_PS1_EviT_T9_T10_S5_lS7_S5_lS6_T11_S5_li
	.p2align	8
	.type	_ZL29rocblas_internal_gemmt_kernelIiLi16ELi32ELi8ELc78ELc78ELc85ELb0ELb0E19rocblas_complex_numIdEPKS1_S3_PS1_EviT_T9_T10_S5_lS7_S5_lS6_T11_S5_li,@function
_ZL29rocblas_internal_gemmt_kernelIiLi16ELi32ELi8ELc78ELc78ELc85ELb0ELb0E19rocblas_complex_numIdEPKS1_S3_PS1_EviT_T9_T10_S5_lS7_S5_lS6_T11_S5_li: ; @_ZL29rocblas_internal_gemmt_kernelIiLi16ELi32ELi8ELc78ELc78ELc85ELb0ELb0E19rocblas_complex_numIdEPKS1_S3_PS1_EviT_T9_T10_S5_lS7_S5_lS6_T11_S5_li
; %bb.0:
	s_load_b128 s[12:15], s[0:1], 0x38
	s_wait_kmcnt 0x0
	s_load_b128 s[4:7], s[14:15], 0x0
	s_load_b128 s[16:19], s[0:1], 0x8
	s_wait_xcnt 0x0
	s_load_b64 s[14:15], s[0:1], 0x0
	s_wait_kmcnt 0x0
	v_cmp_eq_f64_e64 s2, s[4:5], 1.0
	v_cmp_eq_f64_e64 s33, s[6:7], 0
	s_load_b128 s[8:11], s[16:17], 0x0
	s_and_b32 s2, s2, s33
	s_delay_alu instid0(SALU_CYCLE_1)
	s_and_not1_b32 vcc_lo, exec_lo, s2
	s_mov_b32 s2, -1
	s_cbranch_vccnz .LBB108_3
; %bb.1:
	s_cmp_lg_u32 s15, 0
	s_cbranch_scc0 .LBB108_38
; %bb.2:
	s_wait_kmcnt 0x0
	v_cmp_neq_f64_e64 s2, s[8:9], 0
	v_cmp_neq_f64_e64 s3, s[10:11], 0
	s_or_b32 s2, s2, s3
.LBB108_3:
	s_delay_alu instid0(SALU_CYCLE_1)
	s_and_b32 vcc_lo, exec_lo, s2
	s_cbranch_vccz .LBB108_39
; %bb.4:
	s_load_b32 s27, s[0:1], 0x60
	s_bfe_u32 s2, ttmp6, 0x40014
	s_lshr_b32 s3, ttmp7, 16
	s_add_co_i32 s2, s2, 1
	s_wait_xcnt 0x0
	s_bfe_u32 s16, ttmp6, 0x40008
	s_mul_i32 s2, s3, s2
	s_getreg_b32 s34, hwreg(HW_REG_IB_STS2, 6, 4)
	s_add_co_i32 s16, s16, s2
	s_cmp_eq_u32 s34, 0
	s_mov_b32 s17, 0
	s_cselect_b32 s16, s3, s16
	s_wait_kmcnt 0x0
	s_cmp_ge_u32 s16, s27
	s_cbranch_scc1 .LBB108_39
; %bb.5:
	s_clause 0x2
	s_load_b32 s30, s[0:1], 0x18
	s_load_b32 s2, s[0:1], 0x30
	s_load_b96 s[24:26], s[0:1], 0x48
	v_and_b32_e32 v1, 0x3ff, v0
	v_bfe_u32 v5, v0, 10, 10
	s_clause 0x1
	s_load_b128 s[20:23], s[0:1], 0x20
	s_load_b64 s[28:29], s[0:1], 0x58
	s_wait_xcnt 0x0
	s_bfe_u32 s1, ttmp6, 0x4000c
	s_bfe_u32 s39, ttmp6, 0x40010
	s_add_co_i32 s1, s1, 1
	s_add_co_i32 s39, s39, 1
	v_and_b32_e32 v38, 7, v0
	v_lshl_add_u32 v0, v5, 4, v1
	s_and_b32 s0, ttmp6, 15
	s_mul_i32 s1, ttmp9, s1
	s_bfe_u32 s40, ttmp6, 0x40004
	s_add_co_i32 s0, s0, s1
	v_dual_lshrrev_b32 v8, 3, v0 :: v_dual_bitop2_b32 v9, 31, v0 bitop3:0x40
	v_lshrrev_b32_e32 v6, 5, v0
	s_wait_kmcnt 0x0
	s_ashr_i32 s31, s30, 31
	s_ashr_i32 s3, s2, 31
	;; [unrolled: 1-line block ×3, first 2 shown]
	s_mov_b32 s36, s26
	s_and_b32 s26, ttmp7, 0xffff
	v_cmp_neq_f64_e64 s35, s[8:9], 0
	s_mul_i32 s39, s26, s39
	v_cmp_neq_f64_e64 s38, s[10:11], 0
	s_add_co_i32 s40, s40, s39
	s_cmp_eq_u32 s34, 0
	v_cmp_neq_f64_e64 s34, s[4:5], 0
	s_cselect_b32 s0, ttmp9, s0
	s_cselect_b32 s1, s26, s40
	s_lshl_b32 s26, s0, 5
	s_lshl_b32 s0, s1, 5
	s_delay_alu instid0(SALU_CYCLE_1) | instskip(SKIP_2) | instid1(VALU_DEP_3)
	v_dual_mov_b32 v0, 0 :: v_dual_add_nc_u32 v2, s0, v8
	v_or_b32_e32 v4, s26, v9
	v_dual_add_nc_u32 v16, s0, v5 :: v_dual_lshlrev_b32 v20, 4, v38
	v_dual_mov_b32 v7, v0 :: v_dual_ashrrev_i32 v3, 31, v2
	v_lshl_add_u32 v41, v5, 7, 0x1000
	s_delay_alu instid0(VALU_DEP_3) | instskip(NEXT) | instid1(VALU_DEP_3)
	v_dual_add_nc_u32 v24, 16, v16 :: v_dual_ashrrev_i32 v17, 31, v16
	v_mul_u64_e32 v[18:19], s[30:31], v[6:7]
	s_delay_alu instid0(VALU_DEP_4) | instskip(NEXT) | instid1(VALU_DEP_3)
	v_mul_u64_e32 v[22:23], s[2:3], v[2:3]
	v_dual_lshlrev_b32 v7, 4, v9 :: v_dual_ashrrev_i32 v25, 31, v24
	v_lshl_or_b32 v3, v8, 7, v20
	v_add_nc_u32_e32 v8, s26, v1
	v_mul_u64_e32 v[10:11], s[36:37], v[16:17]
	v_dual_ashrrev_i32 v5, 31, v4 :: v_dual_mov_b32 v21, v0
	v_mul_u64_e32 v[12:13], s[36:37], v[24:25]
	v_cmp_gt_i32_e64 s0, s14, v2
	v_add_nc_u32_e32 v39, 0x1000, v3
	s_delay_alu instid0(VALU_DEP_4)
	v_lshlrev_b64_e32 v[2:3], 4, v[4:5]
	v_dual_lshlrev_b32 v40, 4, v1 :: v_dual_add_nc_u32 v14, 16, v8
	s_or_b32 s38, s35, s38
	v_cmp_gt_i32_e32 vcc_lo, s14, v4
	v_cmp_gt_i32_e64 s1, s14, v16
	v_cmp_le_i32_e64 s2, v8, v16
	v_cmp_le_i32_e64 s3, v14, v16
	s_cmp_gt_i32 s15, 0
	v_lshl_or_b32 v7, v6, 9, v7
	s_cselect_b32 s39, -1, 0
	s_xor_b32 s26, s33, -1
	s_and_b32 s33, s1, s2
	s_or_b32 s26, s34, s26
	s_and_b32 s34, s1, s3
	v_cmp_gt_i32_e64 s1, s14, v24
	v_cmp_le_i32_e64 s2, v8, v24
	v_cmp_le_i32_e64 s3, v14, v24
	v_dual_ashrrev_i32 v9, 31, v8 :: v_dual_ashrrev_i32 v15, 31, v14
	v_lshl_add_u64 v[2:3], v[18:19], 4, v[2:3]
	v_lshl_add_u64 v[4:5], v[22:23], 4, v[20:21]
	s_and_b32 s14, s1, s2
	s_and_b32 s35, s1, s3
	s_lshl_b64 s[2:3], s[20:21], 4
	v_add_nc_u64_e32 v[16:17], s[18:19], v[2:3]
	v_add_nc_u64_e32 v[18:19], s[22:23], v[4:5]
	s_lshl_b64 s[18:19], s[30:31], 7
	s_and_b32 s20, s38, s39
	s_lshl_b64 s[12:13], s[12:13], 4
	s_xor_b32 s21, vcc_lo, -1
	s_xor_b32 s22, s0, -1
	s_branch .LBB108_7
.LBB108_6:                              ;   in Loop: Header=BB108_7 Depth=1
	s_wait_xcnt 0x0
	s_or_b32 exec_lo, exec_lo, s0
	s_add_co_i32 s16, s16, 0x10000
	s_delay_alu instid0(SALU_CYCLE_1)
	s_cmp_lt_u32 s16, s27
	s_cbranch_scc0 .LBB108_39
.LBB108_7:                              ; =>This Loop Header: Depth=1
                                        ;     Child Loop BB108_10 Depth 2
	v_mov_b64_e32 v[30:31], 0
	v_mov_b64_e32 v[32:33], 0
	;; [unrolled: 1-line block ×8, first 2 shown]
	s_and_not1_b32 vcc_lo, exec_lo, s20
	s_cbranch_vccnz .LBB108_18
; %bb.8:                                ;   in Loop: Header=BB108_7 Depth=1
	v_mad_nc_u64_u32 v[4:5], s2, s16, v[16:17]
	v_mad_nc_u64_u32 v[20:21], s12, s16, v[18:19]
	v_mov_b64_e32 v[34:35], 0
	v_mov_b64_e32 v[36:37], 0
	;; [unrolled: 1-line block ×8, first 2 shown]
	s_mov_b32 s0, 0
	v_mad_u32 v5, s3, s16, v5
	v_mad_u32 v21, s13, s16, v21
	s_branch .LBB108_10
.LBB108_9:                              ;   in Loop: Header=BB108_10 Depth=2
	s_wait_xcnt 0x0
	s_or_b32 exec_lo, exec_lo, s1
	s_wait_dscnt 0x0
	s_barrier_signal -1
	s_barrier_wait -1
	ds_load_b128 v[42:45], v41
	ds_load_b128 v[46:49], v41 offset:16
	ds_load_b128 v[50:53], v41 offset:32
	;; [unrolled: 1-line block ×3, first 2 shown]
	ds_load_b128 v[58:61], v40
	v_add_nc_u64_e32 v[4:5], s[18:19], v[4:5]
	v_add_nc_u64_e32 v[20:21], 0x80, v[20:21]
	s_add_co_i32 s0, s0, 8
	s_delay_alu instid0(SALU_CYCLE_1) | instskip(SKIP_3) | instid1(VALU_DEP_2)
	s_cmp_lt_i32 s0, s15
	s_wait_dscnt 0x0
	v_mul_f64_e32 v[2:3], v[44:45], v[60:61]
	v_mul_f64_e32 v[62:63], v[42:43], v[60:61]
	v_fma_f64 v[2:3], v[42:43], v[58:59], -v[2:3]
	s_delay_alu instid0(VALU_DEP_2) | instskip(NEXT) | instid1(VALU_DEP_2)
	v_fmac_f64_e32 v[62:63], v[44:45], v[58:59]
	v_add_f64_e32 v[2:3], v[30:31], v[2:3]
	s_delay_alu instid0(VALU_DEP_2) | instskip(SKIP_3) | instid1(VALU_DEP_1)
	v_add_f64_e32 v[62:63], v[62:63], v[32:33]
	ds_load_b128 v[30:33], v40 offset:256
	s_wait_dscnt 0x0
	v_mul_f64_e32 v[64:65], v[44:45], v[32:33]
	v_fma_f64 v[64:65], v[42:43], v[30:31], -v[64:65]
	v_mul_f64_e32 v[42:43], v[42:43], v[32:33]
	s_delay_alu instid0(VALU_DEP_1) | instskip(NEXT) | instid1(VALU_DEP_3)
	v_fmac_f64_e32 v[42:43], v[44:45], v[30:31]
	v_add_f64_e32 v[44:45], v[22:23], v[64:65]
	s_delay_alu instid0(VALU_DEP_2) | instskip(SKIP_4) | instid1(VALU_DEP_2)
	v_add_f64_e32 v[42:43], v[42:43], v[24:25]
	ds_load_b128 v[22:25], v41 offset:2048
	s_wait_dscnt 0x0
	v_mul_f64_e32 v[64:65], v[24:25], v[60:61]
	v_mul_f64_e32 v[60:61], v[22:23], v[60:61]
	v_fma_f64 v[64:65], v[22:23], v[58:59], -v[64:65]
	s_delay_alu instid0(VALU_DEP_2) | instskip(NEXT) | instid1(VALU_DEP_2)
	v_fmac_f64_e32 v[60:61], v[24:25], v[58:59]
	v_add_f64_e32 v[58:59], v[26:27], v[64:65]
	v_mul_f64_e32 v[26:27], v[24:25], v[32:33]
	s_delay_alu instid0(VALU_DEP_3) | instskip(NEXT) | instid1(VALU_DEP_2)
	v_add_f64_e32 v[60:61], v[60:61], v[28:29]
	v_fma_f64 v[26:27], v[22:23], v[30:31], -v[26:27]
	v_mul_f64_e32 v[22:23], v[22:23], v[32:33]
	s_delay_alu instid0(VALU_DEP_2) | instskip(NEXT) | instid1(VALU_DEP_2)
	v_add_f64_e32 v[36:37], v[36:37], v[26:27]
	v_fmac_f64_e32 v[22:23], v[24:25], v[30:31]
	s_delay_alu instid0(VALU_DEP_1) | instskip(SKIP_4) | instid1(VALU_DEP_2)
	v_add_f64_e32 v[34:35], v[22:23], v[34:35]
	ds_load_b128 v[22:25], v40 offset:512
	s_wait_dscnt 0x0
	v_mul_f64_e32 v[26:27], v[48:49], v[24:25]
	v_mul_f64_e32 v[28:29], v[46:47], v[24:25]
	v_fma_f64 v[26:27], v[46:47], v[22:23], -v[26:27]
	s_delay_alu instid0(VALU_DEP_2) | instskip(NEXT) | instid1(VALU_DEP_2)
	v_fmac_f64_e32 v[28:29], v[48:49], v[22:23]
	v_add_f64_e32 v[2:3], v[2:3], v[26:27]
	s_delay_alu instid0(VALU_DEP_2) | instskip(SKIP_4) | instid1(VALU_DEP_2)
	v_add_f64_e32 v[62:63], v[28:29], v[62:63]
	ds_load_b128 v[26:29], v40 offset:768
	s_wait_dscnt 0x0
	v_mul_f64_e32 v[30:31], v[48:49], v[28:29]
	v_mul_f64_e32 v[32:33], v[46:47], v[28:29]
	v_fma_f64 v[30:31], v[46:47], v[26:27], -v[30:31]
	s_delay_alu instid0(VALU_DEP_2) | instskip(NEXT) | instid1(VALU_DEP_2)
	v_fmac_f64_e32 v[32:33], v[48:49], v[26:27]
	v_add_f64_e32 v[44:45], v[44:45], v[30:31]
	s_delay_alu instid0(VALU_DEP_2) | instskip(SKIP_4) | instid1(VALU_DEP_2)
	v_add_f64_e32 v[42:43], v[32:33], v[42:43]
	ds_load_b128 v[30:33], v41 offset:2064
	s_wait_dscnt 0x0
	v_mul_f64_e32 v[46:47], v[32:33], v[24:25]
	v_mul_f64_e32 v[24:25], v[30:31], v[24:25]
	v_fma_f64 v[46:47], v[30:31], v[22:23], -v[46:47]
	s_delay_alu instid0(VALU_DEP_2) | instskip(SKIP_1) | instid1(VALU_DEP_3)
	v_fmac_f64_e32 v[24:25], v[32:33], v[22:23]
	v_mul_f64_e32 v[22:23], v[32:33], v[28:29]
	v_add_f64_e32 v[46:47], v[58:59], v[46:47]
	s_delay_alu instid0(VALU_DEP_3) | instskip(SKIP_1) | instid1(VALU_DEP_4)
	v_add_f64_e32 v[48:49], v[24:25], v[60:61]
	v_mul_f64_e32 v[24:25], v[30:31], v[28:29]
	v_fma_f64 v[22:23], v[30:31], v[26:27], -v[22:23]
	s_delay_alu instid0(VALU_DEP_2) | instskip(NEXT) | instid1(VALU_DEP_2)
	v_fmac_f64_e32 v[24:25], v[32:33], v[26:27]
	v_add_f64_e32 v[36:37], v[36:37], v[22:23]
	s_delay_alu instid0(VALU_DEP_2) | instskip(SKIP_4) | instid1(VALU_DEP_2)
	v_add_f64_e32 v[34:35], v[24:25], v[34:35]
	ds_load_b128 v[22:25], v40 offset:1024
	s_wait_dscnt 0x0
	v_mul_f64_e32 v[26:27], v[52:53], v[24:25]
	v_mul_f64_e32 v[28:29], v[50:51], v[24:25]
	v_fma_f64 v[26:27], v[50:51], v[22:23], -v[26:27]
	s_delay_alu instid0(VALU_DEP_2) | instskip(NEXT) | instid1(VALU_DEP_2)
	v_fmac_f64_e32 v[28:29], v[52:53], v[22:23]
	v_add_f64_e32 v[2:3], v[2:3], v[26:27]
	s_delay_alu instid0(VALU_DEP_2) | instskip(SKIP_4) | instid1(VALU_DEP_2)
	v_add_f64_e32 v[58:59], v[28:29], v[62:63]
	ds_load_b128 v[26:29], v40 offset:1280
	s_wait_dscnt 0x0
	v_mul_f64_e32 v[30:31], v[52:53], v[28:29]
	;; [unrolled: 10-line block ×3, first 2 shown]
	v_mul_f64_e32 v[24:25], v[30:31], v[24:25]
	v_fma_f64 v[50:51], v[30:31], v[22:23], -v[50:51]
	s_delay_alu instid0(VALU_DEP_2) | instskip(SKIP_1) | instid1(VALU_DEP_3)
	v_fmac_f64_e32 v[24:25], v[32:33], v[22:23]
	v_mul_f64_e32 v[22:23], v[32:33], v[28:29]
	v_add_f64_e32 v[46:47], v[46:47], v[50:51]
	s_delay_alu instid0(VALU_DEP_3) | instskip(SKIP_1) | instid1(VALU_DEP_4)
	v_add_f64_e32 v[48:49], v[24:25], v[48:49]
	v_mul_f64_e32 v[24:25], v[30:31], v[28:29]
	v_fma_f64 v[22:23], v[30:31], v[26:27], -v[22:23]
	s_delay_alu instid0(VALU_DEP_2) | instskip(NEXT) | instid1(VALU_DEP_2)
	v_fmac_f64_e32 v[24:25], v[32:33], v[26:27]
	v_add_f64_e32 v[36:37], v[36:37], v[22:23]
	s_delay_alu instid0(VALU_DEP_2) | instskip(SKIP_4) | instid1(VALU_DEP_2)
	v_add_f64_e32 v[34:35], v[24:25], v[34:35]
	ds_load_b128 v[22:25], v40 offset:1536
	s_wait_dscnt 0x0
	v_mul_f64_e32 v[26:27], v[56:57], v[24:25]
	v_mul_f64_e32 v[28:29], v[54:55], v[24:25]
	v_fma_f64 v[26:27], v[54:55], v[22:23], -v[26:27]
	s_delay_alu instid0(VALU_DEP_2) | instskip(NEXT) | instid1(VALU_DEP_2)
	v_fmac_f64_e32 v[28:29], v[56:57], v[22:23]
	v_add_f64_e32 v[2:3], v[2:3], v[26:27]
	s_delay_alu instid0(VALU_DEP_2) | instskip(SKIP_4) | instid1(VALU_DEP_2)
	v_add_f64_e32 v[50:51], v[28:29], v[58:59]
	ds_load_b128 v[26:29], v40 offset:1792
	s_wait_dscnt 0x0
	v_mul_f64_e32 v[30:31], v[56:57], v[28:29]
	;; [unrolled: 10-line block ×3, first 2 shown]
	v_mul_f64_e32 v[24:25], v[30:31], v[24:25]
	v_fma_f64 v[52:53], v[30:31], v[22:23], -v[52:53]
	s_delay_alu instid0(VALU_DEP_2) | instskip(SKIP_1) | instid1(VALU_DEP_3)
	v_fmac_f64_e32 v[24:25], v[32:33], v[22:23]
	v_mul_f64_e32 v[22:23], v[32:33], v[28:29]
	v_add_f64_e32 v[46:47], v[46:47], v[52:53]
	s_delay_alu instid0(VALU_DEP_3) | instskip(SKIP_1) | instid1(VALU_DEP_4)
	v_add_f64_e32 v[48:49], v[24:25], v[48:49]
	v_mul_f64_e32 v[24:25], v[30:31], v[28:29]
	v_fma_f64 v[22:23], v[30:31], v[26:27], -v[22:23]
	s_delay_alu instid0(VALU_DEP_2) | instskip(NEXT) | instid1(VALU_DEP_2)
	v_fmac_f64_e32 v[24:25], v[32:33], v[26:27]
	v_add_f64_e32 v[36:37], v[36:37], v[22:23]
	s_delay_alu instid0(VALU_DEP_2)
	v_add_f64_e32 v[34:35], v[24:25], v[34:35]
	ds_load_b128 v[22:25], v41 offset:64
	ds_load_b128 v[26:29], v40 offset:2048
	s_wait_dscnt 0x0
	v_mul_f64_e32 v[30:31], v[24:25], v[28:29]
	v_mul_f64_e32 v[32:33], v[22:23], v[28:29]
	s_delay_alu instid0(VALU_DEP_2) | instskip(NEXT) | instid1(VALU_DEP_2)
	v_fma_f64 v[30:31], v[22:23], v[26:27], -v[30:31]
	v_fmac_f64_e32 v[32:33], v[24:25], v[26:27]
	s_delay_alu instid0(VALU_DEP_2) | instskip(NEXT) | instid1(VALU_DEP_2)
	v_add_f64_e32 v[2:3], v[2:3], v[30:31]
	v_add_f64_e32 v[50:51], v[32:33], v[50:51]
	ds_load_b128 v[30:33], v40 offset:2304
	s_wait_dscnt 0x0
	v_mul_f64_e32 v[52:53], v[24:25], v[32:33]
	s_delay_alu instid0(VALU_DEP_1) | instskip(SKIP_1) | instid1(VALU_DEP_2)
	v_fma_f64 v[52:53], v[22:23], v[30:31], -v[52:53]
	v_mul_f64_e32 v[22:23], v[22:23], v[32:33]
	v_add_f64_e32 v[44:45], v[44:45], v[52:53]
	s_delay_alu instid0(VALU_DEP_2) | instskip(NEXT) | instid1(VALU_DEP_1)
	v_fmac_f64_e32 v[22:23], v[24:25], v[30:31]
	v_add_f64_e32 v[42:43], v[22:23], v[42:43]
	ds_load_b128 v[22:25], v41 offset:2112
	s_wait_dscnt 0x0
	v_mul_f64_e32 v[52:53], v[24:25], v[28:29]
	v_mul_f64_e32 v[28:29], v[22:23], v[28:29]
	s_delay_alu instid0(VALU_DEP_2) | instskip(NEXT) | instid1(VALU_DEP_2)
	v_fma_f64 v[52:53], v[22:23], v[26:27], -v[52:53]
	v_fmac_f64_e32 v[28:29], v[24:25], v[26:27]
	v_mul_f64_e32 v[26:27], v[24:25], v[32:33]
	s_delay_alu instid0(VALU_DEP_3) | instskip(NEXT) | instid1(VALU_DEP_3)
	v_add_f64_e32 v[46:47], v[46:47], v[52:53]
	v_add_f64_e32 v[48:49], v[28:29], v[48:49]
	s_delay_alu instid0(VALU_DEP_3) | instskip(SKIP_1) | instid1(VALU_DEP_2)
	v_fma_f64 v[26:27], v[22:23], v[30:31], -v[26:27]
	v_mul_f64_e32 v[22:23], v[22:23], v[32:33]
	v_add_f64_e32 v[36:37], v[36:37], v[26:27]
	s_delay_alu instid0(VALU_DEP_2) | instskip(NEXT) | instid1(VALU_DEP_1)
	v_fmac_f64_e32 v[22:23], v[24:25], v[30:31]
	v_add_f64_e32 v[34:35], v[22:23], v[34:35]
	ds_load_b128 v[22:25], v41 offset:80
	ds_load_b128 v[26:29], v40 offset:2560
	s_wait_dscnt 0x0
	v_mul_f64_e32 v[30:31], v[24:25], v[28:29]
	v_mul_f64_e32 v[32:33], v[22:23], v[28:29]
	s_delay_alu instid0(VALU_DEP_2) | instskip(NEXT) | instid1(VALU_DEP_2)
	v_fma_f64 v[30:31], v[22:23], v[26:27], -v[30:31]
	v_fmac_f64_e32 v[32:33], v[24:25], v[26:27]
	s_delay_alu instid0(VALU_DEP_2) | instskip(NEXT) | instid1(VALU_DEP_2)
	v_add_f64_e32 v[2:3], v[2:3], v[30:31]
	v_add_f64_e32 v[50:51], v[32:33], v[50:51]
	ds_load_b128 v[30:33], v40 offset:2816
	s_wait_dscnt 0x0
	v_mul_f64_e32 v[52:53], v[24:25], v[32:33]
	s_delay_alu instid0(VALU_DEP_1) | instskip(SKIP_1) | instid1(VALU_DEP_2)
	v_fma_f64 v[52:53], v[22:23], v[30:31], -v[52:53]
	v_mul_f64_e32 v[22:23], v[22:23], v[32:33]
	v_add_f64_e32 v[44:45], v[44:45], v[52:53]
	s_delay_alu instid0(VALU_DEP_2) | instskip(NEXT) | instid1(VALU_DEP_1)
	v_fmac_f64_e32 v[22:23], v[24:25], v[30:31]
	v_add_f64_e32 v[42:43], v[22:23], v[42:43]
	ds_load_b128 v[22:25], v41 offset:2128
	s_wait_dscnt 0x0
	v_mul_f64_e32 v[52:53], v[24:25], v[28:29]
	v_mul_f64_e32 v[28:29], v[22:23], v[28:29]
	s_delay_alu instid0(VALU_DEP_2) | instskip(NEXT) | instid1(VALU_DEP_2)
	v_fma_f64 v[52:53], v[22:23], v[26:27], -v[52:53]
	v_fmac_f64_e32 v[28:29], v[24:25], v[26:27]
	v_mul_f64_e32 v[26:27], v[24:25], v[32:33]
	s_delay_alu instid0(VALU_DEP_3) | instskip(NEXT) | instid1(VALU_DEP_3)
	v_add_f64_e32 v[46:47], v[46:47], v[52:53]
	v_add_f64_e32 v[48:49], v[28:29], v[48:49]
	s_delay_alu instid0(VALU_DEP_3) | instskip(SKIP_1) | instid1(VALU_DEP_2)
	v_fma_f64 v[26:27], v[22:23], v[30:31], -v[26:27]
	v_mul_f64_e32 v[22:23], v[22:23], v[32:33]
	v_add_f64_e32 v[36:37], v[36:37], v[26:27]
	s_delay_alu instid0(VALU_DEP_2) | instskip(NEXT) | instid1(VALU_DEP_1)
	v_fmac_f64_e32 v[22:23], v[24:25], v[30:31]
	;; [unrolled: 39-line block ×3, first 2 shown]
	v_add_f64_e32 v[54:55], v[22:23], v[34:35]
	ds_load_b128 v[22:25], v41 offset:112
	ds_load_b128 v[26:29], v40 offset:3584
	;; [unrolled: 1-line block ×3, first 2 shown]
	s_wait_dscnt 0x1
	v_mul_f64_e32 v[30:31], v[24:25], v[28:29]
	v_mul_f64_e32 v[32:33], v[22:23], v[28:29]
	s_delay_alu instid0(VALU_DEP_2) | instskip(NEXT) | instid1(VALU_DEP_2)
	v_fma_f64 v[30:31], v[22:23], v[26:27], -v[30:31]
	v_fmac_f64_e32 v[32:33], v[24:25], v[26:27]
	s_delay_alu instid0(VALU_DEP_2) | instskip(NEXT) | instid1(VALU_DEP_2)
	v_add_f64_e32 v[30:31], v[2:3], v[30:31]
	v_add_f64_e32 v[32:33], v[32:33], v[50:51]
	s_wait_dscnt 0x0
	v_mul_f64_e32 v[2:3], v[24:25], v[36:37]
	v_mul_f64_e32 v[50:51], v[22:23], v[36:37]
	s_delay_alu instid0(VALU_DEP_2) | instskip(NEXT) | instid1(VALU_DEP_2)
	v_fma_f64 v[2:3], v[22:23], v[34:35], -v[2:3]
	v_fmac_f64_e32 v[50:51], v[24:25], v[34:35]
	s_delay_alu instid0(VALU_DEP_2) | instskip(NEXT) | instid1(VALU_DEP_2)
	v_add_f64_e32 v[22:23], v[44:45], v[2:3]
	v_add_f64_e32 v[24:25], v[50:51], v[42:43]
	ds_load_b128 v[42:45], v41 offset:2160
	s_wait_dscnt 0x0
	s_barrier_signal -1
	s_barrier_wait -1
	v_mul_f64_e32 v[2:3], v[44:45], v[28:29]
	v_mul_f64_e32 v[28:29], v[42:43], v[28:29]
	s_delay_alu instid0(VALU_DEP_2) | instskip(NEXT) | instid1(VALU_DEP_2)
	v_fma_f64 v[2:3], v[42:43], v[26:27], -v[2:3]
	v_fmac_f64_e32 v[28:29], v[44:45], v[26:27]
	s_delay_alu instid0(VALU_DEP_2) | instskip(SKIP_1) | instid1(VALU_DEP_3)
	v_add_f64_e32 v[26:27], v[46:47], v[2:3]
	v_mul_f64_e32 v[2:3], v[44:45], v[36:37]
	v_add_f64_e32 v[28:29], v[28:29], v[48:49]
	s_delay_alu instid0(VALU_DEP_2) | instskip(SKIP_1) | instid1(VALU_DEP_2)
	v_fma_f64 v[2:3], v[42:43], v[34:35], -v[2:3]
	v_mul_f64_e32 v[42:43], v[42:43], v[36:37]
	v_add_f64_e32 v[36:37], v[52:53], v[2:3]
	s_delay_alu instid0(VALU_DEP_2) | instskip(NEXT) | instid1(VALU_DEP_1)
	v_fmac_f64_e32 v[42:43], v[44:45], v[34:35]
	v_add_f64_e32 v[34:35], v[42:43], v[54:55]
	s_cbranch_scc0 .LBB108_18
.LBB108_10:                             ;   Parent Loop BB108_7 Depth=1
                                        ; =>  This Inner Loop Header: Depth=2
	v_add_nc_u32_e32 v1, s0, v6
	s_delay_alu instid0(VALU_DEP_1) | instskip(SKIP_1) | instid1(SALU_CYCLE_1)
	v_cmp_le_i32_e32 vcc_lo, s15, v1
	s_or_b32 s1, s21, vcc_lo
	s_and_saveexec_b32 s23, s1
	s_delay_alu instid0(SALU_CYCLE_1)
	s_xor_b32 s1, exec_lo, s23
; %bb.11:                               ;   in Loop: Header=BB108_10 Depth=2
	v_dual_mov_b32 v1, v0 :: v_dual_mov_b32 v2, v0
	v_mov_b32_e32 v3, v0
	ds_store_b128 v7, v[0:3]
; %bb.12:                               ;   in Loop: Header=BB108_10 Depth=2
	s_and_not1_saveexec_b32 s1, s1
	s_cbranch_execz .LBB108_14
; %bb.13:                               ;   in Loop: Header=BB108_10 Depth=2
	global_load_b128 v[42:45], v[4:5], off
	s_wait_loadcnt 0x0
	ds_store_2addr_b64 v7, v[42:43], v[44:45] offset1:1
.LBB108_14:                             ;   in Loop: Header=BB108_10 Depth=2
	s_wait_xcnt 0x0
	s_or_b32 exec_lo, exec_lo, s1
	v_add_nc_u32_e32 v1, s0, v38
	s_delay_alu instid0(VALU_DEP_1) | instskip(SKIP_1) | instid1(SALU_CYCLE_1)
	v_cmp_le_i32_e32 vcc_lo, s15, v1
	s_or_b32 s1, vcc_lo, s22
	s_and_saveexec_b32 s23, s1
	s_delay_alu instid0(SALU_CYCLE_1)
	s_xor_b32 s1, exec_lo, s23
; %bb.15:                               ;   in Loop: Header=BB108_10 Depth=2
	v_dual_mov_b32 v1, v0 :: v_dual_mov_b32 v2, v0
	v_mov_b32_e32 v3, v0
	ds_store_b128 v39, v[0:3]
; %bb.16:                               ;   in Loop: Header=BB108_10 Depth=2
	s_and_not1_saveexec_b32 s1, s1
	s_cbranch_execz .LBB108_9
; %bb.17:                               ;   in Loop: Header=BB108_10 Depth=2
	global_load_b128 v[42:45], v[20:21], off
	s_wait_loadcnt 0x0
	ds_store_2addr_b64 v39, v[42:43], v[44:45] offset1:1
	s_branch .LBB108_9
.LBB108_18:                             ;   in Loop: Header=BB108_7 Depth=1
	s_mul_u64 s[0:1], s[28:29], s[16:17]
	s_delay_alu instid0(SALU_CYCLE_1) | instskip(NEXT) | instid1(SALU_CYCLE_1)
	s_lshl_b64 s[0:1], s[0:1], 4
	s_add_nc_u64 s[0:1], s[24:25], s[0:1]
	s_delay_alu instid0(SALU_CYCLE_1)
	v_lshl_add_u64 v[20:21], v[10:11], 4, s[0:1]
	s_and_saveexec_b32 s23, s33
	s_cbranch_execz .LBB108_23
; %bb.19:                               ;   in Loop: Header=BB108_7 Depth=1
	v_mul_f64_e32 v[2:3], s[10:11], v[32:33]
	v_mul_f64_e32 v[4:5], s[8:9], v[32:33]
	s_and_b32 vcc_lo, exec_lo, s26
	s_mov_b32 s30, -1
	s_delay_alu instid0(VALU_DEP_2) | instskip(NEXT) | instid1(VALU_DEP_2)
	v_fma_f64 v[2:3], s[8:9], v[30:31], -v[2:3]
	v_fmac_f64_e32 v[4:5], s[10:11], v[30:31]
	v_lshl_add_u64 v[30:31], v[8:9], 4, v[20:21]
	s_cbranch_vccz .LBB108_21
; %bb.20:                               ;   in Loop: Header=BB108_7 Depth=1
	global_load_b128 v[42:45], v[30:31], off
	s_mov_b32 s30, 0
	s_wait_loadcnt 0x0
	v_mul_f64_e32 v[32:33], s[6:7], v[44:45]
	v_mul_f64_e32 v[44:45], s[4:5], v[44:45]
	s_delay_alu instid0(VALU_DEP_2) | instskip(NEXT) | instid1(VALU_DEP_2)
	v_fma_f64 v[32:33], s[4:5], v[42:43], -v[32:33]
	v_fmac_f64_e32 v[44:45], s[6:7], v[42:43]
	s_delay_alu instid0(VALU_DEP_2) | instskip(NEXT) | instid1(VALU_DEP_2)
	v_add_f64_e32 v[42:43], v[2:3], v[32:33]
	v_add_f64_e32 v[44:45], v[4:5], v[44:45]
	global_store_b128 v[30:31], v[42:45], off
.LBB108_21:                             ;   in Loop: Header=BB108_7 Depth=1
	s_and_not1_b32 vcc_lo, exec_lo, s30
	s_cbranch_vccnz .LBB108_23
; %bb.22:                               ;   in Loop: Header=BB108_7 Depth=1
	global_store_b128 v[30:31], v[2:5], off
.LBB108_23:                             ;   in Loop: Header=BB108_7 Depth=1
	s_wait_xcnt 0x0
	s_or_b32 exec_lo, exec_lo, s23
	s_and_saveexec_b32 s23, s34
	s_cbranch_execz .LBB108_28
; %bb.24:                               ;   in Loop: Header=BB108_7 Depth=1
	v_mul_f64_e32 v[2:3], s[10:11], v[24:25]
	v_mul_f64_e32 v[4:5], s[8:9], v[24:25]
	v_lshl_add_u64 v[20:21], v[14:15], 4, v[20:21]
	s_and_not1_b32 vcc_lo, exec_lo, s26
	s_mov_b32 s30, -1
	s_delay_alu instid0(VALU_DEP_3) | instskip(NEXT) | instid1(VALU_DEP_3)
	v_fma_f64 v[2:3], s[8:9], v[22:23], -v[2:3]
	v_fmac_f64_e32 v[4:5], s[10:11], v[22:23]
	s_cbranch_vccnz .LBB108_26
; %bb.25:                               ;   in Loop: Header=BB108_7 Depth=1
	global_load_b128 v[22:25], v[20:21], off
	s_mov_b32 s30, 0
	s_wait_loadcnt 0x0
	v_mul_f64_e32 v[30:31], s[6:7], v[24:25]
	v_mul_f64_e32 v[24:25], s[4:5], v[24:25]
	s_delay_alu instid0(VALU_DEP_2) | instskip(NEXT) | instid1(VALU_DEP_2)
	v_fma_f64 v[30:31], s[4:5], v[22:23], -v[30:31]
	v_fmac_f64_e32 v[24:25], s[6:7], v[22:23]
	s_delay_alu instid0(VALU_DEP_2) | instskip(NEXT) | instid1(VALU_DEP_2)
	v_add_f64_e32 v[22:23], v[2:3], v[30:31]
	v_add_f64_e32 v[24:25], v[4:5], v[24:25]
	global_store_b128 v[20:21], v[22:25], off
.LBB108_26:                             ;   in Loop: Header=BB108_7 Depth=1
	s_and_not1_b32 vcc_lo, exec_lo, s30
	s_cbranch_vccnz .LBB108_28
; %bb.27:                               ;   in Loop: Header=BB108_7 Depth=1
	global_store_b128 v[20:21], v[2:5], off
.LBB108_28:                             ;   in Loop: Header=BB108_7 Depth=1
	s_wait_xcnt 0x0
	s_or_b32 exec_lo, exec_lo, s23
	v_lshl_add_u64 v[20:21], v[12:13], 4, s[0:1]
	s_and_saveexec_b32 s0, s14
	s_cbranch_execz .LBB108_33
; %bb.29:                               ;   in Loop: Header=BB108_7 Depth=1
	v_mul_f64_e32 v[2:3], s[10:11], v[28:29]
	v_mul_f64_e32 v[4:5], s[8:9], v[28:29]
	v_lshl_add_u64 v[22:23], v[8:9], 4, v[20:21]
	s_and_not1_b32 vcc_lo, exec_lo, s26
	s_mov_b32 s1, -1
	s_delay_alu instid0(VALU_DEP_3) | instskip(NEXT) | instid1(VALU_DEP_3)
	v_fma_f64 v[2:3], s[8:9], v[26:27], -v[2:3]
	v_fmac_f64_e32 v[4:5], s[10:11], v[26:27]
	s_cbranch_vccnz .LBB108_31
; %bb.30:                               ;   in Loop: Header=BB108_7 Depth=1
	global_load_b128 v[24:27], v[22:23], off
	s_mov_b32 s1, 0
	s_wait_loadcnt 0x0
	v_mul_f64_e32 v[28:29], s[6:7], v[26:27]
	v_mul_f64_e32 v[26:27], s[4:5], v[26:27]
	s_delay_alu instid0(VALU_DEP_2) | instskip(NEXT) | instid1(VALU_DEP_2)
	v_fma_f64 v[28:29], s[4:5], v[24:25], -v[28:29]
	v_fmac_f64_e32 v[26:27], s[6:7], v[24:25]
	s_delay_alu instid0(VALU_DEP_2) | instskip(NEXT) | instid1(VALU_DEP_2)
	v_add_f64_e32 v[24:25], v[2:3], v[28:29]
	v_add_f64_e32 v[26:27], v[4:5], v[26:27]
	global_store_b128 v[22:23], v[24:27], off
.LBB108_31:                             ;   in Loop: Header=BB108_7 Depth=1
	s_and_not1_b32 vcc_lo, exec_lo, s1
	s_cbranch_vccnz .LBB108_33
; %bb.32:                               ;   in Loop: Header=BB108_7 Depth=1
	global_store_b128 v[22:23], v[2:5], off
.LBB108_33:                             ;   in Loop: Header=BB108_7 Depth=1
	s_wait_xcnt 0x0
	s_or_b32 exec_lo, exec_lo, s0
	s_and_saveexec_b32 s0, s35
	s_cbranch_execz .LBB108_6
; %bb.34:                               ;   in Loop: Header=BB108_7 Depth=1
	s_delay_alu instid0(VALU_DEP_3) | instskip(SKIP_4) | instid1(VALU_DEP_3)
	v_mul_f64_e32 v[2:3], s[10:11], v[34:35]
	v_mul_f64_e32 v[4:5], s[8:9], v[34:35]
	v_lshl_add_u64 v[20:21], v[14:15], 4, v[20:21]
	s_and_not1_b32 vcc_lo, exec_lo, s26
	s_mov_b32 s1, -1
	v_fma_f64 v[2:3], s[8:9], v[36:37], -v[2:3]
	s_delay_alu instid0(VALU_DEP_3)
	v_fmac_f64_e32 v[4:5], s[10:11], v[36:37]
	s_cbranch_vccnz .LBB108_36
; %bb.35:                               ;   in Loop: Header=BB108_7 Depth=1
	global_load_b128 v[22:25], v[20:21], off
	s_mov_b32 s1, 0
	s_wait_loadcnt 0x0
	v_mul_f64_e32 v[26:27], s[6:7], v[24:25]
	v_mul_f64_e32 v[24:25], s[4:5], v[24:25]
	s_delay_alu instid0(VALU_DEP_2) | instskip(NEXT) | instid1(VALU_DEP_2)
	v_fma_f64 v[26:27], s[4:5], v[22:23], -v[26:27]
	v_fmac_f64_e32 v[24:25], s[6:7], v[22:23]
	s_delay_alu instid0(VALU_DEP_2) | instskip(NEXT) | instid1(VALU_DEP_2)
	v_add_f64_e32 v[22:23], v[2:3], v[26:27]
	v_add_f64_e32 v[24:25], v[4:5], v[24:25]
	global_store_b128 v[20:21], v[22:25], off
.LBB108_36:                             ;   in Loop: Header=BB108_7 Depth=1
	s_and_not1_b32 vcc_lo, exec_lo, s1
	s_cbranch_vccnz .LBB108_6
; %bb.37:                               ;   in Loop: Header=BB108_7 Depth=1
	global_store_b128 v[20:21], v[2:5], off
	s_branch .LBB108_6
.LBB108_38:
.LBB108_39:
	s_sendmsg sendmsg(MSG_DEALLOC_VGPRS)
	s_endpgm
	.section	.rodata,"a",@progbits
	.p2align	6, 0x0
	.amdhsa_kernel _ZL29rocblas_internal_gemmt_kernelIiLi16ELi32ELi8ELc78ELc78ELc85ELb0ELb0E19rocblas_complex_numIdEPKS1_S3_PS1_EviT_T9_T10_S5_lS7_S5_lS6_T11_S5_li
		.amdhsa_group_segment_fixed_size 8192
		.amdhsa_private_segment_fixed_size 0
		.amdhsa_kernarg_size 100
		.amdhsa_user_sgpr_count 2
		.amdhsa_user_sgpr_dispatch_ptr 0
		.amdhsa_user_sgpr_queue_ptr 0
		.amdhsa_user_sgpr_kernarg_segment_ptr 1
		.amdhsa_user_sgpr_dispatch_id 0
		.amdhsa_user_sgpr_kernarg_preload_length 0
		.amdhsa_user_sgpr_kernarg_preload_offset 0
		.amdhsa_user_sgpr_private_segment_size 0
		.amdhsa_wavefront_size32 1
		.amdhsa_uses_dynamic_stack 0
		.amdhsa_enable_private_segment 0
		.amdhsa_system_sgpr_workgroup_id_x 1
		.amdhsa_system_sgpr_workgroup_id_y 1
		.amdhsa_system_sgpr_workgroup_id_z 1
		.amdhsa_system_sgpr_workgroup_info 0
		.amdhsa_system_vgpr_workitem_id 1
		.amdhsa_next_free_vgpr 66
		.amdhsa_next_free_sgpr 41
		.amdhsa_named_barrier_count 0
		.amdhsa_reserve_vcc 1
		.amdhsa_float_round_mode_32 0
		.amdhsa_float_round_mode_16_64 0
		.amdhsa_float_denorm_mode_32 3
		.amdhsa_float_denorm_mode_16_64 3
		.amdhsa_fp16_overflow 0
		.amdhsa_memory_ordered 1
		.amdhsa_forward_progress 1
		.amdhsa_inst_pref_size 26
		.amdhsa_round_robin_scheduling 0
		.amdhsa_exception_fp_ieee_invalid_op 0
		.amdhsa_exception_fp_denorm_src 0
		.amdhsa_exception_fp_ieee_div_zero 0
		.amdhsa_exception_fp_ieee_overflow 0
		.amdhsa_exception_fp_ieee_underflow 0
		.amdhsa_exception_fp_ieee_inexact 0
		.amdhsa_exception_int_div_zero 0
	.end_amdhsa_kernel
	.section	.text._ZL29rocblas_internal_gemmt_kernelIiLi16ELi32ELi8ELc78ELc78ELc85ELb0ELb0E19rocblas_complex_numIdEPKS1_S3_PS1_EviT_T9_T10_S5_lS7_S5_lS6_T11_S5_li,"axG",@progbits,_ZL29rocblas_internal_gemmt_kernelIiLi16ELi32ELi8ELc78ELc78ELc85ELb0ELb0E19rocblas_complex_numIdEPKS1_S3_PS1_EviT_T9_T10_S5_lS7_S5_lS6_T11_S5_li,comdat
.Lfunc_end108:
	.size	_ZL29rocblas_internal_gemmt_kernelIiLi16ELi32ELi8ELc78ELc78ELc85ELb0ELb0E19rocblas_complex_numIdEPKS1_S3_PS1_EviT_T9_T10_S5_lS7_S5_lS6_T11_S5_li, .Lfunc_end108-_ZL29rocblas_internal_gemmt_kernelIiLi16ELi32ELi8ELc78ELc78ELc85ELb0ELb0E19rocblas_complex_numIdEPKS1_S3_PS1_EviT_T9_T10_S5_lS7_S5_lS6_T11_S5_li
                                        ; -- End function
	.set _ZL29rocblas_internal_gemmt_kernelIiLi16ELi32ELi8ELc78ELc78ELc85ELb0ELb0E19rocblas_complex_numIdEPKS1_S3_PS1_EviT_T9_T10_S5_lS7_S5_lS6_T11_S5_li.num_vgpr, 66
	.set _ZL29rocblas_internal_gemmt_kernelIiLi16ELi32ELi8ELc78ELc78ELc85ELb0ELb0E19rocblas_complex_numIdEPKS1_S3_PS1_EviT_T9_T10_S5_lS7_S5_lS6_T11_S5_li.num_agpr, 0
	.set _ZL29rocblas_internal_gemmt_kernelIiLi16ELi32ELi8ELc78ELc78ELc85ELb0ELb0E19rocblas_complex_numIdEPKS1_S3_PS1_EviT_T9_T10_S5_lS7_S5_lS6_T11_S5_li.numbered_sgpr, 41
	.set _ZL29rocblas_internal_gemmt_kernelIiLi16ELi32ELi8ELc78ELc78ELc85ELb0ELb0E19rocblas_complex_numIdEPKS1_S3_PS1_EviT_T9_T10_S5_lS7_S5_lS6_T11_S5_li.num_named_barrier, 0
	.set _ZL29rocblas_internal_gemmt_kernelIiLi16ELi32ELi8ELc78ELc78ELc85ELb0ELb0E19rocblas_complex_numIdEPKS1_S3_PS1_EviT_T9_T10_S5_lS7_S5_lS6_T11_S5_li.private_seg_size, 0
	.set _ZL29rocblas_internal_gemmt_kernelIiLi16ELi32ELi8ELc78ELc78ELc85ELb0ELb0E19rocblas_complex_numIdEPKS1_S3_PS1_EviT_T9_T10_S5_lS7_S5_lS6_T11_S5_li.uses_vcc, 1
	.set _ZL29rocblas_internal_gemmt_kernelIiLi16ELi32ELi8ELc78ELc78ELc85ELb0ELb0E19rocblas_complex_numIdEPKS1_S3_PS1_EviT_T9_T10_S5_lS7_S5_lS6_T11_S5_li.uses_flat_scratch, 0
	.set _ZL29rocblas_internal_gemmt_kernelIiLi16ELi32ELi8ELc78ELc78ELc85ELb0ELb0E19rocblas_complex_numIdEPKS1_S3_PS1_EviT_T9_T10_S5_lS7_S5_lS6_T11_S5_li.has_dyn_sized_stack, 0
	.set _ZL29rocblas_internal_gemmt_kernelIiLi16ELi32ELi8ELc78ELc78ELc85ELb0ELb0E19rocblas_complex_numIdEPKS1_S3_PS1_EviT_T9_T10_S5_lS7_S5_lS6_T11_S5_li.has_recursion, 0
	.set _ZL29rocblas_internal_gemmt_kernelIiLi16ELi32ELi8ELc78ELc78ELc85ELb0ELb0E19rocblas_complex_numIdEPKS1_S3_PS1_EviT_T9_T10_S5_lS7_S5_lS6_T11_S5_li.has_indirect_call, 0
	.section	.AMDGPU.csdata,"",@progbits
; Kernel info:
; codeLenInByte = 3256
; TotalNumSgprs: 43
; NumVgprs: 66
; ScratchSize: 0
; MemoryBound: 0
; FloatMode: 240
; IeeeMode: 1
; LDSByteSize: 8192 bytes/workgroup (compile time only)
; SGPRBlocks: 0
; VGPRBlocks: 4
; NumSGPRsForWavesPerEU: 43
; NumVGPRsForWavesPerEU: 66
; NamedBarCnt: 0
; Occupancy: 12
; WaveLimiterHint : 0
; COMPUTE_PGM_RSRC2:SCRATCH_EN: 0
; COMPUTE_PGM_RSRC2:USER_SGPR: 2
; COMPUTE_PGM_RSRC2:TRAP_HANDLER: 0
; COMPUTE_PGM_RSRC2:TGID_X_EN: 1
; COMPUTE_PGM_RSRC2:TGID_Y_EN: 1
; COMPUTE_PGM_RSRC2:TGID_Z_EN: 1
; COMPUTE_PGM_RSRC2:TIDIG_COMP_CNT: 1
	.section	.text._ZL29rocblas_internal_gemmt_kernelIiLi16ELi32ELi8ELc78ELc84ELc85ELb0ELb0E19rocblas_complex_numIdEPKS1_S3_PS1_EviT_T9_T10_S5_lS7_S5_lS6_T11_S5_li,"axG",@progbits,_ZL29rocblas_internal_gemmt_kernelIiLi16ELi32ELi8ELc78ELc84ELc85ELb0ELb0E19rocblas_complex_numIdEPKS1_S3_PS1_EviT_T9_T10_S5_lS7_S5_lS6_T11_S5_li,comdat
	.globl	_ZL29rocblas_internal_gemmt_kernelIiLi16ELi32ELi8ELc78ELc84ELc85ELb0ELb0E19rocblas_complex_numIdEPKS1_S3_PS1_EviT_T9_T10_S5_lS7_S5_lS6_T11_S5_li ; -- Begin function _ZL29rocblas_internal_gemmt_kernelIiLi16ELi32ELi8ELc78ELc84ELc85ELb0ELb0E19rocblas_complex_numIdEPKS1_S3_PS1_EviT_T9_T10_S5_lS7_S5_lS6_T11_S5_li
	.p2align	8
	.type	_ZL29rocblas_internal_gemmt_kernelIiLi16ELi32ELi8ELc78ELc84ELc85ELb0ELb0E19rocblas_complex_numIdEPKS1_S3_PS1_EviT_T9_T10_S5_lS7_S5_lS6_T11_S5_li,@function
_ZL29rocblas_internal_gemmt_kernelIiLi16ELi32ELi8ELc78ELc84ELc85ELb0ELb0E19rocblas_complex_numIdEPKS1_S3_PS1_EviT_T9_T10_S5_lS7_S5_lS6_T11_S5_li: ; @_ZL29rocblas_internal_gemmt_kernelIiLi16ELi32ELi8ELc78ELc84ELc85ELb0ELb0E19rocblas_complex_numIdEPKS1_S3_PS1_EviT_T9_T10_S5_lS7_S5_lS6_T11_S5_li
; %bb.0:
	s_load_b128 s[16:19], s[0:1], 0x38
	s_wait_kmcnt 0x0
	s_load_b128 s[8:11], s[18:19], 0x0
	s_load_b128 s[4:7], s[0:1], 0x8
	s_wait_xcnt 0x0
	s_load_b64 s[18:19], s[0:1], 0x0
	s_wait_kmcnt 0x0
	v_cmp_eq_f64_e64 s3, s[8:9], 1.0
	v_cmp_eq_f64_e64 s2, s[10:11], 0
	s_load_b128 s[12:15], s[4:5], 0x0
	s_and_b32 s3, s3, s2
	s_delay_alu instid0(SALU_CYCLE_1)
	s_and_not1_b32 vcc_lo, exec_lo, s3
	s_mov_b32 s3, -1
	s_cbranch_vccnz .LBB109_3
; %bb.1:
	s_cmp_lg_u32 s19, 0
	s_cbranch_scc0 .LBB109_38
; %bb.2:
	s_wait_kmcnt 0x0
	v_cmp_neq_f64_e64 s3, s[12:13], 0
	v_cmp_neq_f64_e64 s4, s[14:15], 0
	s_or_b32 s3, s3, s4
.LBB109_3:
	s_delay_alu instid0(SALU_CYCLE_1)
	s_and_b32 vcc_lo, exec_lo, s3
	s_cbranch_vccz .LBB109_39
; %bb.4:
	s_load_b32 s27, s[0:1], 0x60
	s_bfe_u32 s3, ttmp6, 0x40014
	s_wait_xcnt 0x0
	s_lshr_b32 s4, ttmp7, 16
	s_add_co_i32 s3, s3, 1
	s_bfe_u32 s20, ttmp6, 0x40008
	s_mul_i32 s5, s4, s3
	s_getreg_b32 s3, hwreg(HW_REG_IB_STS2, 6, 4)
	s_add_co_i32 s20, s20, s5
	s_cmp_eq_u32 s3, 0
	s_mov_b32 s29, 0
	s_cselect_b32 s28, s4, s20
	s_wait_kmcnt 0x0
	s_cmp_ge_u32 s28, s27
	s_cbranch_scc1 .LBB109_39
; %bb.5:
	s_clause 0x4
	s_load_b32 s36, s[0:1], 0x18
	s_load_b32 s34, s[0:1], 0x30
	s_load_b96 s[24:26], s[0:1], 0x48
	s_load_b128 s[20:23], s[0:1], 0x20
	s_load_b64 s[30:31], s[0:1], 0x58
	s_wait_xcnt 0x0
	s_bfe_u32 s1, ttmp6, 0x4000c
	s_bfe_u32 s39, ttmp6, 0x40010
	v_and_b32_e32 v1, 0x3ff, v0
	v_bfe_u32 v11, v0, 10, 10
	s_add_co_i32 s1, s1, 1
	s_add_co_i32 s39, s39, 1
	s_and_b32 s0, ttmp6, 15
	s_mul_i32 s1, ttmp9, s1
	s_bfe_u32 s40, ttmp6, 0x40004
	v_and_b32_e32 v6, 7, v0
	v_lshl_add_u32 v0, v11, 4, v1
	s_add_co_i32 s0, s0, s1
	v_cmp_neq_f64_e64 s33, s[12:13], 0
	v_cmp_neq_f64_e64 s38, s[14:15], 0
	v_lshl_add_u32 v41, v11, 7, 0x1000
	s_wait_kmcnt 0x0
	s_ashr_i32 s37, s36, 31
	s_ashr_i32 s35, s34, 31
	;; [unrolled: 1-line block ×3, first 2 shown]
	s_mov_b32 s4, s26
	s_and_b32 s26, ttmp7, 0xffff
	v_lshrrev_b32_e32 v8, 5, v0
	s_mul_i32 s39, s26, s39
	v_dual_lshrrev_b32 v3, 3, v0 :: v_dual_bitop2_b32 v5, 31, v0 bitop3:0x40
	s_add_co_i32 s40, s40, s39
	s_cmp_eq_u32 s3, 0
	v_lshlrev_b32_e32 v40, 4, v1
	s_cselect_b32 s0, ttmp9, s0
	s_cselect_b32 s1, s26, s40
	s_lshl_b32 s3, s0, 5
	s_delay_alu instid0(SALU_CYCLE_1) | instskip(SKIP_1) | instid1(SALU_CYCLE_1)
	v_dual_mov_b32 v0, 0 :: v_dual_bitop2_b32 v2, s3, v5 bitop3:0x54
	s_lshl_b32 s0, s1, 5
	v_dual_lshlrev_b32 v10, 4, v6 :: v_dual_add_nc_u32 v4, s0, v3
	s_delay_alu instid0(VALU_DEP_2) | instskip(SKIP_2) | instid1(VALU_DEP_3)
	v_dual_mov_b32 v9, v0 :: v_dual_mov_b32 v7, v0
	v_dual_lshlrev_b32 v5, 4, v5 :: v_dual_add_nc_u32 v20, s0, v11
	v_cmp_neq_f64_e64 s26, s[8:9], 0
	v_mul_u64_e32 v[18:19], s[36:37], v[8:9]
	s_delay_alu instid0(VALU_DEP_4) | instskip(SKIP_4) | instid1(VALU_DEP_4)
	v_mul_u64_e32 v[22:23], s[34:35], v[6:7]
	v_lshl_or_b32 v3, v3, 7, v10
	v_dual_add_nc_u32 v24, 16, v20 :: v_dual_ashrrev_i32 v21, 31, v20
	v_add_nc_u32_e32 v10, s3, v1
	v_lshl_or_b32 v7, v8, 9, v5
	v_add_nc_u32_e32 v9, 0x1000, v3
	s_delay_alu instid0(VALU_DEP_4) | instskip(SKIP_3) | instid1(VALU_DEP_4)
	v_ashrrev_i32_e32 v25, 31, v24
	v_mul_u64_e32 v[12:13], s[4:5], v[20:21]
	v_dual_ashrrev_i32 v5, 31, v4 :: v_dual_add_nc_u32 v16, 16, v10
	v_ashrrev_i32_e32 v11, 31, v10
	v_mul_u64_e32 v[14:15], s[4:5], v[24:25]
	v_ashrrev_i32_e32 v3, 31, v2
	s_or_b32 s40, s33, s38
	s_cmp_gt_i32 s19, 0
	v_cmp_gt_i32_e32 vcc_lo, s18, v2
	v_cmp_gt_i32_e64 s0, s18, v4
	v_lshlrev_b64_e32 v[4:5], 4, v[4:5]
	v_ashrrev_i32_e32 v17, 31, v16
	v_lshlrev_b64_e32 v[2:3], 4, v[2:3]
	s_cselect_b32 s41, -1, 0
	s_xor_b32 s3, s2, -1
	v_cmp_gt_i32_e64 s1, s18, v20
	v_cmp_le_i32_e64 s2, v10, v20
	v_cmp_le_i32_e64 s4, v10, v24
	s_and_b32 s33, s1, s2
	v_cmp_le_i32_e64 s2, v16, v20
	v_lshl_add_u64 v[2:3], v[18:19], 4, v[2:3]
	v_lshl_add_u64 v[4:5], v[22:23], 4, v[4:5]
	s_or_b32 s26, s26, s3
	v_cmp_gt_i32_e64 s3, s18, v24
	s_and_b32 s18, s1, s2
	v_cmp_le_i32_e64 s1, v16, v24
	v_add_nc_u64_e32 v[18:19], s[6:7], v[2:3]
	v_add_nc_u64_e32 v[20:21], s[22:23], v[4:5]
	s_and_b32 s38, s3, s4
	s_lshl_b64 s[4:5], s[36:37], 7
	s_and_b32 s39, s3, s1
	s_lshl_b64 s[2:3], s[20:21], 4
	s_lshl_b64 s[6:7], s[16:17], 4
	s_and_b32 s20, s40, s41
	s_lshl_b64 s[16:17], s[34:35], 7
	s_xor_b32 s21, vcc_lo, -1
	s_xor_b32 s22, s0, -1
	s_branch .LBB109_7
.LBB109_6:                              ;   in Loop: Header=BB109_7 Depth=1
	s_wait_xcnt 0x0
	s_or_b32 exec_lo, exec_lo, s0
	s_add_co_i32 s28, s28, 0x10000
	s_delay_alu instid0(SALU_CYCLE_1)
	s_cmp_lt_u32 s28, s27
	s_cbranch_scc0 .LBB109_39
.LBB109_7:                              ; =>This Loop Header: Depth=1
                                        ;     Child Loop BB109_10 Depth 2
	v_mov_b64_e32 v[32:33], 0
	v_mov_b64_e32 v[34:35], 0
	;; [unrolled: 1-line block ×8, first 2 shown]
	s_and_not1_b32 vcc_lo, exec_lo, s20
	s_cbranch_vccnz .LBB109_18
; %bb.8:                                ;   in Loop: Header=BB109_7 Depth=1
	v_mad_nc_u64_u32 v[4:5], s2, s28, v[18:19]
	v_mad_nc_u64_u32 v[22:23], s6, s28, v[20:21]
	v_mov_b64_e32 v[36:37], 0
	v_mov_b64_e32 v[38:39], 0
	;; [unrolled: 1-line block ×8, first 2 shown]
	s_mov_b32 s0, 0
	v_mad_u32 v5, s3, s28, v5
	v_mad_u32 v23, s7, s28, v23
	s_branch .LBB109_10
.LBB109_9:                              ;   in Loop: Header=BB109_10 Depth=2
	s_wait_xcnt 0x0
	s_or_b32 exec_lo, exec_lo, s1
	s_wait_dscnt 0x0
	s_barrier_signal -1
	s_barrier_wait -1
	ds_load_b128 v[42:45], v41
	ds_load_b128 v[46:49], v41 offset:16
	ds_load_b128 v[50:53], v41 offset:32
	;; [unrolled: 1-line block ×3, first 2 shown]
	ds_load_b128 v[58:61], v40
	v_add_nc_u64_e32 v[4:5], s[4:5], v[4:5]
	v_add_nc_u64_e32 v[22:23], s[16:17], v[22:23]
	s_add_co_i32 s0, s0, 8
	s_delay_alu instid0(SALU_CYCLE_1) | instskip(SKIP_3) | instid1(VALU_DEP_2)
	s_cmp_lt_i32 s0, s19
	s_wait_dscnt 0x0
	v_mul_f64_e32 v[2:3], v[44:45], v[60:61]
	v_mul_f64_e32 v[62:63], v[42:43], v[60:61]
	v_fma_f64 v[2:3], v[42:43], v[58:59], -v[2:3]
	s_delay_alu instid0(VALU_DEP_2) | instskip(NEXT) | instid1(VALU_DEP_2)
	v_fmac_f64_e32 v[62:63], v[44:45], v[58:59]
	v_add_f64_e32 v[2:3], v[32:33], v[2:3]
	s_delay_alu instid0(VALU_DEP_2) | instskip(SKIP_3) | instid1(VALU_DEP_1)
	v_add_f64_e32 v[62:63], v[62:63], v[34:35]
	ds_load_b128 v[32:35], v40 offset:256
	s_wait_dscnt 0x0
	v_mul_f64_e32 v[64:65], v[44:45], v[34:35]
	v_fma_f64 v[64:65], v[42:43], v[32:33], -v[64:65]
	v_mul_f64_e32 v[42:43], v[42:43], v[34:35]
	s_delay_alu instid0(VALU_DEP_1) | instskip(NEXT) | instid1(VALU_DEP_3)
	v_fmac_f64_e32 v[42:43], v[44:45], v[32:33]
	v_add_f64_e32 v[44:45], v[24:25], v[64:65]
	s_delay_alu instid0(VALU_DEP_2) | instskip(SKIP_4) | instid1(VALU_DEP_2)
	v_add_f64_e32 v[42:43], v[42:43], v[26:27]
	ds_load_b128 v[24:27], v41 offset:2048
	s_wait_dscnt 0x0
	v_mul_f64_e32 v[64:65], v[26:27], v[60:61]
	v_mul_f64_e32 v[60:61], v[24:25], v[60:61]
	v_fma_f64 v[64:65], v[24:25], v[58:59], -v[64:65]
	s_delay_alu instid0(VALU_DEP_2) | instskip(NEXT) | instid1(VALU_DEP_2)
	v_fmac_f64_e32 v[60:61], v[26:27], v[58:59]
	v_add_f64_e32 v[58:59], v[28:29], v[64:65]
	v_mul_f64_e32 v[28:29], v[26:27], v[34:35]
	s_delay_alu instid0(VALU_DEP_3) | instskip(NEXT) | instid1(VALU_DEP_2)
	v_add_f64_e32 v[60:61], v[60:61], v[30:31]
	v_fma_f64 v[28:29], v[24:25], v[32:33], -v[28:29]
	v_mul_f64_e32 v[24:25], v[24:25], v[34:35]
	s_delay_alu instid0(VALU_DEP_2) | instskip(NEXT) | instid1(VALU_DEP_2)
	v_add_f64_e32 v[38:39], v[38:39], v[28:29]
	v_fmac_f64_e32 v[24:25], v[26:27], v[32:33]
	s_delay_alu instid0(VALU_DEP_1) | instskip(SKIP_4) | instid1(VALU_DEP_2)
	v_add_f64_e32 v[36:37], v[24:25], v[36:37]
	ds_load_b128 v[24:27], v40 offset:512
	s_wait_dscnt 0x0
	v_mul_f64_e32 v[28:29], v[48:49], v[26:27]
	v_mul_f64_e32 v[30:31], v[46:47], v[26:27]
	v_fma_f64 v[28:29], v[46:47], v[24:25], -v[28:29]
	s_delay_alu instid0(VALU_DEP_2) | instskip(NEXT) | instid1(VALU_DEP_2)
	v_fmac_f64_e32 v[30:31], v[48:49], v[24:25]
	v_add_f64_e32 v[2:3], v[2:3], v[28:29]
	s_delay_alu instid0(VALU_DEP_2) | instskip(SKIP_4) | instid1(VALU_DEP_2)
	v_add_f64_e32 v[62:63], v[30:31], v[62:63]
	ds_load_b128 v[28:31], v40 offset:768
	s_wait_dscnt 0x0
	v_mul_f64_e32 v[32:33], v[48:49], v[30:31]
	v_mul_f64_e32 v[34:35], v[46:47], v[30:31]
	v_fma_f64 v[32:33], v[46:47], v[28:29], -v[32:33]
	s_delay_alu instid0(VALU_DEP_2) | instskip(NEXT) | instid1(VALU_DEP_2)
	v_fmac_f64_e32 v[34:35], v[48:49], v[28:29]
	v_add_f64_e32 v[44:45], v[44:45], v[32:33]
	s_delay_alu instid0(VALU_DEP_2) | instskip(SKIP_4) | instid1(VALU_DEP_2)
	v_add_f64_e32 v[42:43], v[34:35], v[42:43]
	ds_load_b128 v[32:35], v41 offset:2064
	s_wait_dscnt 0x0
	v_mul_f64_e32 v[46:47], v[34:35], v[26:27]
	v_mul_f64_e32 v[26:27], v[32:33], v[26:27]
	v_fma_f64 v[46:47], v[32:33], v[24:25], -v[46:47]
	s_delay_alu instid0(VALU_DEP_2) | instskip(SKIP_1) | instid1(VALU_DEP_3)
	v_fmac_f64_e32 v[26:27], v[34:35], v[24:25]
	v_mul_f64_e32 v[24:25], v[34:35], v[30:31]
	v_add_f64_e32 v[46:47], v[58:59], v[46:47]
	s_delay_alu instid0(VALU_DEP_3) | instskip(SKIP_1) | instid1(VALU_DEP_4)
	v_add_f64_e32 v[48:49], v[26:27], v[60:61]
	v_mul_f64_e32 v[26:27], v[32:33], v[30:31]
	v_fma_f64 v[24:25], v[32:33], v[28:29], -v[24:25]
	s_delay_alu instid0(VALU_DEP_2) | instskip(NEXT) | instid1(VALU_DEP_2)
	v_fmac_f64_e32 v[26:27], v[34:35], v[28:29]
	v_add_f64_e32 v[38:39], v[38:39], v[24:25]
	s_delay_alu instid0(VALU_DEP_2) | instskip(SKIP_4) | instid1(VALU_DEP_2)
	v_add_f64_e32 v[36:37], v[26:27], v[36:37]
	ds_load_b128 v[24:27], v40 offset:1024
	s_wait_dscnt 0x0
	v_mul_f64_e32 v[28:29], v[52:53], v[26:27]
	v_mul_f64_e32 v[30:31], v[50:51], v[26:27]
	v_fma_f64 v[28:29], v[50:51], v[24:25], -v[28:29]
	s_delay_alu instid0(VALU_DEP_2) | instskip(NEXT) | instid1(VALU_DEP_2)
	v_fmac_f64_e32 v[30:31], v[52:53], v[24:25]
	v_add_f64_e32 v[2:3], v[2:3], v[28:29]
	s_delay_alu instid0(VALU_DEP_2) | instskip(SKIP_4) | instid1(VALU_DEP_2)
	v_add_f64_e32 v[58:59], v[30:31], v[62:63]
	ds_load_b128 v[28:31], v40 offset:1280
	s_wait_dscnt 0x0
	v_mul_f64_e32 v[32:33], v[52:53], v[30:31]
	;; [unrolled: 10-line block ×3, first 2 shown]
	v_mul_f64_e32 v[26:27], v[32:33], v[26:27]
	v_fma_f64 v[50:51], v[32:33], v[24:25], -v[50:51]
	s_delay_alu instid0(VALU_DEP_2) | instskip(SKIP_1) | instid1(VALU_DEP_3)
	v_fmac_f64_e32 v[26:27], v[34:35], v[24:25]
	v_mul_f64_e32 v[24:25], v[34:35], v[30:31]
	v_add_f64_e32 v[46:47], v[46:47], v[50:51]
	s_delay_alu instid0(VALU_DEP_3) | instskip(SKIP_1) | instid1(VALU_DEP_4)
	v_add_f64_e32 v[48:49], v[26:27], v[48:49]
	v_mul_f64_e32 v[26:27], v[32:33], v[30:31]
	v_fma_f64 v[24:25], v[32:33], v[28:29], -v[24:25]
	s_delay_alu instid0(VALU_DEP_2) | instskip(NEXT) | instid1(VALU_DEP_2)
	v_fmac_f64_e32 v[26:27], v[34:35], v[28:29]
	v_add_f64_e32 v[38:39], v[38:39], v[24:25]
	s_delay_alu instid0(VALU_DEP_2) | instskip(SKIP_4) | instid1(VALU_DEP_2)
	v_add_f64_e32 v[36:37], v[26:27], v[36:37]
	ds_load_b128 v[24:27], v40 offset:1536
	s_wait_dscnt 0x0
	v_mul_f64_e32 v[28:29], v[56:57], v[26:27]
	v_mul_f64_e32 v[30:31], v[54:55], v[26:27]
	v_fma_f64 v[28:29], v[54:55], v[24:25], -v[28:29]
	s_delay_alu instid0(VALU_DEP_2) | instskip(NEXT) | instid1(VALU_DEP_2)
	v_fmac_f64_e32 v[30:31], v[56:57], v[24:25]
	v_add_f64_e32 v[2:3], v[2:3], v[28:29]
	s_delay_alu instid0(VALU_DEP_2) | instskip(SKIP_4) | instid1(VALU_DEP_2)
	v_add_f64_e32 v[50:51], v[30:31], v[58:59]
	ds_load_b128 v[28:31], v40 offset:1792
	s_wait_dscnt 0x0
	v_mul_f64_e32 v[32:33], v[56:57], v[30:31]
	;; [unrolled: 10-line block ×3, first 2 shown]
	v_mul_f64_e32 v[26:27], v[32:33], v[26:27]
	v_fma_f64 v[52:53], v[32:33], v[24:25], -v[52:53]
	s_delay_alu instid0(VALU_DEP_2) | instskip(SKIP_1) | instid1(VALU_DEP_3)
	v_fmac_f64_e32 v[26:27], v[34:35], v[24:25]
	v_mul_f64_e32 v[24:25], v[34:35], v[30:31]
	v_add_f64_e32 v[46:47], v[46:47], v[52:53]
	s_delay_alu instid0(VALU_DEP_3) | instskip(SKIP_1) | instid1(VALU_DEP_4)
	v_add_f64_e32 v[48:49], v[26:27], v[48:49]
	v_mul_f64_e32 v[26:27], v[32:33], v[30:31]
	v_fma_f64 v[24:25], v[32:33], v[28:29], -v[24:25]
	s_delay_alu instid0(VALU_DEP_2) | instskip(NEXT) | instid1(VALU_DEP_2)
	v_fmac_f64_e32 v[26:27], v[34:35], v[28:29]
	v_add_f64_e32 v[38:39], v[38:39], v[24:25]
	s_delay_alu instid0(VALU_DEP_2)
	v_add_f64_e32 v[36:37], v[26:27], v[36:37]
	ds_load_b128 v[24:27], v41 offset:64
	ds_load_b128 v[28:31], v40 offset:2048
	s_wait_dscnt 0x0
	v_mul_f64_e32 v[32:33], v[26:27], v[30:31]
	v_mul_f64_e32 v[34:35], v[24:25], v[30:31]
	s_delay_alu instid0(VALU_DEP_2) | instskip(NEXT) | instid1(VALU_DEP_2)
	v_fma_f64 v[32:33], v[24:25], v[28:29], -v[32:33]
	v_fmac_f64_e32 v[34:35], v[26:27], v[28:29]
	s_delay_alu instid0(VALU_DEP_2) | instskip(NEXT) | instid1(VALU_DEP_2)
	v_add_f64_e32 v[2:3], v[2:3], v[32:33]
	v_add_f64_e32 v[50:51], v[34:35], v[50:51]
	ds_load_b128 v[32:35], v40 offset:2304
	s_wait_dscnt 0x0
	v_mul_f64_e32 v[52:53], v[26:27], v[34:35]
	s_delay_alu instid0(VALU_DEP_1) | instskip(SKIP_1) | instid1(VALU_DEP_2)
	v_fma_f64 v[52:53], v[24:25], v[32:33], -v[52:53]
	v_mul_f64_e32 v[24:25], v[24:25], v[34:35]
	v_add_f64_e32 v[44:45], v[44:45], v[52:53]
	s_delay_alu instid0(VALU_DEP_2) | instskip(NEXT) | instid1(VALU_DEP_1)
	v_fmac_f64_e32 v[24:25], v[26:27], v[32:33]
	v_add_f64_e32 v[42:43], v[24:25], v[42:43]
	ds_load_b128 v[24:27], v41 offset:2112
	s_wait_dscnt 0x0
	v_mul_f64_e32 v[52:53], v[26:27], v[30:31]
	v_mul_f64_e32 v[30:31], v[24:25], v[30:31]
	s_delay_alu instid0(VALU_DEP_2) | instskip(NEXT) | instid1(VALU_DEP_2)
	v_fma_f64 v[52:53], v[24:25], v[28:29], -v[52:53]
	v_fmac_f64_e32 v[30:31], v[26:27], v[28:29]
	v_mul_f64_e32 v[28:29], v[26:27], v[34:35]
	s_delay_alu instid0(VALU_DEP_3) | instskip(NEXT) | instid1(VALU_DEP_3)
	v_add_f64_e32 v[46:47], v[46:47], v[52:53]
	v_add_f64_e32 v[48:49], v[30:31], v[48:49]
	s_delay_alu instid0(VALU_DEP_3) | instskip(SKIP_1) | instid1(VALU_DEP_2)
	v_fma_f64 v[28:29], v[24:25], v[32:33], -v[28:29]
	v_mul_f64_e32 v[24:25], v[24:25], v[34:35]
	v_add_f64_e32 v[38:39], v[38:39], v[28:29]
	s_delay_alu instid0(VALU_DEP_2) | instskip(NEXT) | instid1(VALU_DEP_1)
	v_fmac_f64_e32 v[24:25], v[26:27], v[32:33]
	v_add_f64_e32 v[36:37], v[24:25], v[36:37]
	ds_load_b128 v[24:27], v41 offset:80
	ds_load_b128 v[28:31], v40 offset:2560
	s_wait_dscnt 0x0
	v_mul_f64_e32 v[32:33], v[26:27], v[30:31]
	v_mul_f64_e32 v[34:35], v[24:25], v[30:31]
	s_delay_alu instid0(VALU_DEP_2) | instskip(NEXT) | instid1(VALU_DEP_2)
	v_fma_f64 v[32:33], v[24:25], v[28:29], -v[32:33]
	v_fmac_f64_e32 v[34:35], v[26:27], v[28:29]
	s_delay_alu instid0(VALU_DEP_2) | instskip(NEXT) | instid1(VALU_DEP_2)
	v_add_f64_e32 v[2:3], v[2:3], v[32:33]
	v_add_f64_e32 v[50:51], v[34:35], v[50:51]
	ds_load_b128 v[32:35], v40 offset:2816
	s_wait_dscnt 0x0
	v_mul_f64_e32 v[52:53], v[26:27], v[34:35]
	s_delay_alu instid0(VALU_DEP_1) | instskip(SKIP_1) | instid1(VALU_DEP_2)
	v_fma_f64 v[52:53], v[24:25], v[32:33], -v[52:53]
	v_mul_f64_e32 v[24:25], v[24:25], v[34:35]
	v_add_f64_e32 v[44:45], v[44:45], v[52:53]
	s_delay_alu instid0(VALU_DEP_2) | instskip(NEXT) | instid1(VALU_DEP_1)
	v_fmac_f64_e32 v[24:25], v[26:27], v[32:33]
	v_add_f64_e32 v[42:43], v[24:25], v[42:43]
	ds_load_b128 v[24:27], v41 offset:2128
	s_wait_dscnt 0x0
	v_mul_f64_e32 v[52:53], v[26:27], v[30:31]
	v_mul_f64_e32 v[30:31], v[24:25], v[30:31]
	s_delay_alu instid0(VALU_DEP_2) | instskip(NEXT) | instid1(VALU_DEP_2)
	v_fma_f64 v[52:53], v[24:25], v[28:29], -v[52:53]
	v_fmac_f64_e32 v[30:31], v[26:27], v[28:29]
	v_mul_f64_e32 v[28:29], v[26:27], v[34:35]
	s_delay_alu instid0(VALU_DEP_3) | instskip(NEXT) | instid1(VALU_DEP_3)
	v_add_f64_e32 v[46:47], v[46:47], v[52:53]
	v_add_f64_e32 v[48:49], v[30:31], v[48:49]
	s_delay_alu instid0(VALU_DEP_3) | instskip(SKIP_1) | instid1(VALU_DEP_2)
	v_fma_f64 v[28:29], v[24:25], v[32:33], -v[28:29]
	v_mul_f64_e32 v[24:25], v[24:25], v[34:35]
	v_add_f64_e32 v[38:39], v[38:39], v[28:29]
	s_delay_alu instid0(VALU_DEP_2) | instskip(NEXT) | instid1(VALU_DEP_1)
	v_fmac_f64_e32 v[24:25], v[26:27], v[32:33]
	;; [unrolled: 39-line block ×3, first 2 shown]
	v_add_f64_e32 v[54:55], v[24:25], v[36:37]
	ds_load_b128 v[24:27], v41 offset:112
	ds_load_b128 v[28:31], v40 offset:3584
	;; [unrolled: 1-line block ×3, first 2 shown]
	s_wait_dscnt 0x1
	v_mul_f64_e32 v[32:33], v[26:27], v[30:31]
	v_mul_f64_e32 v[34:35], v[24:25], v[30:31]
	s_delay_alu instid0(VALU_DEP_2) | instskip(NEXT) | instid1(VALU_DEP_2)
	v_fma_f64 v[32:33], v[24:25], v[28:29], -v[32:33]
	v_fmac_f64_e32 v[34:35], v[26:27], v[28:29]
	s_delay_alu instid0(VALU_DEP_2) | instskip(NEXT) | instid1(VALU_DEP_2)
	v_add_f64_e32 v[32:33], v[2:3], v[32:33]
	v_add_f64_e32 v[34:35], v[34:35], v[50:51]
	s_wait_dscnt 0x0
	v_mul_f64_e32 v[2:3], v[26:27], v[38:39]
	v_mul_f64_e32 v[50:51], v[24:25], v[38:39]
	s_delay_alu instid0(VALU_DEP_2) | instskip(NEXT) | instid1(VALU_DEP_2)
	v_fma_f64 v[2:3], v[24:25], v[36:37], -v[2:3]
	v_fmac_f64_e32 v[50:51], v[26:27], v[36:37]
	s_delay_alu instid0(VALU_DEP_2) | instskip(NEXT) | instid1(VALU_DEP_2)
	v_add_f64_e32 v[24:25], v[44:45], v[2:3]
	v_add_f64_e32 v[26:27], v[50:51], v[42:43]
	ds_load_b128 v[42:45], v41 offset:2160
	s_wait_dscnt 0x0
	s_barrier_signal -1
	s_barrier_wait -1
	v_mul_f64_e32 v[2:3], v[44:45], v[30:31]
	v_mul_f64_e32 v[30:31], v[42:43], v[30:31]
	s_delay_alu instid0(VALU_DEP_2) | instskip(NEXT) | instid1(VALU_DEP_2)
	v_fma_f64 v[2:3], v[42:43], v[28:29], -v[2:3]
	v_fmac_f64_e32 v[30:31], v[44:45], v[28:29]
	s_delay_alu instid0(VALU_DEP_2) | instskip(SKIP_1) | instid1(VALU_DEP_3)
	v_add_f64_e32 v[28:29], v[46:47], v[2:3]
	v_mul_f64_e32 v[2:3], v[44:45], v[38:39]
	v_add_f64_e32 v[30:31], v[30:31], v[48:49]
	s_delay_alu instid0(VALU_DEP_2) | instskip(SKIP_1) | instid1(VALU_DEP_2)
	v_fma_f64 v[2:3], v[42:43], v[36:37], -v[2:3]
	v_mul_f64_e32 v[42:43], v[42:43], v[38:39]
	v_add_f64_e32 v[38:39], v[52:53], v[2:3]
	s_delay_alu instid0(VALU_DEP_2) | instskip(NEXT) | instid1(VALU_DEP_1)
	v_fmac_f64_e32 v[42:43], v[44:45], v[36:37]
	v_add_f64_e32 v[36:37], v[42:43], v[54:55]
	s_cbranch_scc0 .LBB109_18
.LBB109_10:                             ;   Parent Loop BB109_7 Depth=1
                                        ; =>  This Inner Loop Header: Depth=2
	v_add_nc_u32_e32 v1, s0, v8
	s_delay_alu instid0(VALU_DEP_1) | instskip(SKIP_1) | instid1(SALU_CYCLE_1)
	v_cmp_le_i32_e32 vcc_lo, s19, v1
	s_or_b32 s1, s21, vcc_lo
	s_and_saveexec_b32 s23, s1
	s_delay_alu instid0(SALU_CYCLE_1)
	s_xor_b32 s1, exec_lo, s23
; %bb.11:                               ;   in Loop: Header=BB109_10 Depth=2
	v_dual_mov_b32 v1, v0 :: v_dual_mov_b32 v2, v0
	v_mov_b32_e32 v3, v0
	ds_store_b128 v7, v[0:3]
; %bb.12:                               ;   in Loop: Header=BB109_10 Depth=2
	s_and_not1_saveexec_b32 s1, s1
	s_cbranch_execz .LBB109_14
; %bb.13:                               ;   in Loop: Header=BB109_10 Depth=2
	global_load_b128 v[42:45], v[4:5], off
	s_wait_loadcnt 0x0
	ds_store_2addr_b64 v7, v[42:43], v[44:45] offset1:1
.LBB109_14:                             ;   in Loop: Header=BB109_10 Depth=2
	s_wait_xcnt 0x0
	s_or_b32 exec_lo, exec_lo, s1
	v_add_nc_u32_e32 v1, s0, v6
	s_delay_alu instid0(VALU_DEP_1) | instskip(SKIP_1) | instid1(SALU_CYCLE_1)
	v_cmp_le_i32_e32 vcc_lo, s19, v1
	s_or_b32 s1, vcc_lo, s22
	s_and_saveexec_b32 s23, s1
	s_delay_alu instid0(SALU_CYCLE_1)
	s_xor_b32 s1, exec_lo, s23
; %bb.15:                               ;   in Loop: Header=BB109_10 Depth=2
	v_dual_mov_b32 v1, v0 :: v_dual_mov_b32 v2, v0
	v_mov_b32_e32 v3, v0
	ds_store_b128 v9, v[0:3]
; %bb.16:                               ;   in Loop: Header=BB109_10 Depth=2
	s_and_not1_saveexec_b32 s1, s1
	s_cbranch_execz .LBB109_9
; %bb.17:                               ;   in Loop: Header=BB109_10 Depth=2
	global_load_b128 v[42:45], v[22:23], off
	s_wait_loadcnt 0x0
	ds_store_2addr_b64 v9, v[42:43], v[44:45] offset1:1
	s_branch .LBB109_9
.LBB109_18:                             ;   in Loop: Header=BB109_7 Depth=1
	s_mul_u64 s[0:1], s[30:31], s[28:29]
	s_delay_alu instid0(SALU_CYCLE_1) | instskip(NEXT) | instid1(SALU_CYCLE_1)
	s_lshl_b64 s[0:1], s[0:1], 4
	s_add_nc_u64 s[0:1], s[24:25], s[0:1]
	s_delay_alu instid0(SALU_CYCLE_1)
	v_lshl_add_u64 v[22:23], v[12:13], 4, s[0:1]
	s_and_saveexec_b32 s23, s33
	s_cbranch_execz .LBB109_23
; %bb.19:                               ;   in Loop: Header=BB109_7 Depth=1
	v_mul_f64_e32 v[2:3], s[14:15], v[34:35]
	v_mul_f64_e32 v[4:5], s[12:13], v[34:35]
	s_and_b32 vcc_lo, exec_lo, s26
	s_mov_b32 s34, -1
	s_delay_alu instid0(VALU_DEP_2) | instskip(NEXT) | instid1(VALU_DEP_2)
	v_fma_f64 v[2:3], s[12:13], v[32:33], -v[2:3]
	v_fmac_f64_e32 v[4:5], s[14:15], v[32:33]
	v_lshl_add_u64 v[32:33], v[10:11], 4, v[22:23]
	s_cbranch_vccz .LBB109_21
; %bb.20:                               ;   in Loop: Header=BB109_7 Depth=1
	global_load_b128 v[42:45], v[32:33], off
	s_mov_b32 s34, 0
	s_wait_loadcnt 0x0
	v_mul_f64_e32 v[34:35], s[10:11], v[44:45]
	v_mul_f64_e32 v[44:45], s[8:9], v[44:45]
	s_delay_alu instid0(VALU_DEP_2) | instskip(NEXT) | instid1(VALU_DEP_2)
	v_fma_f64 v[34:35], s[8:9], v[42:43], -v[34:35]
	v_fmac_f64_e32 v[44:45], s[10:11], v[42:43]
	s_delay_alu instid0(VALU_DEP_2) | instskip(NEXT) | instid1(VALU_DEP_2)
	v_add_f64_e32 v[42:43], v[2:3], v[34:35]
	v_add_f64_e32 v[44:45], v[4:5], v[44:45]
	global_store_b128 v[32:33], v[42:45], off
.LBB109_21:                             ;   in Loop: Header=BB109_7 Depth=1
	s_and_not1_b32 vcc_lo, exec_lo, s34
	s_cbranch_vccnz .LBB109_23
; %bb.22:                               ;   in Loop: Header=BB109_7 Depth=1
	global_store_b128 v[32:33], v[2:5], off
.LBB109_23:                             ;   in Loop: Header=BB109_7 Depth=1
	s_wait_xcnt 0x0
	s_or_b32 exec_lo, exec_lo, s23
	s_and_saveexec_b32 s23, s18
	s_cbranch_execz .LBB109_28
; %bb.24:                               ;   in Loop: Header=BB109_7 Depth=1
	v_mul_f64_e32 v[2:3], s[14:15], v[26:27]
	v_mul_f64_e32 v[4:5], s[12:13], v[26:27]
	v_lshl_add_u64 v[22:23], v[16:17], 4, v[22:23]
	s_and_not1_b32 vcc_lo, exec_lo, s26
	s_mov_b32 s34, -1
	s_delay_alu instid0(VALU_DEP_3) | instskip(NEXT) | instid1(VALU_DEP_3)
	v_fma_f64 v[2:3], s[12:13], v[24:25], -v[2:3]
	v_fmac_f64_e32 v[4:5], s[14:15], v[24:25]
	s_cbranch_vccnz .LBB109_26
; %bb.25:                               ;   in Loop: Header=BB109_7 Depth=1
	global_load_b128 v[24:27], v[22:23], off
	s_mov_b32 s34, 0
	s_wait_loadcnt 0x0
	v_mul_f64_e32 v[32:33], s[10:11], v[26:27]
	v_mul_f64_e32 v[26:27], s[8:9], v[26:27]
	s_delay_alu instid0(VALU_DEP_2) | instskip(NEXT) | instid1(VALU_DEP_2)
	v_fma_f64 v[32:33], s[8:9], v[24:25], -v[32:33]
	v_fmac_f64_e32 v[26:27], s[10:11], v[24:25]
	s_delay_alu instid0(VALU_DEP_2) | instskip(NEXT) | instid1(VALU_DEP_2)
	v_add_f64_e32 v[24:25], v[2:3], v[32:33]
	v_add_f64_e32 v[26:27], v[4:5], v[26:27]
	global_store_b128 v[22:23], v[24:27], off
.LBB109_26:                             ;   in Loop: Header=BB109_7 Depth=1
	s_and_not1_b32 vcc_lo, exec_lo, s34
	s_cbranch_vccnz .LBB109_28
; %bb.27:                               ;   in Loop: Header=BB109_7 Depth=1
	global_store_b128 v[22:23], v[2:5], off
.LBB109_28:                             ;   in Loop: Header=BB109_7 Depth=1
	s_wait_xcnt 0x0
	s_or_b32 exec_lo, exec_lo, s23
	v_lshl_add_u64 v[22:23], v[14:15], 4, s[0:1]
	s_and_saveexec_b32 s0, s38
	s_cbranch_execz .LBB109_33
; %bb.29:                               ;   in Loop: Header=BB109_7 Depth=1
	v_mul_f64_e32 v[2:3], s[14:15], v[30:31]
	v_mul_f64_e32 v[4:5], s[12:13], v[30:31]
	v_lshl_add_u64 v[24:25], v[10:11], 4, v[22:23]
	s_and_not1_b32 vcc_lo, exec_lo, s26
	s_mov_b32 s1, -1
	s_delay_alu instid0(VALU_DEP_3) | instskip(NEXT) | instid1(VALU_DEP_3)
	v_fma_f64 v[2:3], s[12:13], v[28:29], -v[2:3]
	v_fmac_f64_e32 v[4:5], s[14:15], v[28:29]
	s_cbranch_vccnz .LBB109_31
; %bb.30:                               ;   in Loop: Header=BB109_7 Depth=1
	global_load_b128 v[26:29], v[24:25], off
	s_mov_b32 s1, 0
	s_wait_loadcnt 0x0
	v_mul_f64_e32 v[30:31], s[10:11], v[28:29]
	v_mul_f64_e32 v[28:29], s[8:9], v[28:29]
	s_delay_alu instid0(VALU_DEP_2) | instskip(NEXT) | instid1(VALU_DEP_2)
	v_fma_f64 v[30:31], s[8:9], v[26:27], -v[30:31]
	v_fmac_f64_e32 v[28:29], s[10:11], v[26:27]
	s_delay_alu instid0(VALU_DEP_2) | instskip(NEXT) | instid1(VALU_DEP_2)
	v_add_f64_e32 v[26:27], v[2:3], v[30:31]
	v_add_f64_e32 v[28:29], v[4:5], v[28:29]
	global_store_b128 v[24:25], v[26:29], off
.LBB109_31:                             ;   in Loop: Header=BB109_7 Depth=1
	s_and_not1_b32 vcc_lo, exec_lo, s1
	s_cbranch_vccnz .LBB109_33
; %bb.32:                               ;   in Loop: Header=BB109_7 Depth=1
	global_store_b128 v[24:25], v[2:5], off
.LBB109_33:                             ;   in Loop: Header=BB109_7 Depth=1
	s_wait_xcnt 0x0
	s_or_b32 exec_lo, exec_lo, s0
	s_and_saveexec_b32 s0, s39
	s_cbranch_execz .LBB109_6
; %bb.34:                               ;   in Loop: Header=BB109_7 Depth=1
	s_delay_alu instid0(VALU_DEP_3) | instskip(SKIP_4) | instid1(VALU_DEP_3)
	v_mul_f64_e32 v[2:3], s[14:15], v[36:37]
	v_mul_f64_e32 v[4:5], s[12:13], v[36:37]
	v_lshl_add_u64 v[22:23], v[16:17], 4, v[22:23]
	s_and_not1_b32 vcc_lo, exec_lo, s26
	s_mov_b32 s1, -1
	v_fma_f64 v[2:3], s[12:13], v[38:39], -v[2:3]
	s_delay_alu instid0(VALU_DEP_3)
	v_fmac_f64_e32 v[4:5], s[14:15], v[38:39]
	s_cbranch_vccnz .LBB109_36
; %bb.35:                               ;   in Loop: Header=BB109_7 Depth=1
	global_load_b128 v[24:27], v[22:23], off
	s_mov_b32 s1, 0
	s_wait_loadcnt 0x0
	v_mul_f64_e32 v[28:29], s[10:11], v[26:27]
	v_mul_f64_e32 v[26:27], s[8:9], v[26:27]
	s_delay_alu instid0(VALU_DEP_2) | instskip(NEXT) | instid1(VALU_DEP_2)
	v_fma_f64 v[28:29], s[8:9], v[24:25], -v[28:29]
	v_fmac_f64_e32 v[26:27], s[10:11], v[24:25]
	s_delay_alu instid0(VALU_DEP_2) | instskip(NEXT) | instid1(VALU_DEP_2)
	v_add_f64_e32 v[24:25], v[2:3], v[28:29]
	v_add_f64_e32 v[26:27], v[4:5], v[26:27]
	global_store_b128 v[22:23], v[24:27], off
.LBB109_36:                             ;   in Loop: Header=BB109_7 Depth=1
	s_and_not1_b32 vcc_lo, exec_lo, s1
	s_cbranch_vccnz .LBB109_6
; %bb.37:                               ;   in Loop: Header=BB109_7 Depth=1
	global_store_b128 v[22:23], v[2:5], off
	s_branch .LBB109_6
.LBB109_38:
.LBB109_39:
	s_sendmsg sendmsg(MSG_DEALLOC_VGPRS)
	s_endpgm
	.section	.rodata,"a",@progbits
	.p2align	6, 0x0
	.amdhsa_kernel _ZL29rocblas_internal_gemmt_kernelIiLi16ELi32ELi8ELc78ELc84ELc85ELb0ELb0E19rocblas_complex_numIdEPKS1_S3_PS1_EviT_T9_T10_S5_lS7_S5_lS6_T11_S5_li
		.amdhsa_group_segment_fixed_size 8192
		.amdhsa_private_segment_fixed_size 0
		.amdhsa_kernarg_size 100
		.amdhsa_user_sgpr_count 2
		.amdhsa_user_sgpr_dispatch_ptr 0
		.amdhsa_user_sgpr_queue_ptr 0
		.amdhsa_user_sgpr_kernarg_segment_ptr 1
		.amdhsa_user_sgpr_dispatch_id 0
		.amdhsa_user_sgpr_kernarg_preload_length 0
		.amdhsa_user_sgpr_kernarg_preload_offset 0
		.amdhsa_user_sgpr_private_segment_size 0
		.amdhsa_wavefront_size32 1
		.amdhsa_uses_dynamic_stack 0
		.amdhsa_enable_private_segment 0
		.amdhsa_system_sgpr_workgroup_id_x 1
		.amdhsa_system_sgpr_workgroup_id_y 1
		.amdhsa_system_sgpr_workgroup_id_z 1
		.amdhsa_system_sgpr_workgroup_info 0
		.amdhsa_system_vgpr_workitem_id 1
		.amdhsa_next_free_vgpr 66
		.amdhsa_next_free_sgpr 42
		.amdhsa_named_barrier_count 0
		.amdhsa_reserve_vcc 1
		.amdhsa_float_round_mode_32 0
		.amdhsa_float_round_mode_16_64 0
		.amdhsa_float_denorm_mode_32 3
		.amdhsa_float_denorm_mode_16_64 3
		.amdhsa_fp16_overflow 0
		.amdhsa_memory_ordered 1
		.amdhsa_forward_progress 1
		.amdhsa_inst_pref_size 26
		.amdhsa_round_robin_scheduling 0
		.amdhsa_exception_fp_ieee_invalid_op 0
		.amdhsa_exception_fp_denorm_src 0
		.amdhsa_exception_fp_ieee_div_zero 0
		.amdhsa_exception_fp_ieee_overflow 0
		.amdhsa_exception_fp_ieee_underflow 0
		.amdhsa_exception_fp_ieee_inexact 0
		.amdhsa_exception_int_div_zero 0
	.end_amdhsa_kernel
	.section	.text._ZL29rocblas_internal_gemmt_kernelIiLi16ELi32ELi8ELc78ELc84ELc85ELb0ELb0E19rocblas_complex_numIdEPKS1_S3_PS1_EviT_T9_T10_S5_lS7_S5_lS6_T11_S5_li,"axG",@progbits,_ZL29rocblas_internal_gemmt_kernelIiLi16ELi32ELi8ELc78ELc84ELc85ELb0ELb0E19rocblas_complex_numIdEPKS1_S3_PS1_EviT_T9_T10_S5_lS7_S5_lS6_T11_S5_li,comdat
.Lfunc_end109:
	.size	_ZL29rocblas_internal_gemmt_kernelIiLi16ELi32ELi8ELc78ELc84ELc85ELb0ELb0E19rocblas_complex_numIdEPKS1_S3_PS1_EviT_T9_T10_S5_lS7_S5_lS6_T11_S5_li, .Lfunc_end109-_ZL29rocblas_internal_gemmt_kernelIiLi16ELi32ELi8ELc78ELc84ELc85ELb0ELb0E19rocblas_complex_numIdEPKS1_S3_PS1_EviT_T9_T10_S5_lS7_S5_lS6_T11_S5_li
                                        ; -- End function
	.set _ZL29rocblas_internal_gemmt_kernelIiLi16ELi32ELi8ELc78ELc84ELc85ELb0ELb0E19rocblas_complex_numIdEPKS1_S3_PS1_EviT_T9_T10_S5_lS7_S5_lS6_T11_S5_li.num_vgpr, 66
	.set _ZL29rocblas_internal_gemmt_kernelIiLi16ELi32ELi8ELc78ELc84ELc85ELb0ELb0E19rocblas_complex_numIdEPKS1_S3_PS1_EviT_T9_T10_S5_lS7_S5_lS6_T11_S5_li.num_agpr, 0
	.set _ZL29rocblas_internal_gemmt_kernelIiLi16ELi32ELi8ELc78ELc84ELc85ELb0ELb0E19rocblas_complex_numIdEPKS1_S3_PS1_EviT_T9_T10_S5_lS7_S5_lS6_T11_S5_li.numbered_sgpr, 42
	.set _ZL29rocblas_internal_gemmt_kernelIiLi16ELi32ELi8ELc78ELc84ELc85ELb0ELb0E19rocblas_complex_numIdEPKS1_S3_PS1_EviT_T9_T10_S5_lS7_S5_lS6_T11_S5_li.num_named_barrier, 0
	.set _ZL29rocblas_internal_gemmt_kernelIiLi16ELi32ELi8ELc78ELc84ELc85ELb0ELb0E19rocblas_complex_numIdEPKS1_S3_PS1_EviT_T9_T10_S5_lS7_S5_lS6_T11_S5_li.private_seg_size, 0
	.set _ZL29rocblas_internal_gemmt_kernelIiLi16ELi32ELi8ELc78ELc84ELc85ELb0ELb0E19rocblas_complex_numIdEPKS1_S3_PS1_EviT_T9_T10_S5_lS7_S5_lS6_T11_S5_li.uses_vcc, 1
	.set _ZL29rocblas_internal_gemmt_kernelIiLi16ELi32ELi8ELc78ELc84ELc85ELb0ELb0E19rocblas_complex_numIdEPKS1_S3_PS1_EviT_T9_T10_S5_lS7_S5_lS6_T11_S5_li.uses_flat_scratch, 0
	.set _ZL29rocblas_internal_gemmt_kernelIiLi16ELi32ELi8ELc78ELc84ELc85ELb0ELb0E19rocblas_complex_numIdEPKS1_S3_PS1_EviT_T9_T10_S5_lS7_S5_lS6_T11_S5_li.has_dyn_sized_stack, 0
	.set _ZL29rocblas_internal_gemmt_kernelIiLi16ELi32ELi8ELc78ELc84ELc85ELb0ELb0E19rocblas_complex_numIdEPKS1_S3_PS1_EviT_T9_T10_S5_lS7_S5_lS6_T11_S5_li.has_recursion, 0
	.set _ZL29rocblas_internal_gemmt_kernelIiLi16ELi32ELi8ELc78ELc84ELc85ELb0ELb0E19rocblas_complex_numIdEPKS1_S3_PS1_EviT_T9_T10_S5_lS7_S5_lS6_T11_S5_li.has_indirect_call, 0
	.section	.AMDGPU.csdata,"",@progbits
; Kernel info:
; codeLenInByte = 3248
; TotalNumSgprs: 44
; NumVgprs: 66
; ScratchSize: 0
; MemoryBound: 0
; FloatMode: 240
; IeeeMode: 1
; LDSByteSize: 8192 bytes/workgroup (compile time only)
; SGPRBlocks: 0
; VGPRBlocks: 4
; NumSGPRsForWavesPerEU: 44
; NumVGPRsForWavesPerEU: 66
; NamedBarCnt: 0
; Occupancy: 12
; WaveLimiterHint : 0
; COMPUTE_PGM_RSRC2:SCRATCH_EN: 0
; COMPUTE_PGM_RSRC2:USER_SGPR: 2
; COMPUTE_PGM_RSRC2:TRAP_HANDLER: 0
; COMPUTE_PGM_RSRC2:TGID_X_EN: 1
; COMPUTE_PGM_RSRC2:TGID_Y_EN: 1
; COMPUTE_PGM_RSRC2:TGID_Z_EN: 1
; COMPUTE_PGM_RSRC2:TIDIG_COMP_CNT: 1
	.section	.text._ZL29rocblas_internal_gemmt_kernelIiLi16ELi32ELi8ELc78ELc67ELc85ELb0ELb1E19rocblas_complex_numIdEPKS1_S3_PS1_EviT_T9_T10_S5_lS7_S5_lS6_T11_S5_li,"axG",@progbits,_ZL29rocblas_internal_gemmt_kernelIiLi16ELi32ELi8ELc78ELc67ELc85ELb0ELb1E19rocblas_complex_numIdEPKS1_S3_PS1_EviT_T9_T10_S5_lS7_S5_lS6_T11_S5_li,comdat
	.globl	_ZL29rocblas_internal_gemmt_kernelIiLi16ELi32ELi8ELc78ELc67ELc85ELb0ELb1E19rocblas_complex_numIdEPKS1_S3_PS1_EviT_T9_T10_S5_lS7_S5_lS6_T11_S5_li ; -- Begin function _ZL29rocblas_internal_gemmt_kernelIiLi16ELi32ELi8ELc78ELc67ELc85ELb0ELb1E19rocblas_complex_numIdEPKS1_S3_PS1_EviT_T9_T10_S5_lS7_S5_lS6_T11_S5_li
	.p2align	8
	.type	_ZL29rocblas_internal_gemmt_kernelIiLi16ELi32ELi8ELc78ELc67ELc85ELb0ELb1E19rocblas_complex_numIdEPKS1_S3_PS1_EviT_T9_T10_S5_lS7_S5_lS6_T11_S5_li,@function
_ZL29rocblas_internal_gemmt_kernelIiLi16ELi32ELi8ELc78ELc67ELc85ELb0ELb1E19rocblas_complex_numIdEPKS1_S3_PS1_EviT_T9_T10_S5_lS7_S5_lS6_T11_S5_li: ; @_ZL29rocblas_internal_gemmt_kernelIiLi16ELi32ELi8ELc78ELc67ELc85ELb0ELb1E19rocblas_complex_numIdEPKS1_S3_PS1_EviT_T9_T10_S5_lS7_S5_lS6_T11_S5_li
; %bb.0:
	s_load_b128 s[12:15], s[0:1], 0x38
	s_wait_kmcnt 0x0
	s_load_b128 s[4:7], s[14:15], 0x0
	s_load_b128 s[16:19], s[0:1], 0x8
	s_wait_xcnt 0x0
	s_load_b64 s[14:15], s[0:1], 0x0
	s_wait_kmcnt 0x0
	v_cmp_eq_f64_e64 s3, s[4:5], 1.0
	v_cmp_eq_f64_e64 s2, s[6:7], 0
	s_load_b128 s[8:11], s[16:17], 0x0
	s_and_b32 s3, s3, s2
	s_delay_alu instid0(SALU_CYCLE_1)
	s_and_not1_b32 vcc_lo, exec_lo, s3
	s_mov_b32 s3, -1
	s_cbranch_vccnz .LBB110_3
; %bb.1:
	s_cmp_lg_u32 s15, 0
	s_cbranch_scc0 .LBB110_36
; %bb.2:
	s_wait_kmcnt 0x0
	v_cmp_neq_f64_e64 s3, s[8:9], 0
	v_cmp_neq_f64_e64 s16, s[10:11], 0
	s_or_b32 s3, s3, s16
.LBB110_3:
	s_delay_alu instid0(SALU_CYCLE_1)
	s_and_b32 vcc_lo, exec_lo, s3
	s_cbranch_vccz .LBB110_37
; %bb.4:
	s_load_b32 s27, s[0:1], 0x60
	s_bfe_u32 s3, ttmp6, 0x40014
	s_wait_xcnt 0x0
	s_lshr_b32 s16, ttmp7, 16
	s_add_co_i32 s3, s3, 1
	s_bfe_u32 s20, ttmp6, 0x40008
	s_mul_i32 s17, s16, s3
	s_getreg_b32 s3, hwreg(HW_REG_IB_STS2, 6, 4)
	s_add_co_i32 s20, s20, s17
	s_cmp_eq_u32 s3, 0
	s_mov_b32 s17, 0
	s_cselect_b32 s16, s16, s20
	s_wait_kmcnt 0x0
	s_cmp_ge_u32 s16, s27
	s_cbranch_scc1 .LBB110_37
; %bb.5:
	s_clause 0x3
	s_load_b32 s34, s[0:1], 0x18
	s_load_b32 s30, s[0:1], 0x30
	s_load_b96 s[24:26], s[0:1], 0x48
	s_load_b128 s[20:23], s[0:1], 0x20
	v_and_b32_e32 v1, 0x3ff, v0
	v_bfe_u32 v3, v0, 10, 10
	s_load_b64 s[28:29], s[0:1], 0x58
	s_wait_xcnt 0x0
	s_bfe_u32 s1, ttmp6, 0x4000c
	s_bfe_u32 s40, ttmp6, 0x40010
	s_and_b32 s39, ttmp7, 0xffff
	s_add_co_i32 s1, s1, 1
	s_add_co_i32 s40, s40, 1
	v_lshl_add_u32 v2, v3, 4, v1
	s_and_b32 s0, ttmp6, 15
	s_mul_i32 s1, ttmp9, s1
	v_and_b32_e32 v6, 7, v0
	s_add_co_i32 s0, s0, s1
	v_dual_mov_b32 v0, 0 :: v_dual_bitop2_b32 v5, 31, v2 bitop3:0x40
	v_lshrrev_b32_e32 v8, 5, v2
	s_wait_kmcnt 0x0
	s_ashr_i32 s35, s34, 31
	s_ashr_i32 s31, s30, 31
	;; [unrolled: 1-line block ×3, first 2 shown]
	s_mov_b32 s36, s26
	s_mul_i32 s26, s39, s40
	s_bfe_u32 s40, ttmp6, 0x40004
	v_mov_b32_e32 v9, v0
	s_add_co_i32 s40, s40, s26
	s_cmp_eq_u32 s3, 0
	v_cmp_neq_f64_e64 s33, s[8:9], 0
	s_cselect_b32 s0, ttmp9, s0
	s_cselect_b32 s1, s39, s40
	s_lshl_b32 s3, s0, 5
	s_delay_alu instid0(SALU_CYCLE_1) | instskip(SKIP_3) | instid1(VALU_DEP_3)
	v_dual_lshrrev_b32 v10, 3, v2 :: v_dual_bitop2_b32 v2, s3, v5 bitop3:0x54
	s_lshl_b32 s0, s1, 5
	v_mov_b32_e32 v7, v0
	v_cmp_neq_f64_e64 s38, s[10:11], 0
	v_dual_add_nc_u32 v4, s0, v10 :: v_dual_lshlrev_b32 v5, 4, v5
	v_add_nc_u32_e32 v20, s0, v3
	s_delay_alu instid0(VALU_DEP_4) | instskip(SKIP_4) | instid1(VALU_DEP_4)
	v_mul_u64_e32 v[18:19], s[30:31], v[6:7]
	v_lshlrev_b32_e32 v7, 4, v6
	v_mul_u64_e32 v[22:23], s[34:35], v[8:9]
	v_cmp_neq_f64_e64 s26, s[4:5], 0
	v_dual_add_nc_u32 v24, 16, v20 :: v_dual_ashrrev_i32 v21, 31, v20
	v_lshl_or_b32 v9, v10, 7, v7
	v_add_nc_u32_e32 v10, s3, v1
	v_lshl_or_b32 v7, v8, 9, v5
	s_delay_alu instid0(VALU_DEP_4) | instskip(SKIP_3) | instid1(VALU_DEP_4)
	v_ashrrev_i32_e32 v25, 31, v24
	v_mul_u64_e32 v[12:13], s[36:37], v[20:21]
	v_dual_ashrrev_i32 v5, 31, v4 :: v_dual_lshlrev_b32 v42, 4, v1
	v_cmp_gt_i32_e64 s0, s14, v4
	v_mul_u64_e32 v[14:15], s[36:37], v[24:25]
	v_lshl_add_u32 v43, v3, 7, 0x1000
	s_delay_alu instid0(VALU_DEP_4) | instskip(SKIP_4) | instid1(VALU_DEP_4)
	v_lshlrev_b64_e32 v[4:5], 4, v[4:5]
	v_dual_add_nc_u32 v16, 16, v10 :: v_dual_ashrrev_i32 v11, 31, v10
	v_ashrrev_i32_e32 v3, 31, v2
	v_cmp_gt_i32_e32 vcc_lo, s14, v2
	v_cmp_gt_i32_e64 s1, s14, v20
	v_ashrrev_i32_e32 v17, 31, v16
	v_cmp_le_i32_e64 s3, v16, v20
	v_lshlrev_b64_e32 v[2:3], 4, v[2:3]
	v_add_nc_u32_e32 v9, 0x1000, v9
	s_or_b32 s38, s33, s38
	s_cmp_gt_i32 s15, 0
	s_cselect_b32 s39, -1, 0
	v_lshl_add_u64 v[4:5], v[18:19], 4, v[4:5]
	s_xor_b32 s33, s2, -1
	v_cmp_le_i32_e64 s2, v10, v20
	v_lshl_add_u64 v[2:3], v[22:23], 4, v[2:3]
	s_or_b32 s26, s26, s33
	v_add_nc_u64_e32 v[4:5], s[22:23], v[4:5]
	s_and_b32 s36, s1, s3
	s_and_b32 s33, s1, s2
	v_cmp_gt_i32_e64 s1, s14, v24
	v_cmp_le_i32_e64 s2, v10, v24
	v_cmp_le_i32_e64 s3, v16, v24
	v_add_nc_u64_e32 v[18:19], s[18:19], v[2:3]
	v_add_nc_u64_e32 v[20:21], 8, v[4:5]
	s_lshl_b64 s[18:19], s[34:35], 7
	s_and_b32 s14, s1, s2
	s_and_b32 s1, s1, s3
	s_lshl_b64 s[2:3], s[20:21], 4
	s_and_b32 s34, s38, s39
	s_lshl_b64 s[12:13], s[12:13], 4
	s_lshl_b64 s[20:21], s[30:31], 7
	s_xor_b32 s30, vcc_lo, -1
	s_branch .LBB110_7
.LBB110_6:                              ;   in Loop: Header=BB110_7 Depth=1
	s_wait_xcnt 0x0
	s_or_b32 exec_lo, exec_lo, s22
	s_add_co_i32 s16, s16, 0x10000
	s_delay_alu instid0(SALU_CYCLE_1)
	s_cmp_lt_u32 s16, s27
	s_cbranch_scc0 .LBB110_37
.LBB110_7:                              ; =>This Loop Header: Depth=1
                                        ;     Child Loop BB110_10 Depth 2
	v_mov_b64_e32 v[38:39], 0
	v_mov_b64_e32 v[40:41], 0
	;; [unrolled: 1-line block ×8, first 2 shown]
	s_and_not1_b32 vcc_lo, exec_lo, s34
	s_cbranch_vccnz .LBB110_16
; %bb.8:                                ;   in Loop: Header=BB110_7 Depth=1
	v_mad_nc_u64_u32 v[26:27], s2, s16, v[18:19]
	v_mad_nc_u64_u32 v[28:29], s12, s16, v[20:21]
	v_mov_b64_e32 v[22:23], 0
	v_mov_b64_e32 v[24:25], 0
	;; [unrolled: 1-line block ×8, first 2 shown]
	s_mov_b32 s22, 0
	v_mad_u32 v27, s3, s16, v27
	v_mad_u32 v29, s13, s16, v29
	s_branch .LBB110_10
.LBB110_9:                              ;   in Loop: Header=BB110_10 Depth=2
	s_wait_xcnt 0x0
	s_or_b32 exec_lo, exec_lo, s23
	ds_store_b128 v9, v[2:5]
	s_wait_dscnt 0x0
	s_barrier_signal -1
	s_barrier_wait -1
	ds_load_b128 v[2:5], v43
	ds_load_b128 v[44:47], v42
	ds_load_b128 v[48:51], v42 offset:256
	ds_load_b128 v[52:55], v43 offset:2048
	;; [unrolled: 1-line block ×10, first 2 shown]
	v_add_nc_u64_e32 v[26:27], s[18:19], v[26:27]
	v_add_nc_u64_e32 v[28:29], s[20:21], v[28:29]
	s_add_co_i32 s22, s22, 8
	s_delay_alu instid0(SALU_CYCLE_1)
	s_cmp_lt_i32 s22, s15
	s_wait_dscnt 0xa
	v_mul_f64_e32 v[88:89], v[4:5], v[46:47]
	v_mul_f64_e32 v[90:91], v[2:3], v[46:47]
	s_wait_dscnt 0x9
	v_mul_f64_e32 v[92:93], v[4:5], v[50:51]
	v_mul_f64_e32 v[94:95], v[2:3], v[50:51]
	s_wait_dscnt 0x8
	v_mul_f64_e32 v[96:97], v[54:55], v[46:47]
	v_mul_f64_e32 v[98:99], v[52:53], v[46:47]
	v_mul_f64_e32 v[46:47], v[54:55], v[50:51]
	v_mul_f64_e32 v[100:101], v[52:53], v[50:51]
	s_wait_dscnt 0x6
	v_mul_f64_e32 v[102:103], v[58:59], v[62:63]
	v_mul_f64_e32 v[104:105], v[56:57], v[62:63]
	s_wait_dscnt 0x5
	v_mul_f64_e32 v[106:107], v[58:59], v[66:67]
	v_mul_f64_e32 v[108:109], v[56:57], v[66:67]
	s_wait_dscnt 0x4
	v_mul_f64_e32 v[110:111], v[70:71], v[62:63]
	v_mul_f64_e32 v[62:63], v[68:69], v[62:63]
	v_mul_f64_e32 v[112:113], v[70:71], v[66:67]
	v_mul_f64_e32 v[66:67], v[68:69], v[66:67]
	;; [unrolled: 11-line block ×3, first 2 shown]
	v_fma_f64 v[88:89], v[2:3], v[44:45], -v[88:89]
	v_fmac_f64_e32 v[90:91], v[4:5], v[44:45]
	v_fma_f64 v[92:93], v[2:3], v[48:49], -v[92:93]
	v_fmac_f64_e32 v[94:95], v[4:5], v[48:49]
	;; [unrolled: 2-line block ×8, first 2 shown]
	ds_load_b128 v[2:5], v43 offset:48
	ds_load_b128 v[44:47], v43 offset:2096
	ds_load_b128 v[48:51], v42 offset:1536
	ds_load_b128 v[52:55], v42 offset:1792
	v_fma_f64 v[116:117], v[72:73], v[76:77], -v[116:117]
	v_fmac_f64_e32 v[118:119], v[74:75], v[76:77]
	v_fma_f64 v[72:73], v[72:73], v[80:81], -v[120:121]
	v_fmac_f64_e32 v[122:123], v[74:75], v[80:81]
	v_fma_f64 v[74:75], v[84:85], v[76:77], -v[124:125]
	v_fmac_f64_e32 v[78:79], v[86:87], v[76:77]
	v_fma_f64 v[76:77], v[84:85], v[80:81], -v[126:127]
	v_fmac_f64_e32 v[82:83], v[86:87], v[80:81]
	v_add_f64_e32 v[64:65], v[38:39], v[88:89]
	v_add_f64_e32 v[68:69], v[90:91], v[40:41]
	;; [unrolled: 1-line block ×8, first 2 shown]
	s_wait_dscnt 0x1
	v_mul_f64_e32 v[98:99], v[4:5], v[50:51]
	v_mul_f64_e32 v[100:101], v[2:3], v[50:51]
	s_wait_dscnt 0x0
	v_mul_f64_e32 v[106:107], v[4:5], v[54:55]
	v_mul_f64_e32 v[110:111], v[2:3], v[54:55]
	;; [unrolled: 1-line block ×6, first 2 shown]
	ds_load_b128 v[22:25], v43 offset:64
	ds_load_b128 v[30:33], v42 offset:2048
	ds_load_b128 v[34:37], v42 offset:2304
	ds_load_b128 v[38:41], v43 offset:2112
	v_add_f64_e32 v[80:81], v[64:65], v[102:103]
	v_add_f64_e32 v[84:85], v[104:105], v[68:69]
	;; [unrolled: 1-line block ×8, first 2 shown]
	s_wait_dscnt 0x2
	v_mul_f64_e32 v[96:97], v[24:25], v[32:33]
	v_mul_f64_e32 v[102:103], v[22:23], v[32:33]
	s_wait_dscnt 0x1
	v_mul_f64_e32 v[104:105], v[24:25], v[36:37]
	v_mul_f64_e32 v[108:109], v[22:23], v[36:37]
	;; [unrolled: 3-line block ×3, first 2 shown]
	v_mul_f64_e32 v[32:33], v[40:41], v[36:37]
	v_mul_f64_e32 v[126:127], v[38:39], v[36:37]
	v_fma_f64 v[36:37], v[2:3], v[48:49], -v[98:99]
	v_fmac_f64_e32 v[100:101], v[4:5], v[48:49]
	v_fma_f64 v[98:99], v[2:3], v[52:53], -v[106:107]
	v_fmac_f64_e32 v[110:111], v[4:5], v[52:53]
	;; [unrolled: 2-line block ×4, first 2 shown]
	ds_load_b128 v[54:57], v43 offset:80
	ds_load_b128 v[58:61], v43 offset:2128
	;; [unrolled: 1-line block ×4, first 2 shown]
	v_add_f64_e32 v[52:53], v[80:81], v[116:117]
	v_add_f64_e32 v[80:81], v[118:119], v[84:85]
	;; [unrolled: 1-line block ×8, first 2 shown]
	v_fma_f64 v[96:97], v[22:23], v[30:31], -v[96:97]
	v_fmac_f64_e32 v[102:103], v[24:25], v[30:31]
	v_fma_f64 v[104:105], v[22:23], v[34:35], -v[104:105]
	s_wait_dscnt 0x1
	v_mul_f64_e32 v[88:89], v[56:57], v[64:65]
	v_mul_f64_e32 v[90:91], v[54:55], v[64:65]
	s_wait_dscnt 0x0
	v_mul_f64_e32 v[92:93], v[56:57], v[68:69]
	v_mul_f64_e32 v[94:95], v[54:55], v[68:69]
	;; [unrolled: 1-line block ×6, first 2 shown]
	v_fmac_f64_e32 v[108:109], v[24:25], v[34:35]
	v_fma_f64 v[120:121], v[38:39], v[30:31], -v[120:121]
	v_fmac_f64_e32 v[124:125], v[40:41], v[30:31]
	v_fma_f64 v[122:123], v[38:39], v[34:35], -v[32:33]
	v_fmac_f64_e32 v[126:127], v[40:41], v[34:35]
	ds_load_b128 v[2:5], v43 offset:96
	ds_load_b128 v[44:47], v42 offset:3072
	ds_load_b128 v[48:51], v42 offset:3328
	ds_load_b128 v[70:73], v43 offset:2144
	v_add_f64_e32 v[52:53], v[52:53], v[36:37]
	v_add_f64_e32 v[80:81], v[100:101], v[80:81]
	;; [unrolled: 1-line block ×8, first 2 shown]
	ds_load_b128 v[22:25], v43 offset:112
	ds_load_b128 v[30:33], v43 offset:2160
	;; [unrolled: 1-line block ×4, first 2 shown]
	s_wait_dscnt 0x0
	v_mul_f64_e32 v[98:99], v[4:5], v[46:47]
	v_mul_f64_e32 v[100:101], v[2:3], v[46:47]
	;; [unrolled: 1-line block ×8, first 2 shown]
	v_fma_f64 v[88:89], v[54:55], v[62:63], -v[88:89]
	v_fmac_f64_e32 v[90:91], v[56:57], v[62:63]
	v_fma_f64 v[54:55], v[54:55], v[66:67], -v[92:93]
	v_fmac_f64_e32 v[94:95], v[56:57], v[66:67]
	;; [unrolled: 2-line block ×4, first 2 shown]
	s_barrier_signal -1
	s_barrier_wait -1
	v_mul_f64_e32 v[92:93], v[22:23], v[40:41]
	v_add_f64_e32 v[52:53], v[52:53], v[96:97]
	v_add_f64_e32 v[60:61], v[102:103], v[80:81]
	;; [unrolled: 1-line block ×8, first 2 shown]
	v_mul_f64_e32 v[82:83], v[24:25], v[36:37]
	v_mul_f64_e32 v[84:85], v[22:23], v[36:37]
	;; [unrolled: 1-line block ×7, first 2 shown]
	v_fma_f64 v[40:41], v[2:3], v[44:45], -v[98:99]
	v_fmac_f64_e32 v[100:101], v[4:5], v[44:45]
	v_fma_f64 v[2:3], v[2:3], v[48:49], -v[106:107]
	v_fmac_f64_e32 v[110:111], v[4:5], v[48:49]
	;; [unrolled: 2-line block ×4, first 2 shown]
	v_fmac_f64_e32 v[92:93], v[24:25], v[38:39]
	v_add_f64_e32 v[48:49], v[52:53], v[88:89]
	v_add_f64_e32 v[52:53], v[90:91], v[60:61]
	;; [unrolled: 1-line block ×8, first 2 shown]
	v_fma_f64 v[66:67], v[22:23], v[34:35], -v[82:83]
	v_fmac_f64_e32 v[84:85], v[24:25], v[34:35]
	v_fma_f64 v[22:23], v[22:23], v[38:39], -v[86:87]
	v_fma_f64 v[24:25], v[30:31], v[34:35], -v[96:97]
	v_fmac_f64_e32 v[102:103], v[32:33], v[34:35]
	v_fma_f64 v[68:69], v[30:31], v[38:39], -v[36:37]
	v_fmac_f64_e32 v[104:105], v[32:33], v[38:39]
	v_add_f64_e32 v[30:31], v[48:49], v[40:41]
	v_add_f64_e32 v[32:33], v[100:101], v[52:53]
	;; [unrolled: 1-line block ×16, first 2 shown]
	s_cbranch_scc0 .LBB110_16
.LBB110_10:                             ;   Parent Loop BB110_7 Depth=1
                                        ; =>  This Inner Loop Header: Depth=2
	v_add_nc_u32_e32 v1, s22, v8
	s_delay_alu instid0(VALU_DEP_1) | instskip(SKIP_1) | instid1(SALU_CYCLE_1)
	v_cmp_le_i32_e32 vcc_lo, s15, v1
	s_or_b32 s23, s30, vcc_lo
	s_and_saveexec_b32 s31, s23
	s_delay_alu instid0(SALU_CYCLE_1)
	s_xor_b32 s23, exec_lo, s31
; %bb.11:                               ;   in Loop: Header=BB110_10 Depth=2
	v_dual_mov_b32 v1, v0 :: v_dual_mov_b32 v2, v0
	v_mov_b32_e32 v3, v0
	ds_store_b128 v7, v[0:3]
; %bb.12:                               ;   in Loop: Header=BB110_10 Depth=2
	s_and_not1_saveexec_b32 s23, s23
	s_cbranch_execz .LBB110_14
; %bb.13:                               ;   in Loop: Header=BB110_10 Depth=2
	global_load_b128 v[2:5], v[26:27], off
	s_wait_loadcnt 0x0
	ds_store_2addr_b64 v7, v[2:3], v[4:5] offset1:1
.LBB110_14:                             ;   in Loop: Header=BB110_10 Depth=2
	s_wait_xcnt 0x0
	s_or_b32 exec_lo, exec_lo, s23
	v_add_nc_u32_e32 v1, s22, v6
	v_mov_b64_e32 v[2:3], 0
	v_mov_b64_e32 v[4:5], 0
	s_delay_alu instid0(VALU_DEP_3) | instskip(SKIP_1) | instid1(SALU_CYCLE_1)
	v_cmp_gt_i32_e32 vcc_lo, s15, v1
	s_and_b32 s31, vcc_lo, s0
	s_and_saveexec_b32 s23, s31
	s_cbranch_execz .LBB110_9
; %bb.15:                               ;   in Loop: Header=BB110_10 Depth=2
	global_load_b128 v[2:5], v[28:29], off offset:-8
	s_wait_loadcnt 0x0
	v_xor_b32_e32 v5, 0x80000000, v5
	s_branch .LBB110_9
.LBB110_16:                             ;   in Loop: Header=BB110_7 Depth=1
	s_mul_u64 s[22:23], s[28:29], s[16:17]
	s_delay_alu instid0(SALU_CYCLE_1) | instskip(NEXT) | instid1(SALU_CYCLE_1)
	s_lshl_b64 s[22:23], s[22:23], 4
	s_add_nc_u64 s[22:23], s[24:25], s[22:23]
	s_delay_alu instid0(SALU_CYCLE_1)
	v_lshl_add_u64 v[26:27], v[12:13], 4, s[22:23]
	s_and_saveexec_b32 s31, s33
	s_cbranch_execz .LBB110_21
; %bb.17:                               ;   in Loop: Header=BB110_7 Depth=1
	v_mul_f64_e32 v[2:3], s[10:11], v[40:41]
	v_mul_f64_e32 v[4:5], s[8:9], v[40:41]
	v_lshl_add_u64 v[28:29], v[10:11], 4, v[26:27]
	s_and_b32 vcc_lo, exec_lo, s26
	s_mov_b32 s35, -1
	s_delay_alu instid0(VALU_DEP_3) | instskip(NEXT) | instid1(VALU_DEP_3)
	v_fma_f64 v[2:3], s[8:9], v[38:39], -v[2:3]
	v_fmac_f64_e32 v[4:5], s[10:11], v[38:39]
	s_cbranch_vccz .LBB110_19
; %bb.18:                               ;   in Loop: Header=BB110_7 Depth=1
	global_load_b128 v[38:41], v[28:29], off
	s_mov_b32 s35, 0
	s_wait_loadcnt 0x0
	v_mul_f64_e32 v[44:45], s[6:7], v[40:41]
	v_mul_f64_e32 v[40:41], s[4:5], v[40:41]
	s_delay_alu instid0(VALU_DEP_2) | instskip(NEXT) | instid1(VALU_DEP_2)
	v_fma_f64 v[44:45], s[4:5], v[38:39], -v[44:45]
	v_fmac_f64_e32 v[40:41], s[6:7], v[38:39]
	s_delay_alu instid0(VALU_DEP_2) | instskip(NEXT) | instid1(VALU_DEP_2)
	v_add_f64_e32 v[38:39], v[2:3], v[44:45]
	v_add_f64_e32 v[40:41], v[4:5], v[40:41]
	global_store_b128 v[28:29], v[38:41], off
.LBB110_19:                             ;   in Loop: Header=BB110_7 Depth=1
	s_and_not1_b32 vcc_lo, exec_lo, s35
	s_cbranch_vccnz .LBB110_21
; %bb.20:                               ;   in Loop: Header=BB110_7 Depth=1
	global_store_b128 v[28:29], v[2:5], off
.LBB110_21:                             ;   in Loop: Header=BB110_7 Depth=1
	s_wait_xcnt 0x0
	s_or_b32 exec_lo, exec_lo, s31
	s_and_saveexec_b32 s31, s36
	s_cbranch_execz .LBB110_26
; %bb.22:                               ;   in Loop: Header=BB110_7 Depth=1
	v_mul_f64_e32 v[2:3], s[10:11], v[36:37]
	v_mul_f64_e32 v[4:5], s[8:9], v[36:37]
	v_lshl_add_u64 v[26:27], v[16:17], 4, v[26:27]
	s_and_not1_b32 vcc_lo, exec_lo, s26
	s_mov_b32 s35, -1
	s_delay_alu instid0(VALU_DEP_3) | instskip(NEXT) | instid1(VALU_DEP_3)
	v_fma_f64 v[2:3], s[8:9], v[34:35], -v[2:3]
	v_fmac_f64_e32 v[4:5], s[10:11], v[34:35]
	s_cbranch_vccnz .LBB110_24
; %bb.23:                               ;   in Loop: Header=BB110_7 Depth=1
	global_load_b128 v[34:37], v[26:27], off
	s_mov_b32 s35, 0
	s_wait_loadcnt 0x0
	v_mul_f64_e32 v[28:29], s[6:7], v[36:37]
	v_mul_f64_e32 v[36:37], s[4:5], v[36:37]
	s_delay_alu instid0(VALU_DEP_2) | instskip(NEXT) | instid1(VALU_DEP_2)
	v_fma_f64 v[28:29], s[4:5], v[34:35], -v[28:29]
	v_fmac_f64_e32 v[36:37], s[6:7], v[34:35]
	s_delay_alu instid0(VALU_DEP_2) | instskip(NEXT) | instid1(VALU_DEP_2)
	v_add_f64_e32 v[34:35], v[2:3], v[28:29]
	v_add_f64_e32 v[36:37], v[4:5], v[36:37]
	global_store_b128 v[26:27], v[34:37], off
.LBB110_24:                             ;   in Loop: Header=BB110_7 Depth=1
	s_and_not1_b32 vcc_lo, exec_lo, s35
	s_cbranch_vccnz .LBB110_26
; %bb.25:                               ;   in Loop: Header=BB110_7 Depth=1
	global_store_b128 v[26:27], v[2:5], off
.LBB110_26:                             ;   in Loop: Header=BB110_7 Depth=1
	s_wait_xcnt 0x0
	s_or_b32 exec_lo, exec_lo, s31
	v_lshl_add_u64 v[26:27], v[14:15], 4, s[22:23]
	s_and_saveexec_b32 s22, s14
	s_cbranch_execz .LBB110_31
; %bb.27:                               ;   in Loop: Header=BB110_7 Depth=1
	v_mul_f64_e32 v[2:3], s[10:11], v[32:33]
	v_mul_f64_e32 v[4:5], s[8:9], v[32:33]
	v_lshl_add_u64 v[28:29], v[10:11], 4, v[26:27]
	s_and_not1_b32 vcc_lo, exec_lo, s26
	s_mov_b32 s23, -1
	s_delay_alu instid0(VALU_DEP_3) | instskip(NEXT) | instid1(VALU_DEP_3)
	v_fma_f64 v[2:3], s[8:9], v[30:31], -v[2:3]
	v_fmac_f64_e32 v[4:5], s[10:11], v[30:31]
	s_cbranch_vccnz .LBB110_29
; %bb.28:                               ;   in Loop: Header=BB110_7 Depth=1
	global_load_b128 v[30:33], v[28:29], off
	s_mov_b32 s23, 0
	s_wait_loadcnt 0x0
	v_mul_f64_e32 v[34:35], s[6:7], v[32:33]
	v_mul_f64_e32 v[32:33], s[4:5], v[32:33]
	s_delay_alu instid0(VALU_DEP_2) | instskip(NEXT) | instid1(VALU_DEP_2)
	v_fma_f64 v[34:35], s[4:5], v[30:31], -v[34:35]
	v_fmac_f64_e32 v[32:33], s[6:7], v[30:31]
	s_delay_alu instid0(VALU_DEP_2) | instskip(NEXT) | instid1(VALU_DEP_2)
	v_add_f64_e32 v[30:31], v[2:3], v[34:35]
	v_add_f64_e32 v[32:33], v[4:5], v[32:33]
	global_store_b128 v[28:29], v[30:33], off
.LBB110_29:                             ;   in Loop: Header=BB110_7 Depth=1
	s_and_not1_b32 vcc_lo, exec_lo, s23
	s_cbranch_vccnz .LBB110_31
; %bb.30:                               ;   in Loop: Header=BB110_7 Depth=1
	global_store_b128 v[28:29], v[2:5], off
.LBB110_31:                             ;   in Loop: Header=BB110_7 Depth=1
	s_wait_xcnt 0x0
	s_or_b32 exec_lo, exec_lo, s22
	s_and_saveexec_b32 s22, s1
	s_cbranch_execz .LBB110_6
; %bb.32:                               ;   in Loop: Header=BB110_7 Depth=1
	s_delay_alu instid0(VALU_DEP_3) | instskip(SKIP_4) | instid1(VALU_DEP_3)
	v_mul_f64_e32 v[2:3], s[10:11], v[22:23]
	v_mul_f64_e32 v[4:5], s[8:9], v[22:23]
	v_lshl_add_u64 v[22:23], v[16:17], 4, v[26:27]
	s_and_not1_b32 vcc_lo, exec_lo, s26
	s_mov_b32 s23, -1
	v_fma_f64 v[2:3], s[8:9], v[24:25], -v[2:3]
	s_delay_alu instid0(VALU_DEP_3)
	v_fmac_f64_e32 v[4:5], s[10:11], v[24:25]
	s_cbranch_vccnz .LBB110_34
; %bb.33:                               ;   in Loop: Header=BB110_7 Depth=1
	global_load_b128 v[24:27], v[22:23], off
	s_mov_b32 s23, 0
	s_wait_loadcnt 0x0
	v_mul_f64_e32 v[28:29], s[6:7], v[26:27]
	v_mul_f64_e32 v[26:27], s[4:5], v[26:27]
	s_delay_alu instid0(VALU_DEP_2) | instskip(NEXT) | instid1(VALU_DEP_2)
	v_fma_f64 v[28:29], s[4:5], v[24:25], -v[28:29]
	v_fmac_f64_e32 v[26:27], s[6:7], v[24:25]
	s_delay_alu instid0(VALU_DEP_2) | instskip(NEXT) | instid1(VALU_DEP_2)
	v_add_f64_e32 v[24:25], v[2:3], v[28:29]
	v_add_f64_e32 v[26:27], v[4:5], v[26:27]
	global_store_b128 v[22:23], v[24:27], off
.LBB110_34:                             ;   in Loop: Header=BB110_7 Depth=1
	s_and_not1_b32 vcc_lo, exec_lo, s23
	s_cbranch_vccnz .LBB110_6
; %bb.35:                               ;   in Loop: Header=BB110_7 Depth=1
	global_store_b128 v[22:23], v[2:5], off
	s_branch .LBB110_6
.LBB110_36:
.LBB110_37:
	s_sendmsg sendmsg(MSG_DEALLOC_VGPRS)
	s_endpgm
	.section	.rodata,"a",@progbits
	.p2align	6, 0x0
	.amdhsa_kernel _ZL29rocblas_internal_gemmt_kernelIiLi16ELi32ELi8ELc78ELc67ELc85ELb0ELb1E19rocblas_complex_numIdEPKS1_S3_PS1_EviT_T9_T10_S5_lS7_S5_lS6_T11_S5_li
		.amdhsa_group_segment_fixed_size 8192
		.amdhsa_private_segment_fixed_size 0
		.amdhsa_kernarg_size 100
		.amdhsa_user_sgpr_count 2
		.amdhsa_user_sgpr_dispatch_ptr 0
		.amdhsa_user_sgpr_queue_ptr 0
		.amdhsa_user_sgpr_kernarg_segment_ptr 1
		.amdhsa_user_sgpr_dispatch_id 0
		.amdhsa_user_sgpr_kernarg_preload_length 0
		.amdhsa_user_sgpr_kernarg_preload_offset 0
		.amdhsa_user_sgpr_private_segment_size 0
		.amdhsa_wavefront_size32 1
		.amdhsa_uses_dynamic_stack 0
		.amdhsa_enable_private_segment 0
		.amdhsa_system_sgpr_workgroup_id_x 1
		.amdhsa_system_sgpr_workgroup_id_y 1
		.amdhsa_system_sgpr_workgroup_id_z 1
		.amdhsa_system_sgpr_workgroup_info 0
		.amdhsa_system_vgpr_workitem_id 1
		.amdhsa_next_free_vgpr 130
		.amdhsa_next_free_sgpr 41
		.amdhsa_named_barrier_count 0
		.amdhsa_reserve_vcc 1
		.amdhsa_float_round_mode_32 0
		.amdhsa_float_round_mode_16_64 0
		.amdhsa_float_denorm_mode_32 3
		.amdhsa_float_denorm_mode_16_64 3
		.amdhsa_fp16_overflow 0
		.amdhsa_memory_ordered 1
		.amdhsa_forward_progress 1
		.amdhsa_inst_pref_size 23
		.amdhsa_round_robin_scheduling 0
		.amdhsa_exception_fp_ieee_invalid_op 0
		.amdhsa_exception_fp_denorm_src 0
		.amdhsa_exception_fp_ieee_div_zero 0
		.amdhsa_exception_fp_ieee_overflow 0
		.amdhsa_exception_fp_ieee_underflow 0
		.amdhsa_exception_fp_ieee_inexact 0
		.amdhsa_exception_int_div_zero 0
	.end_amdhsa_kernel
	.section	.text._ZL29rocblas_internal_gemmt_kernelIiLi16ELi32ELi8ELc78ELc67ELc85ELb0ELb1E19rocblas_complex_numIdEPKS1_S3_PS1_EviT_T9_T10_S5_lS7_S5_lS6_T11_S5_li,"axG",@progbits,_ZL29rocblas_internal_gemmt_kernelIiLi16ELi32ELi8ELc78ELc67ELc85ELb0ELb1E19rocblas_complex_numIdEPKS1_S3_PS1_EviT_T9_T10_S5_lS7_S5_lS6_T11_S5_li,comdat
.Lfunc_end110:
	.size	_ZL29rocblas_internal_gemmt_kernelIiLi16ELi32ELi8ELc78ELc67ELc85ELb0ELb1E19rocblas_complex_numIdEPKS1_S3_PS1_EviT_T9_T10_S5_lS7_S5_lS6_T11_S5_li, .Lfunc_end110-_ZL29rocblas_internal_gemmt_kernelIiLi16ELi32ELi8ELc78ELc67ELc85ELb0ELb1E19rocblas_complex_numIdEPKS1_S3_PS1_EviT_T9_T10_S5_lS7_S5_lS6_T11_S5_li
                                        ; -- End function
	.set _ZL29rocblas_internal_gemmt_kernelIiLi16ELi32ELi8ELc78ELc67ELc85ELb0ELb1E19rocblas_complex_numIdEPKS1_S3_PS1_EviT_T9_T10_S5_lS7_S5_lS6_T11_S5_li.num_vgpr, 130
	.set _ZL29rocblas_internal_gemmt_kernelIiLi16ELi32ELi8ELc78ELc67ELc85ELb0ELb1E19rocblas_complex_numIdEPKS1_S3_PS1_EviT_T9_T10_S5_lS7_S5_lS6_T11_S5_li.num_agpr, 0
	.set _ZL29rocblas_internal_gemmt_kernelIiLi16ELi32ELi8ELc78ELc67ELc85ELb0ELb1E19rocblas_complex_numIdEPKS1_S3_PS1_EviT_T9_T10_S5_lS7_S5_lS6_T11_S5_li.numbered_sgpr, 41
	.set _ZL29rocblas_internal_gemmt_kernelIiLi16ELi32ELi8ELc78ELc67ELc85ELb0ELb1E19rocblas_complex_numIdEPKS1_S3_PS1_EviT_T9_T10_S5_lS7_S5_lS6_T11_S5_li.num_named_barrier, 0
	.set _ZL29rocblas_internal_gemmt_kernelIiLi16ELi32ELi8ELc78ELc67ELc85ELb0ELb1E19rocblas_complex_numIdEPKS1_S3_PS1_EviT_T9_T10_S5_lS7_S5_lS6_T11_S5_li.private_seg_size, 0
	.set _ZL29rocblas_internal_gemmt_kernelIiLi16ELi32ELi8ELc78ELc67ELc85ELb0ELb1E19rocblas_complex_numIdEPKS1_S3_PS1_EviT_T9_T10_S5_lS7_S5_lS6_T11_S5_li.uses_vcc, 1
	.set _ZL29rocblas_internal_gemmt_kernelIiLi16ELi32ELi8ELc78ELc67ELc85ELb0ELb1E19rocblas_complex_numIdEPKS1_S3_PS1_EviT_T9_T10_S5_lS7_S5_lS6_T11_S5_li.uses_flat_scratch, 0
	.set _ZL29rocblas_internal_gemmt_kernelIiLi16ELi32ELi8ELc78ELc67ELc85ELb0ELb1E19rocblas_complex_numIdEPKS1_S3_PS1_EviT_T9_T10_S5_lS7_S5_lS6_T11_S5_li.has_dyn_sized_stack, 0
	.set _ZL29rocblas_internal_gemmt_kernelIiLi16ELi32ELi8ELc78ELc67ELc85ELb0ELb1E19rocblas_complex_numIdEPKS1_S3_PS1_EviT_T9_T10_S5_lS7_S5_lS6_T11_S5_li.has_recursion, 0
	.set _ZL29rocblas_internal_gemmt_kernelIiLi16ELi32ELi8ELc78ELc67ELc85ELb0ELb1E19rocblas_complex_numIdEPKS1_S3_PS1_EviT_T9_T10_S5_lS7_S5_lS6_T11_S5_li.has_indirect_call, 0
	.section	.AMDGPU.csdata,"",@progbits
; Kernel info:
; codeLenInByte = 2944
; TotalNumSgprs: 43
; NumVgprs: 130
; ScratchSize: 0
; MemoryBound: 1
; FloatMode: 240
; IeeeMode: 1
; LDSByteSize: 8192 bytes/workgroup (compile time only)
; SGPRBlocks: 0
; VGPRBlocks: 8
; NumSGPRsForWavesPerEU: 43
; NumVGPRsForWavesPerEU: 130
; NamedBarCnt: 0
; Occupancy: 7
; WaveLimiterHint : 0
; COMPUTE_PGM_RSRC2:SCRATCH_EN: 0
; COMPUTE_PGM_RSRC2:USER_SGPR: 2
; COMPUTE_PGM_RSRC2:TRAP_HANDLER: 0
; COMPUTE_PGM_RSRC2:TGID_X_EN: 1
; COMPUTE_PGM_RSRC2:TGID_Y_EN: 1
; COMPUTE_PGM_RSRC2:TGID_Z_EN: 1
; COMPUTE_PGM_RSRC2:TIDIG_COMP_CNT: 1
	.section	.text._ZL29rocblas_internal_gemmt_kernelIiLi16ELi32ELi8ELc84ELc78ELc85ELb0ELb0E19rocblas_complex_numIdEPKS1_S3_PS1_EviT_T9_T10_S5_lS7_S5_lS6_T11_S5_li,"axG",@progbits,_ZL29rocblas_internal_gemmt_kernelIiLi16ELi32ELi8ELc84ELc78ELc85ELb0ELb0E19rocblas_complex_numIdEPKS1_S3_PS1_EviT_T9_T10_S5_lS7_S5_lS6_T11_S5_li,comdat
	.globl	_ZL29rocblas_internal_gemmt_kernelIiLi16ELi32ELi8ELc84ELc78ELc85ELb0ELb0E19rocblas_complex_numIdEPKS1_S3_PS1_EviT_T9_T10_S5_lS7_S5_lS6_T11_S5_li ; -- Begin function _ZL29rocblas_internal_gemmt_kernelIiLi16ELi32ELi8ELc84ELc78ELc85ELb0ELb0E19rocblas_complex_numIdEPKS1_S3_PS1_EviT_T9_T10_S5_lS7_S5_lS6_T11_S5_li
	.p2align	8
	.type	_ZL29rocblas_internal_gemmt_kernelIiLi16ELi32ELi8ELc84ELc78ELc85ELb0ELb0E19rocblas_complex_numIdEPKS1_S3_PS1_EviT_T9_T10_S5_lS7_S5_lS6_T11_S5_li,@function
_ZL29rocblas_internal_gemmt_kernelIiLi16ELi32ELi8ELc84ELc78ELc85ELb0ELb0E19rocblas_complex_numIdEPKS1_S3_PS1_EviT_T9_T10_S5_lS7_S5_lS6_T11_S5_li: ; @_ZL29rocblas_internal_gemmt_kernelIiLi16ELi32ELi8ELc84ELc78ELc85ELb0ELb0E19rocblas_complex_numIdEPKS1_S3_PS1_EviT_T9_T10_S5_lS7_S5_lS6_T11_S5_li
; %bb.0:
	s_load_b128 s[12:15], s[0:1], 0x38
	s_wait_kmcnt 0x0
	s_load_b128 s[4:7], s[14:15], 0x0
	s_load_b128 s[16:19], s[0:1], 0x8
	s_wait_xcnt 0x0
	s_load_b64 s[14:15], s[0:1], 0x0
	s_wait_kmcnt 0x0
	v_cmp_eq_f64_e64 s2, s[4:5], 1.0
	v_cmp_eq_f64_e64 s33, s[6:7], 0
	s_load_b128 s[8:11], s[16:17], 0x0
	s_and_b32 s2, s2, s33
	s_delay_alu instid0(SALU_CYCLE_1)
	s_and_not1_b32 vcc_lo, exec_lo, s2
	s_mov_b32 s2, -1
	s_cbranch_vccnz .LBB111_3
; %bb.1:
	s_cmp_lg_u32 s15, 0
	s_cbranch_scc0 .LBB111_38
; %bb.2:
	s_wait_kmcnt 0x0
	v_cmp_neq_f64_e64 s2, s[8:9], 0
	v_cmp_neq_f64_e64 s3, s[10:11], 0
	s_or_b32 s2, s2, s3
.LBB111_3:
	s_delay_alu instid0(SALU_CYCLE_1)
	s_and_b32 vcc_lo, exec_lo, s2
	s_cbranch_vccz .LBB111_39
; %bb.4:
	s_load_b32 s27, s[0:1], 0x60
	s_bfe_u32 s2, ttmp6, 0x40014
	s_lshr_b32 s3, ttmp7, 16
	s_add_co_i32 s2, s2, 1
	s_wait_xcnt 0x0
	s_bfe_u32 s16, ttmp6, 0x40008
	s_mul_i32 s2, s3, s2
	s_getreg_b32 s34, hwreg(HW_REG_IB_STS2, 6, 4)
	s_add_co_i32 s16, s16, s2
	s_cmp_eq_u32 s34, 0
	s_mov_b32 s17, 0
	s_cselect_b32 s16, s3, s16
	s_wait_kmcnt 0x0
	s_cmp_ge_u32 s16, s27
	s_cbranch_scc1 .LBB111_39
; %bb.5:
	s_clause 0x3
	s_load_b32 s30, s[0:1], 0x18
	s_load_b32 s2, s[0:1], 0x30
	s_load_b96 s[24:26], s[0:1], 0x48
	s_load_b128 s[20:23], s[0:1], 0x20
	v_and_b32_e32 v7, 0x3ff, v0
	v_bfe_u32 v13, v0, 10, 10
	s_load_b64 s[28:29], s[0:1], 0x58
	s_wait_xcnt 0x0
	s_bfe_u32 s1, ttmp6, 0x4000c
	s_bfe_u32 s3, ttmp6, 0x40010
	s_and_b32 s38, ttmp7, 0xffff
	s_add_co_i32 s1, s1, 1
	s_add_co_i32 s39, s3, 1
	v_and_b32_e32 v36, 7, v0
	v_lshl_add_u32 v0, v13, 4, v7
	s_and_b32 s0, ttmp6, 15
	s_mul_i32 s1, ttmp9, s1
	s_mul_i32 s39, s38, s39
	s_bfe_u32 s40, ttmp6, 0x40004
	s_add_co_i32 s0, s0, s1
	s_add_co_i32 s40, s40, s39
	s_wait_kmcnt 0x0
	s_ashr_i32 s31, s30, 31
	s_ashr_i32 s3, s2, 31
	;; [unrolled: 1-line block ×3, first 2 shown]
	s_cmp_eq_u32 s34, 0
	v_dual_lshrrev_b32 v5, 3, v0 :: v_dual_bitop2_b32 v4, 31, v0 bitop3:0x40
	s_cselect_b32 s0, ttmp9, s0
	s_cselect_b32 s1, s38, s40
	s_lshl_b32 s38, s0, 5
	s_lshl_b32 s0, s1, 5
	v_lshrrev_b32_e32 v37, 5, v0
	v_dual_add_nc_u32 v2, s0, v5 :: v_dual_bitop2_b32 v0, s38, v4 bitop3:0x54
	v_dual_lshlrev_b32 v6, 4, v4 :: v_dual_add_nc_u32 v4, s0, v13
	v_cmp_neq_f64_e64 s36, s[8:9], 0
	s_delay_alu instid0(VALU_DEP_3) | instskip(SKIP_3) | instid1(VALU_DEP_4)
	v_dual_ashrrev_i32 v1, 31, v0 :: v_dual_ashrrev_i32 v3, 31, v2
	v_cmp_neq_f64_e64 s37, s[10:11], 0
	v_lshlrev_b32_e32 v16, 4, v36
	v_add_nc_u32_e32 v20, 16, v4
	v_mul_u64_e32 v[14:15], s[30:31], v[0:1]
	v_mul_u64_e32 v[18:19], s[2:3], v[2:3]
	v_cmp_gt_i32_e32 vcc_lo, s14, v0
	v_lshl_or_b32 v38, v37, 9, v6
	v_add_nc_u32_e32 v6, s38, v7
	v_lshl_or_b32 v0, v5, 7, v16
	v_ashrrev_i32_e32 v5, 31, v4
	v_dual_ashrrev_i32 v21, 31, v20 :: v_dual_lshlrev_b32 v40, 4, v7
	v_cmp_neq_f64_e64 s39, s[4:5], 0
	s_mov_b32 s34, s26
	v_dual_mov_b32 v0, 0 :: v_dual_add_nc_u32 v39, 0x1000, v0
	v_mul_u64_e32 v[8:9], s[34:35], v[4:5]
	v_mul_u64_e32 v[10:11], s[34:35], v[20:21]
	v_cmp_gt_i32_e64 s0, s14, v2
	v_dual_add_nc_u32 v12, 16, v6 :: v_dual_ashrrev_i32 v7, 31, v6
	v_dual_mov_b32 v3, v0 :: v_dual_lshlrev_b32 v2, 4, v37
	v_mov_b32_e32 v17, v0
	v_lshl_add_u32 v41, v13, 7, 0x1000
	v_cmp_gt_i32_e64 s1, s14, v4
	v_cmp_le_i32_e64 s2, v6, v4
	v_cmp_le_i32_e64 s3, v12, v4
	v_ashrrev_i32_e32 v13, 31, v12
	s_or_b32 s36, s36, s37
	s_cmp_gt_i32 s15, 0
	v_lshl_add_u64 v[2:3], v[14:15], 4, v[2:3]
	v_lshl_add_u64 v[4:5], v[18:19], 4, v[16:17]
	s_cselect_b32 s37, -1, 0
	s_and_b32 s30, s1, s2
	s_and_b32 s31, s1, s3
	v_cmp_gt_i32_e64 s1, s14, v20
	v_cmp_le_i32_e64 s2, v6, v20
	v_cmp_le_i32_e64 s3, v12, v20
	v_add_nc_u64_e32 v[14:15], s[18:19], v[2:3]
	v_add_nc_u64_e32 v[16:17], s[22:23], v[4:5]
	s_xor_b32 s26, s33, -1
	s_and_b32 s14, s1, s2
	s_or_b32 s26, s39, s26
	s_and_b32 s33, s1, s3
	s_lshl_b64 s[2:3], s[20:21], 4
	s_and_b32 s18, s36, s37
	s_lshl_b64 s[12:13], s[12:13], 4
	s_xor_b32 s19, vcc_lo, -1
	s_xor_b32 s20, s0, -1
	s_branch .LBB111_7
.LBB111_6:                              ;   in Loop: Header=BB111_7 Depth=1
	s_wait_xcnt 0x0
	s_or_b32 exec_lo, exec_lo, s0
	s_add_co_i32 s16, s16, 0x10000
	s_delay_alu instid0(SALU_CYCLE_1)
	s_cmp_lt_u32 s16, s27
	s_cbranch_scc0 .LBB111_39
.LBB111_7:                              ; =>This Loop Header: Depth=1
                                        ;     Child Loop BB111_10 Depth 2
	v_mov_b64_e32 v[28:29], 0
	v_mov_b64_e32 v[30:31], 0
	;; [unrolled: 1-line block ×8, first 2 shown]
	s_and_not1_b32 vcc_lo, exec_lo, s18
	s_cbranch_vccnz .LBB111_18
; %bb.8:                                ;   in Loop: Header=BB111_7 Depth=1
	v_mad_nc_u64_u32 v[4:5], s2, s16, v[14:15]
	v_mad_nc_u64_u32 v[18:19], s12, s16, v[16:17]
	v_mov_b64_e32 v[32:33], 0
	v_mov_b64_e32 v[34:35], 0
	;; [unrolled: 1-line block ×8, first 2 shown]
	s_mov_b32 s0, 0
	v_mad_u32 v5, s3, s16, v5
	v_mad_u32 v19, s13, s16, v19
	s_branch .LBB111_10
.LBB111_9:                              ;   in Loop: Header=BB111_10 Depth=2
	s_wait_xcnt 0x0
	s_or_b32 exec_lo, exec_lo, s1
	s_wait_dscnt 0x0
	s_barrier_signal -1
	s_barrier_wait -1
	ds_load_b128 v[42:45], v41
	ds_load_b128 v[46:49], v41 offset:16
	ds_load_b128 v[50:53], v41 offset:32
	;; [unrolled: 1-line block ×3, first 2 shown]
	ds_load_b128 v[58:61], v40
	v_add_nc_u64_e32 v[4:5], 0x80, v[4:5]
	v_add_nc_u64_e32 v[18:19], 0x80, v[18:19]
	s_add_co_i32 s0, s0, 8
	s_delay_alu instid0(SALU_CYCLE_1) | instskip(SKIP_3) | instid1(VALU_DEP_2)
	s_cmp_lt_i32 s0, s15
	s_wait_dscnt 0x0
	v_mul_f64_e32 v[2:3], v[44:45], v[60:61]
	v_mul_f64_e32 v[62:63], v[42:43], v[60:61]
	v_fma_f64 v[2:3], v[42:43], v[58:59], -v[2:3]
	s_delay_alu instid0(VALU_DEP_2) | instskip(NEXT) | instid1(VALU_DEP_2)
	v_fmac_f64_e32 v[62:63], v[44:45], v[58:59]
	v_add_f64_e32 v[2:3], v[28:29], v[2:3]
	s_delay_alu instid0(VALU_DEP_2) | instskip(SKIP_3) | instid1(VALU_DEP_1)
	v_add_f64_e32 v[62:63], v[62:63], v[30:31]
	ds_load_b128 v[28:31], v40 offset:256
	s_wait_dscnt 0x0
	v_mul_f64_e32 v[64:65], v[44:45], v[30:31]
	v_fma_f64 v[64:65], v[42:43], v[28:29], -v[64:65]
	v_mul_f64_e32 v[42:43], v[42:43], v[30:31]
	s_delay_alu instid0(VALU_DEP_1) | instskip(NEXT) | instid1(VALU_DEP_3)
	v_fmac_f64_e32 v[42:43], v[44:45], v[28:29]
	v_add_f64_e32 v[44:45], v[20:21], v[64:65]
	s_delay_alu instid0(VALU_DEP_2) | instskip(SKIP_4) | instid1(VALU_DEP_2)
	v_add_f64_e32 v[42:43], v[42:43], v[22:23]
	ds_load_b128 v[20:23], v41 offset:2048
	s_wait_dscnt 0x0
	v_mul_f64_e32 v[64:65], v[22:23], v[60:61]
	v_mul_f64_e32 v[60:61], v[20:21], v[60:61]
	v_fma_f64 v[64:65], v[20:21], v[58:59], -v[64:65]
	s_delay_alu instid0(VALU_DEP_2) | instskip(NEXT) | instid1(VALU_DEP_2)
	v_fmac_f64_e32 v[60:61], v[22:23], v[58:59]
	v_add_f64_e32 v[58:59], v[24:25], v[64:65]
	v_mul_f64_e32 v[24:25], v[22:23], v[30:31]
	s_delay_alu instid0(VALU_DEP_3) | instskip(NEXT) | instid1(VALU_DEP_2)
	v_add_f64_e32 v[60:61], v[60:61], v[26:27]
	v_fma_f64 v[24:25], v[20:21], v[28:29], -v[24:25]
	v_mul_f64_e32 v[20:21], v[20:21], v[30:31]
	s_delay_alu instid0(VALU_DEP_2) | instskip(NEXT) | instid1(VALU_DEP_2)
	v_add_f64_e32 v[34:35], v[34:35], v[24:25]
	v_fmac_f64_e32 v[20:21], v[22:23], v[28:29]
	s_delay_alu instid0(VALU_DEP_1) | instskip(SKIP_4) | instid1(VALU_DEP_2)
	v_add_f64_e32 v[32:33], v[20:21], v[32:33]
	ds_load_b128 v[20:23], v40 offset:512
	s_wait_dscnt 0x0
	v_mul_f64_e32 v[24:25], v[48:49], v[22:23]
	v_mul_f64_e32 v[26:27], v[46:47], v[22:23]
	v_fma_f64 v[24:25], v[46:47], v[20:21], -v[24:25]
	s_delay_alu instid0(VALU_DEP_2) | instskip(NEXT) | instid1(VALU_DEP_2)
	v_fmac_f64_e32 v[26:27], v[48:49], v[20:21]
	v_add_f64_e32 v[2:3], v[2:3], v[24:25]
	s_delay_alu instid0(VALU_DEP_2) | instskip(SKIP_4) | instid1(VALU_DEP_2)
	v_add_f64_e32 v[62:63], v[26:27], v[62:63]
	ds_load_b128 v[24:27], v40 offset:768
	s_wait_dscnt 0x0
	v_mul_f64_e32 v[28:29], v[48:49], v[26:27]
	v_mul_f64_e32 v[30:31], v[46:47], v[26:27]
	v_fma_f64 v[28:29], v[46:47], v[24:25], -v[28:29]
	s_delay_alu instid0(VALU_DEP_2) | instskip(NEXT) | instid1(VALU_DEP_2)
	v_fmac_f64_e32 v[30:31], v[48:49], v[24:25]
	v_add_f64_e32 v[44:45], v[44:45], v[28:29]
	s_delay_alu instid0(VALU_DEP_2) | instskip(SKIP_4) | instid1(VALU_DEP_2)
	v_add_f64_e32 v[42:43], v[30:31], v[42:43]
	ds_load_b128 v[28:31], v41 offset:2064
	s_wait_dscnt 0x0
	v_mul_f64_e32 v[46:47], v[30:31], v[22:23]
	v_mul_f64_e32 v[22:23], v[28:29], v[22:23]
	v_fma_f64 v[46:47], v[28:29], v[20:21], -v[46:47]
	s_delay_alu instid0(VALU_DEP_2) | instskip(SKIP_1) | instid1(VALU_DEP_3)
	v_fmac_f64_e32 v[22:23], v[30:31], v[20:21]
	v_mul_f64_e32 v[20:21], v[30:31], v[26:27]
	v_add_f64_e32 v[46:47], v[58:59], v[46:47]
	s_delay_alu instid0(VALU_DEP_3) | instskip(SKIP_1) | instid1(VALU_DEP_4)
	v_add_f64_e32 v[48:49], v[22:23], v[60:61]
	v_mul_f64_e32 v[22:23], v[28:29], v[26:27]
	v_fma_f64 v[20:21], v[28:29], v[24:25], -v[20:21]
	s_delay_alu instid0(VALU_DEP_2) | instskip(NEXT) | instid1(VALU_DEP_2)
	v_fmac_f64_e32 v[22:23], v[30:31], v[24:25]
	v_add_f64_e32 v[34:35], v[34:35], v[20:21]
	s_delay_alu instid0(VALU_DEP_2) | instskip(SKIP_4) | instid1(VALU_DEP_2)
	v_add_f64_e32 v[32:33], v[22:23], v[32:33]
	ds_load_b128 v[20:23], v40 offset:1024
	s_wait_dscnt 0x0
	v_mul_f64_e32 v[24:25], v[52:53], v[22:23]
	v_mul_f64_e32 v[26:27], v[50:51], v[22:23]
	v_fma_f64 v[24:25], v[50:51], v[20:21], -v[24:25]
	s_delay_alu instid0(VALU_DEP_2) | instskip(NEXT) | instid1(VALU_DEP_2)
	v_fmac_f64_e32 v[26:27], v[52:53], v[20:21]
	v_add_f64_e32 v[2:3], v[2:3], v[24:25]
	s_delay_alu instid0(VALU_DEP_2) | instskip(SKIP_4) | instid1(VALU_DEP_2)
	v_add_f64_e32 v[58:59], v[26:27], v[62:63]
	ds_load_b128 v[24:27], v40 offset:1280
	s_wait_dscnt 0x0
	v_mul_f64_e32 v[28:29], v[52:53], v[26:27]
	;; [unrolled: 10-line block ×3, first 2 shown]
	v_mul_f64_e32 v[22:23], v[28:29], v[22:23]
	v_fma_f64 v[50:51], v[28:29], v[20:21], -v[50:51]
	s_delay_alu instid0(VALU_DEP_2) | instskip(SKIP_1) | instid1(VALU_DEP_3)
	v_fmac_f64_e32 v[22:23], v[30:31], v[20:21]
	v_mul_f64_e32 v[20:21], v[30:31], v[26:27]
	v_add_f64_e32 v[46:47], v[46:47], v[50:51]
	s_delay_alu instid0(VALU_DEP_3) | instskip(SKIP_1) | instid1(VALU_DEP_4)
	v_add_f64_e32 v[48:49], v[22:23], v[48:49]
	v_mul_f64_e32 v[22:23], v[28:29], v[26:27]
	v_fma_f64 v[20:21], v[28:29], v[24:25], -v[20:21]
	s_delay_alu instid0(VALU_DEP_2) | instskip(NEXT) | instid1(VALU_DEP_2)
	v_fmac_f64_e32 v[22:23], v[30:31], v[24:25]
	v_add_f64_e32 v[34:35], v[34:35], v[20:21]
	s_delay_alu instid0(VALU_DEP_2) | instskip(SKIP_4) | instid1(VALU_DEP_2)
	v_add_f64_e32 v[32:33], v[22:23], v[32:33]
	ds_load_b128 v[20:23], v40 offset:1536
	s_wait_dscnt 0x0
	v_mul_f64_e32 v[24:25], v[56:57], v[22:23]
	v_mul_f64_e32 v[26:27], v[54:55], v[22:23]
	v_fma_f64 v[24:25], v[54:55], v[20:21], -v[24:25]
	s_delay_alu instid0(VALU_DEP_2) | instskip(NEXT) | instid1(VALU_DEP_2)
	v_fmac_f64_e32 v[26:27], v[56:57], v[20:21]
	v_add_f64_e32 v[2:3], v[2:3], v[24:25]
	s_delay_alu instid0(VALU_DEP_2) | instskip(SKIP_4) | instid1(VALU_DEP_2)
	v_add_f64_e32 v[50:51], v[26:27], v[58:59]
	ds_load_b128 v[24:27], v40 offset:1792
	s_wait_dscnt 0x0
	v_mul_f64_e32 v[28:29], v[56:57], v[26:27]
	;; [unrolled: 10-line block ×3, first 2 shown]
	v_mul_f64_e32 v[22:23], v[28:29], v[22:23]
	v_fma_f64 v[52:53], v[28:29], v[20:21], -v[52:53]
	s_delay_alu instid0(VALU_DEP_2) | instskip(SKIP_1) | instid1(VALU_DEP_3)
	v_fmac_f64_e32 v[22:23], v[30:31], v[20:21]
	v_mul_f64_e32 v[20:21], v[30:31], v[26:27]
	v_add_f64_e32 v[46:47], v[46:47], v[52:53]
	s_delay_alu instid0(VALU_DEP_3) | instskip(SKIP_1) | instid1(VALU_DEP_4)
	v_add_f64_e32 v[48:49], v[22:23], v[48:49]
	v_mul_f64_e32 v[22:23], v[28:29], v[26:27]
	v_fma_f64 v[20:21], v[28:29], v[24:25], -v[20:21]
	s_delay_alu instid0(VALU_DEP_2) | instskip(NEXT) | instid1(VALU_DEP_2)
	v_fmac_f64_e32 v[22:23], v[30:31], v[24:25]
	v_add_f64_e32 v[34:35], v[34:35], v[20:21]
	s_delay_alu instid0(VALU_DEP_2)
	v_add_f64_e32 v[32:33], v[22:23], v[32:33]
	ds_load_b128 v[20:23], v41 offset:64
	ds_load_b128 v[24:27], v40 offset:2048
	s_wait_dscnt 0x0
	v_mul_f64_e32 v[28:29], v[22:23], v[26:27]
	v_mul_f64_e32 v[30:31], v[20:21], v[26:27]
	s_delay_alu instid0(VALU_DEP_2) | instskip(NEXT) | instid1(VALU_DEP_2)
	v_fma_f64 v[28:29], v[20:21], v[24:25], -v[28:29]
	v_fmac_f64_e32 v[30:31], v[22:23], v[24:25]
	s_delay_alu instid0(VALU_DEP_2) | instskip(NEXT) | instid1(VALU_DEP_2)
	v_add_f64_e32 v[2:3], v[2:3], v[28:29]
	v_add_f64_e32 v[50:51], v[30:31], v[50:51]
	ds_load_b128 v[28:31], v40 offset:2304
	s_wait_dscnt 0x0
	v_mul_f64_e32 v[52:53], v[22:23], v[30:31]
	s_delay_alu instid0(VALU_DEP_1) | instskip(SKIP_1) | instid1(VALU_DEP_2)
	v_fma_f64 v[52:53], v[20:21], v[28:29], -v[52:53]
	v_mul_f64_e32 v[20:21], v[20:21], v[30:31]
	v_add_f64_e32 v[44:45], v[44:45], v[52:53]
	s_delay_alu instid0(VALU_DEP_2) | instskip(NEXT) | instid1(VALU_DEP_1)
	v_fmac_f64_e32 v[20:21], v[22:23], v[28:29]
	v_add_f64_e32 v[42:43], v[20:21], v[42:43]
	ds_load_b128 v[20:23], v41 offset:2112
	s_wait_dscnt 0x0
	v_mul_f64_e32 v[52:53], v[22:23], v[26:27]
	v_mul_f64_e32 v[26:27], v[20:21], v[26:27]
	s_delay_alu instid0(VALU_DEP_2) | instskip(NEXT) | instid1(VALU_DEP_2)
	v_fma_f64 v[52:53], v[20:21], v[24:25], -v[52:53]
	v_fmac_f64_e32 v[26:27], v[22:23], v[24:25]
	v_mul_f64_e32 v[24:25], v[22:23], v[30:31]
	s_delay_alu instid0(VALU_DEP_3) | instskip(NEXT) | instid1(VALU_DEP_3)
	v_add_f64_e32 v[46:47], v[46:47], v[52:53]
	v_add_f64_e32 v[48:49], v[26:27], v[48:49]
	s_delay_alu instid0(VALU_DEP_3) | instskip(SKIP_1) | instid1(VALU_DEP_2)
	v_fma_f64 v[24:25], v[20:21], v[28:29], -v[24:25]
	v_mul_f64_e32 v[20:21], v[20:21], v[30:31]
	v_add_f64_e32 v[34:35], v[34:35], v[24:25]
	s_delay_alu instid0(VALU_DEP_2) | instskip(NEXT) | instid1(VALU_DEP_1)
	v_fmac_f64_e32 v[20:21], v[22:23], v[28:29]
	v_add_f64_e32 v[32:33], v[20:21], v[32:33]
	ds_load_b128 v[20:23], v41 offset:80
	ds_load_b128 v[24:27], v40 offset:2560
	s_wait_dscnt 0x0
	v_mul_f64_e32 v[28:29], v[22:23], v[26:27]
	v_mul_f64_e32 v[30:31], v[20:21], v[26:27]
	s_delay_alu instid0(VALU_DEP_2) | instskip(NEXT) | instid1(VALU_DEP_2)
	v_fma_f64 v[28:29], v[20:21], v[24:25], -v[28:29]
	v_fmac_f64_e32 v[30:31], v[22:23], v[24:25]
	s_delay_alu instid0(VALU_DEP_2) | instskip(NEXT) | instid1(VALU_DEP_2)
	v_add_f64_e32 v[2:3], v[2:3], v[28:29]
	v_add_f64_e32 v[50:51], v[30:31], v[50:51]
	ds_load_b128 v[28:31], v40 offset:2816
	s_wait_dscnt 0x0
	v_mul_f64_e32 v[52:53], v[22:23], v[30:31]
	s_delay_alu instid0(VALU_DEP_1) | instskip(SKIP_1) | instid1(VALU_DEP_2)
	v_fma_f64 v[52:53], v[20:21], v[28:29], -v[52:53]
	v_mul_f64_e32 v[20:21], v[20:21], v[30:31]
	v_add_f64_e32 v[44:45], v[44:45], v[52:53]
	s_delay_alu instid0(VALU_DEP_2) | instskip(NEXT) | instid1(VALU_DEP_1)
	v_fmac_f64_e32 v[20:21], v[22:23], v[28:29]
	v_add_f64_e32 v[42:43], v[20:21], v[42:43]
	ds_load_b128 v[20:23], v41 offset:2128
	s_wait_dscnt 0x0
	v_mul_f64_e32 v[52:53], v[22:23], v[26:27]
	v_mul_f64_e32 v[26:27], v[20:21], v[26:27]
	s_delay_alu instid0(VALU_DEP_2) | instskip(NEXT) | instid1(VALU_DEP_2)
	v_fma_f64 v[52:53], v[20:21], v[24:25], -v[52:53]
	v_fmac_f64_e32 v[26:27], v[22:23], v[24:25]
	v_mul_f64_e32 v[24:25], v[22:23], v[30:31]
	s_delay_alu instid0(VALU_DEP_3) | instskip(NEXT) | instid1(VALU_DEP_3)
	v_add_f64_e32 v[46:47], v[46:47], v[52:53]
	v_add_f64_e32 v[48:49], v[26:27], v[48:49]
	s_delay_alu instid0(VALU_DEP_3) | instskip(SKIP_1) | instid1(VALU_DEP_2)
	v_fma_f64 v[24:25], v[20:21], v[28:29], -v[24:25]
	v_mul_f64_e32 v[20:21], v[20:21], v[30:31]
	v_add_f64_e32 v[34:35], v[34:35], v[24:25]
	s_delay_alu instid0(VALU_DEP_2) | instskip(NEXT) | instid1(VALU_DEP_1)
	v_fmac_f64_e32 v[20:21], v[22:23], v[28:29]
	;; [unrolled: 39-line block ×3, first 2 shown]
	v_add_f64_e32 v[54:55], v[20:21], v[32:33]
	ds_load_b128 v[20:23], v41 offset:112
	ds_load_b128 v[24:27], v40 offset:3584
	;; [unrolled: 1-line block ×3, first 2 shown]
	s_wait_dscnt 0x1
	v_mul_f64_e32 v[28:29], v[22:23], v[26:27]
	v_mul_f64_e32 v[30:31], v[20:21], v[26:27]
	s_delay_alu instid0(VALU_DEP_2) | instskip(NEXT) | instid1(VALU_DEP_2)
	v_fma_f64 v[28:29], v[20:21], v[24:25], -v[28:29]
	v_fmac_f64_e32 v[30:31], v[22:23], v[24:25]
	s_delay_alu instid0(VALU_DEP_2) | instskip(NEXT) | instid1(VALU_DEP_2)
	v_add_f64_e32 v[28:29], v[2:3], v[28:29]
	v_add_f64_e32 v[30:31], v[30:31], v[50:51]
	s_wait_dscnt 0x0
	v_mul_f64_e32 v[2:3], v[22:23], v[34:35]
	v_mul_f64_e32 v[50:51], v[20:21], v[34:35]
	s_delay_alu instid0(VALU_DEP_2) | instskip(NEXT) | instid1(VALU_DEP_2)
	v_fma_f64 v[2:3], v[20:21], v[32:33], -v[2:3]
	v_fmac_f64_e32 v[50:51], v[22:23], v[32:33]
	s_delay_alu instid0(VALU_DEP_2) | instskip(NEXT) | instid1(VALU_DEP_2)
	v_add_f64_e32 v[20:21], v[44:45], v[2:3]
	v_add_f64_e32 v[22:23], v[50:51], v[42:43]
	ds_load_b128 v[42:45], v41 offset:2160
	s_wait_dscnt 0x0
	s_barrier_signal -1
	s_barrier_wait -1
	v_mul_f64_e32 v[2:3], v[44:45], v[26:27]
	v_mul_f64_e32 v[26:27], v[42:43], v[26:27]
	s_delay_alu instid0(VALU_DEP_2) | instskip(NEXT) | instid1(VALU_DEP_2)
	v_fma_f64 v[2:3], v[42:43], v[24:25], -v[2:3]
	v_fmac_f64_e32 v[26:27], v[44:45], v[24:25]
	s_delay_alu instid0(VALU_DEP_2) | instskip(SKIP_1) | instid1(VALU_DEP_3)
	v_add_f64_e32 v[24:25], v[46:47], v[2:3]
	v_mul_f64_e32 v[2:3], v[44:45], v[34:35]
	v_add_f64_e32 v[26:27], v[26:27], v[48:49]
	s_delay_alu instid0(VALU_DEP_2) | instskip(SKIP_1) | instid1(VALU_DEP_2)
	v_fma_f64 v[2:3], v[42:43], v[32:33], -v[2:3]
	v_mul_f64_e32 v[42:43], v[42:43], v[34:35]
	v_add_f64_e32 v[34:35], v[52:53], v[2:3]
	s_delay_alu instid0(VALU_DEP_2) | instskip(NEXT) | instid1(VALU_DEP_1)
	v_fmac_f64_e32 v[42:43], v[44:45], v[32:33]
	v_add_f64_e32 v[32:33], v[42:43], v[54:55]
	s_cbranch_scc0 .LBB111_18
.LBB111_10:                             ;   Parent Loop BB111_7 Depth=1
                                        ; =>  This Inner Loop Header: Depth=2
	v_add_nc_u32_e32 v1, s0, v37
	s_delay_alu instid0(VALU_DEP_1) | instskip(SKIP_1) | instid1(SALU_CYCLE_1)
	v_cmp_le_i32_e32 vcc_lo, s15, v1
	s_or_b32 s1, s19, vcc_lo
	s_and_saveexec_b32 s21, s1
	s_delay_alu instid0(SALU_CYCLE_1)
	s_xor_b32 s1, exec_lo, s21
; %bb.11:                               ;   in Loop: Header=BB111_10 Depth=2
	v_dual_mov_b32 v1, v0 :: v_dual_mov_b32 v2, v0
	v_mov_b32_e32 v3, v0
	ds_store_b128 v38, v[0:3]
; %bb.12:                               ;   in Loop: Header=BB111_10 Depth=2
	s_and_not1_saveexec_b32 s1, s1
	s_cbranch_execz .LBB111_14
; %bb.13:                               ;   in Loop: Header=BB111_10 Depth=2
	global_load_b128 v[42:45], v[4:5], off
	s_wait_loadcnt 0x0
	ds_store_2addr_b64 v38, v[42:43], v[44:45] offset1:1
.LBB111_14:                             ;   in Loop: Header=BB111_10 Depth=2
	s_wait_xcnt 0x0
	s_or_b32 exec_lo, exec_lo, s1
	v_add_nc_u32_e32 v1, s0, v36
	s_delay_alu instid0(VALU_DEP_1) | instskip(SKIP_1) | instid1(SALU_CYCLE_1)
	v_cmp_le_i32_e32 vcc_lo, s15, v1
	s_or_b32 s1, vcc_lo, s20
	s_and_saveexec_b32 s21, s1
	s_delay_alu instid0(SALU_CYCLE_1)
	s_xor_b32 s1, exec_lo, s21
; %bb.15:                               ;   in Loop: Header=BB111_10 Depth=2
	v_dual_mov_b32 v1, v0 :: v_dual_mov_b32 v2, v0
	v_mov_b32_e32 v3, v0
	ds_store_b128 v39, v[0:3]
; %bb.16:                               ;   in Loop: Header=BB111_10 Depth=2
	s_and_not1_saveexec_b32 s1, s1
	s_cbranch_execz .LBB111_9
; %bb.17:                               ;   in Loop: Header=BB111_10 Depth=2
	global_load_b128 v[42:45], v[18:19], off
	s_wait_loadcnt 0x0
	ds_store_2addr_b64 v39, v[42:43], v[44:45] offset1:1
	s_branch .LBB111_9
.LBB111_18:                             ;   in Loop: Header=BB111_7 Depth=1
	s_mul_u64 s[0:1], s[28:29], s[16:17]
	s_delay_alu instid0(SALU_CYCLE_1) | instskip(NEXT) | instid1(SALU_CYCLE_1)
	s_lshl_b64 s[0:1], s[0:1], 4
	s_add_nc_u64 s[0:1], s[24:25], s[0:1]
	s_delay_alu instid0(SALU_CYCLE_1)
	v_lshl_add_u64 v[18:19], v[8:9], 4, s[0:1]
	s_and_saveexec_b32 s21, s30
	s_cbranch_execz .LBB111_23
; %bb.19:                               ;   in Loop: Header=BB111_7 Depth=1
	v_mul_f64_e32 v[2:3], s[10:11], v[30:31]
	v_mul_f64_e32 v[4:5], s[8:9], v[30:31]
	s_and_b32 vcc_lo, exec_lo, s26
	s_mov_b32 s22, -1
	s_delay_alu instid0(VALU_DEP_2) | instskip(NEXT) | instid1(VALU_DEP_2)
	v_fma_f64 v[2:3], s[8:9], v[28:29], -v[2:3]
	v_fmac_f64_e32 v[4:5], s[10:11], v[28:29]
	v_lshl_add_u64 v[28:29], v[6:7], 4, v[18:19]
	s_cbranch_vccz .LBB111_21
; %bb.20:                               ;   in Loop: Header=BB111_7 Depth=1
	global_load_b128 v[42:45], v[28:29], off
	s_mov_b32 s22, 0
	s_wait_loadcnt 0x0
	v_mul_f64_e32 v[30:31], s[6:7], v[44:45]
	v_mul_f64_e32 v[44:45], s[4:5], v[44:45]
	s_delay_alu instid0(VALU_DEP_2) | instskip(NEXT) | instid1(VALU_DEP_2)
	v_fma_f64 v[30:31], s[4:5], v[42:43], -v[30:31]
	v_fmac_f64_e32 v[44:45], s[6:7], v[42:43]
	s_delay_alu instid0(VALU_DEP_2) | instskip(NEXT) | instid1(VALU_DEP_2)
	v_add_f64_e32 v[42:43], v[2:3], v[30:31]
	v_add_f64_e32 v[44:45], v[4:5], v[44:45]
	global_store_b128 v[28:29], v[42:45], off
.LBB111_21:                             ;   in Loop: Header=BB111_7 Depth=1
	s_and_not1_b32 vcc_lo, exec_lo, s22
	s_cbranch_vccnz .LBB111_23
; %bb.22:                               ;   in Loop: Header=BB111_7 Depth=1
	global_store_b128 v[28:29], v[2:5], off
.LBB111_23:                             ;   in Loop: Header=BB111_7 Depth=1
	s_wait_xcnt 0x0
	s_or_b32 exec_lo, exec_lo, s21
	s_and_saveexec_b32 s21, s31
	s_cbranch_execz .LBB111_28
; %bb.24:                               ;   in Loop: Header=BB111_7 Depth=1
	v_mul_f64_e32 v[2:3], s[10:11], v[22:23]
	v_mul_f64_e32 v[4:5], s[8:9], v[22:23]
	v_lshl_add_u64 v[18:19], v[12:13], 4, v[18:19]
	s_and_not1_b32 vcc_lo, exec_lo, s26
	s_mov_b32 s22, -1
	s_delay_alu instid0(VALU_DEP_3) | instskip(NEXT) | instid1(VALU_DEP_3)
	v_fma_f64 v[2:3], s[8:9], v[20:21], -v[2:3]
	v_fmac_f64_e32 v[4:5], s[10:11], v[20:21]
	s_cbranch_vccnz .LBB111_26
; %bb.25:                               ;   in Loop: Header=BB111_7 Depth=1
	global_load_b128 v[20:23], v[18:19], off
	s_mov_b32 s22, 0
	s_wait_loadcnt 0x0
	v_mul_f64_e32 v[28:29], s[6:7], v[22:23]
	v_mul_f64_e32 v[22:23], s[4:5], v[22:23]
	s_delay_alu instid0(VALU_DEP_2) | instskip(NEXT) | instid1(VALU_DEP_2)
	v_fma_f64 v[28:29], s[4:5], v[20:21], -v[28:29]
	v_fmac_f64_e32 v[22:23], s[6:7], v[20:21]
	s_delay_alu instid0(VALU_DEP_2) | instskip(NEXT) | instid1(VALU_DEP_2)
	v_add_f64_e32 v[20:21], v[2:3], v[28:29]
	v_add_f64_e32 v[22:23], v[4:5], v[22:23]
	global_store_b128 v[18:19], v[20:23], off
.LBB111_26:                             ;   in Loop: Header=BB111_7 Depth=1
	s_and_not1_b32 vcc_lo, exec_lo, s22
	s_cbranch_vccnz .LBB111_28
; %bb.27:                               ;   in Loop: Header=BB111_7 Depth=1
	global_store_b128 v[18:19], v[2:5], off
.LBB111_28:                             ;   in Loop: Header=BB111_7 Depth=1
	s_wait_xcnt 0x0
	s_or_b32 exec_lo, exec_lo, s21
	v_lshl_add_u64 v[18:19], v[10:11], 4, s[0:1]
	s_and_saveexec_b32 s0, s14
	s_cbranch_execz .LBB111_33
; %bb.29:                               ;   in Loop: Header=BB111_7 Depth=1
	v_mul_f64_e32 v[2:3], s[10:11], v[26:27]
	v_mul_f64_e32 v[4:5], s[8:9], v[26:27]
	v_lshl_add_u64 v[20:21], v[6:7], 4, v[18:19]
	s_and_not1_b32 vcc_lo, exec_lo, s26
	s_mov_b32 s1, -1
	s_delay_alu instid0(VALU_DEP_3) | instskip(NEXT) | instid1(VALU_DEP_3)
	v_fma_f64 v[2:3], s[8:9], v[24:25], -v[2:3]
	v_fmac_f64_e32 v[4:5], s[10:11], v[24:25]
	s_cbranch_vccnz .LBB111_31
; %bb.30:                               ;   in Loop: Header=BB111_7 Depth=1
	global_load_b128 v[22:25], v[20:21], off
	s_mov_b32 s1, 0
	s_wait_loadcnt 0x0
	v_mul_f64_e32 v[26:27], s[6:7], v[24:25]
	v_mul_f64_e32 v[24:25], s[4:5], v[24:25]
	s_delay_alu instid0(VALU_DEP_2) | instskip(NEXT) | instid1(VALU_DEP_2)
	v_fma_f64 v[26:27], s[4:5], v[22:23], -v[26:27]
	v_fmac_f64_e32 v[24:25], s[6:7], v[22:23]
	s_delay_alu instid0(VALU_DEP_2) | instskip(NEXT) | instid1(VALU_DEP_2)
	v_add_f64_e32 v[22:23], v[2:3], v[26:27]
	v_add_f64_e32 v[24:25], v[4:5], v[24:25]
	global_store_b128 v[20:21], v[22:25], off
.LBB111_31:                             ;   in Loop: Header=BB111_7 Depth=1
	s_and_not1_b32 vcc_lo, exec_lo, s1
	s_cbranch_vccnz .LBB111_33
; %bb.32:                               ;   in Loop: Header=BB111_7 Depth=1
	global_store_b128 v[20:21], v[2:5], off
.LBB111_33:                             ;   in Loop: Header=BB111_7 Depth=1
	s_wait_xcnt 0x0
	s_or_b32 exec_lo, exec_lo, s0
	s_and_saveexec_b32 s0, s33
	s_cbranch_execz .LBB111_6
; %bb.34:                               ;   in Loop: Header=BB111_7 Depth=1
	s_delay_alu instid0(VALU_DEP_3) | instskip(SKIP_4) | instid1(VALU_DEP_3)
	v_mul_f64_e32 v[2:3], s[10:11], v[32:33]
	v_mul_f64_e32 v[4:5], s[8:9], v[32:33]
	v_lshl_add_u64 v[18:19], v[12:13], 4, v[18:19]
	s_and_not1_b32 vcc_lo, exec_lo, s26
	s_mov_b32 s1, -1
	v_fma_f64 v[2:3], s[8:9], v[34:35], -v[2:3]
	s_delay_alu instid0(VALU_DEP_3)
	v_fmac_f64_e32 v[4:5], s[10:11], v[34:35]
	s_cbranch_vccnz .LBB111_36
; %bb.35:                               ;   in Loop: Header=BB111_7 Depth=1
	global_load_b128 v[20:23], v[18:19], off
	s_mov_b32 s1, 0
	s_wait_loadcnt 0x0
	v_mul_f64_e32 v[24:25], s[6:7], v[22:23]
	v_mul_f64_e32 v[22:23], s[4:5], v[22:23]
	s_delay_alu instid0(VALU_DEP_2) | instskip(NEXT) | instid1(VALU_DEP_2)
	v_fma_f64 v[24:25], s[4:5], v[20:21], -v[24:25]
	v_fmac_f64_e32 v[22:23], s[6:7], v[20:21]
	s_delay_alu instid0(VALU_DEP_2) | instskip(NEXT) | instid1(VALU_DEP_2)
	v_add_f64_e32 v[20:21], v[2:3], v[24:25]
	v_add_f64_e32 v[22:23], v[4:5], v[22:23]
	global_store_b128 v[18:19], v[20:23], off
.LBB111_36:                             ;   in Loop: Header=BB111_7 Depth=1
	s_and_not1_b32 vcc_lo, exec_lo, s1
	s_cbranch_vccnz .LBB111_6
; %bb.37:                               ;   in Loop: Header=BB111_7 Depth=1
	global_store_b128 v[18:19], v[2:5], off
	s_branch .LBB111_6
.LBB111_38:
.LBB111_39:
	s_sendmsg sendmsg(MSG_DEALLOC_VGPRS)
	s_endpgm
	.section	.rodata,"a",@progbits
	.p2align	6, 0x0
	.amdhsa_kernel _ZL29rocblas_internal_gemmt_kernelIiLi16ELi32ELi8ELc84ELc78ELc85ELb0ELb0E19rocblas_complex_numIdEPKS1_S3_PS1_EviT_T9_T10_S5_lS7_S5_lS6_T11_S5_li
		.amdhsa_group_segment_fixed_size 8192
		.amdhsa_private_segment_fixed_size 0
		.amdhsa_kernarg_size 100
		.amdhsa_user_sgpr_count 2
		.amdhsa_user_sgpr_dispatch_ptr 0
		.amdhsa_user_sgpr_queue_ptr 0
		.amdhsa_user_sgpr_kernarg_segment_ptr 1
		.amdhsa_user_sgpr_dispatch_id 0
		.amdhsa_user_sgpr_kernarg_preload_length 0
		.amdhsa_user_sgpr_kernarg_preload_offset 0
		.amdhsa_user_sgpr_private_segment_size 0
		.amdhsa_wavefront_size32 1
		.amdhsa_uses_dynamic_stack 0
		.amdhsa_enable_private_segment 0
		.amdhsa_system_sgpr_workgroup_id_x 1
		.amdhsa_system_sgpr_workgroup_id_y 1
		.amdhsa_system_sgpr_workgroup_id_z 1
		.amdhsa_system_sgpr_workgroup_info 0
		.amdhsa_system_vgpr_workitem_id 1
		.amdhsa_next_free_vgpr 66
		.amdhsa_next_free_sgpr 41
		.amdhsa_named_barrier_count 0
		.amdhsa_reserve_vcc 1
		.amdhsa_float_round_mode_32 0
		.amdhsa_float_round_mode_16_64 0
		.amdhsa_float_denorm_mode_32 3
		.amdhsa_float_denorm_mode_16_64 3
		.amdhsa_fp16_overflow 0
		.amdhsa_memory_ordered 1
		.amdhsa_forward_progress 1
		.amdhsa_inst_pref_size 26
		.amdhsa_round_robin_scheduling 0
		.amdhsa_exception_fp_ieee_invalid_op 0
		.amdhsa_exception_fp_denorm_src 0
		.amdhsa_exception_fp_ieee_div_zero 0
		.amdhsa_exception_fp_ieee_overflow 0
		.amdhsa_exception_fp_ieee_underflow 0
		.amdhsa_exception_fp_ieee_inexact 0
		.amdhsa_exception_int_div_zero 0
	.end_amdhsa_kernel
	.section	.text._ZL29rocblas_internal_gemmt_kernelIiLi16ELi32ELi8ELc84ELc78ELc85ELb0ELb0E19rocblas_complex_numIdEPKS1_S3_PS1_EviT_T9_T10_S5_lS7_S5_lS6_T11_S5_li,"axG",@progbits,_ZL29rocblas_internal_gemmt_kernelIiLi16ELi32ELi8ELc84ELc78ELc85ELb0ELb0E19rocblas_complex_numIdEPKS1_S3_PS1_EviT_T9_T10_S5_lS7_S5_lS6_T11_S5_li,comdat
.Lfunc_end111:
	.size	_ZL29rocblas_internal_gemmt_kernelIiLi16ELi32ELi8ELc84ELc78ELc85ELb0ELb0E19rocblas_complex_numIdEPKS1_S3_PS1_EviT_T9_T10_S5_lS7_S5_lS6_T11_S5_li, .Lfunc_end111-_ZL29rocblas_internal_gemmt_kernelIiLi16ELi32ELi8ELc84ELc78ELc85ELb0ELb0E19rocblas_complex_numIdEPKS1_S3_PS1_EviT_T9_T10_S5_lS7_S5_lS6_T11_S5_li
                                        ; -- End function
	.set _ZL29rocblas_internal_gemmt_kernelIiLi16ELi32ELi8ELc84ELc78ELc85ELb0ELb0E19rocblas_complex_numIdEPKS1_S3_PS1_EviT_T9_T10_S5_lS7_S5_lS6_T11_S5_li.num_vgpr, 66
	.set _ZL29rocblas_internal_gemmt_kernelIiLi16ELi32ELi8ELc84ELc78ELc85ELb0ELb0E19rocblas_complex_numIdEPKS1_S3_PS1_EviT_T9_T10_S5_lS7_S5_lS6_T11_S5_li.num_agpr, 0
	.set _ZL29rocblas_internal_gemmt_kernelIiLi16ELi32ELi8ELc84ELc78ELc85ELb0ELb0E19rocblas_complex_numIdEPKS1_S3_PS1_EviT_T9_T10_S5_lS7_S5_lS6_T11_S5_li.numbered_sgpr, 41
	.set _ZL29rocblas_internal_gemmt_kernelIiLi16ELi32ELi8ELc84ELc78ELc85ELb0ELb0E19rocblas_complex_numIdEPKS1_S3_PS1_EviT_T9_T10_S5_lS7_S5_lS6_T11_S5_li.num_named_barrier, 0
	.set _ZL29rocblas_internal_gemmt_kernelIiLi16ELi32ELi8ELc84ELc78ELc85ELb0ELb0E19rocblas_complex_numIdEPKS1_S3_PS1_EviT_T9_T10_S5_lS7_S5_lS6_T11_S5_li.private_seg_size, 0
	.set _ZL29rocblas_internal_gemmt_kernelIiLi16ELi32ELi8ELc84ELc78ELc85ELb0ELb0E19rocblas_complex_numIdEPKS1_S3_PS1_EviT_T9_T10_S5_lS7_S5_lS6_T11_S5_li.uses_vcc, 1
	.set _ZL29rocblas_internal_gemmt_kernelIiLi16ELi32ELi8ELc84ELc78ELc85ELb0ELb0E19rocblas_complex_numIdEPKS1_S3_PS1_EviT_T9_T10_S5_lS7_S5_lS6_T11_S5_li.uses_flat_scratch, 0
	.set _ZL29rocblas_internal_gemmt_kernelIiLi16ELi32ELi8ELc84ELc78ELc85ELb0ELb0E19rocblas_complex_numIdEPKS1_S3_PS1_EviT_T9_T10_S5_lS7_S5_lS6_T11_S5_li.has_dyn_sized_stack, 0
	.set _ZL29rocblas_internal_gemmt_kernelIiLi16ELi32ELi8ELc84ELc78ELc85ELb0ELb0E19rocblas_complex_numIdEPKS1_S3_PS1_EviT_T9_T10_S5_lS7_S5_lS6_T11_S5_li.has_recursion, 0
	.set _ZL29rocblas_internal_gemmt_kernelIiLi16ELi32ELi8ELc84ELc78ELc85ELb0ELb0E19rocblas_complex_numIdEPKS1_S3_PS1_EviT_T9_T10_S5_lS7_S5_lS6_T11_S5_li.has_indirect_call, 0
	.section	.AMDGPU.csdata,"",@progbits
; Kernel info:
; codeLenInByte = 3228
; TotalNumSgprs: 43
; NumVgprs: 66
; ScratchSize: 0
; MemoryBound: 0
; FloatMode: 240
; IeeeMode: 1
; LDSByteSize: 8192 bytes/workgroup (compile time only)
; SGPRBlocks: 0
; VGPRBlocks: 4
; NumSGPRsForWavesPerEU: 43
; NumVGPRsForWavesPerEU: 66
; NamedBarCnt: 0
; Occupancy: 12
; WaveLimiterHint : 0
; COMPUTE_PGM_RSRC2:SCRATCH_EN: 0
; COMPUTE_PGM_RSRC2:USER_SGPR: 2
; COMPUTE_PGM_RSRC2:TRAP_HANDLER: 0
; COMPUTE_PGM_RSRC2:TGID_X_EN: 1
; COMPUTE_PGM_RSRC2:TGID_Y_EN: 1
; COMPUTE_PGM_RSRC2:TGID_Z_EN: 1
; COMPUTE_PGM_RSRC2:TIDIG_COMP_CNT: 1
	.section	.text._ZL29rocblas_internal_gemmt_kernelIiLi16ELi32ELi8ELc84ELc84ELc85ELb0ELb0E19rocblas_complex_numIdEPKS1_S3_PS1_EviT_T9_T10_S5_lS7_S5_lS6_T11_S5_li,"axG",@progbits,_ZL29rocblas_internal_gemmt_kernelIiLi16ELi32ELi8ELc84ELc84ELc85ELb0ELb0E19rocblas_complex_numIdEPKS1_S3_PS1_EviT_T9_T10_S5_lS7_S5_lS6_T11_S5_li,comdat
	.globl	_ZL29rocblas_internal_gemmt_kernelIiLi16ELi32ELi8ELc84ELc84ELc85ELb0ELb0E19rocblas_complex_numIdEPKS1_S3_PS1_EviT_T9_T10_S5_lS7_S5_lS6_T11_S5_li ; -- Begin function _ZL29rocblas_internal_gemmt_kernelIiLi16ELi32ELi8ELc84ELc84ELc85ELb0ELb0E19rocblas_complex_numIdEPKS1_S3_PS1_EviT_T9_T10_S5_lS7_S5_lS6_T11_S5_li
	.p2align	8
	.type	_ZL29rocblas_internal_gemmt_kernelIiLi16ELi32ELi8ELc84ELc84ELc85ELb0ELb0E19rocblas_complex_numIdEPKS1_S3_PS1_EviT_T9_T10_S5_lS7_S5_lS6_T11_S5_li,@function
_ZL29rocblas_internal_gemmt_kernelIiLi16ELi32ELi8ELc84ELc84ELc85ELb0ELb0E19rocblas_complex_numIdEPKS1_S3_PS1_EviT_T9_T10_S5_lS7_S5_lS6_T11_S5_li: ; @_ZL29rocblas_internal_gemmt_kernelIiLi16ELi32ELi8ELc84ELc84ELc85ELb0ELb0E19rocblas_complex_numIdEPKS1_S3_PS1_EviT_T9_T10_S5_lS7_S5_lS6_T11_S5_li
; %bb.0:
	s_load_b128 s[12:15], s[0:1], 0x38
	s_wait_kmcnt 0x0
	s_load_b128 s[4:7], s[14:15], 0x0
	s_load_b128 s[16:19], s[0:1], 0x8
	s_wait_xcnt 0x0
	s_load_b64 s[14:15], s[0:1], 0x0
	s_wait_kmcnt 0x0
	v_cmp_eq_f64_e64 s2, s[4:5], 1.0
	v_cmp_eq_f64_e64 s33, s[6:7], 0
	s_load_b128 s[8:11], s[16:17], 0x0
	s_and_b32 s2, s2, s33
	s_delay_alu instid0(SALU_CYCLE_1)
	s_and_not1_b32 vcc_lo, exec_lo, s2
	s_mov_b32 s2, -1
	s_cbranch_vccnz .LBB112_3
; %bb.1:
	s_cmp_lg_u32 s15, 0
	s_cbranch_scc0 .LBB112_38
; %bb.2:
	s_wait_kmcnt 0x0
	v_cmp_neq_f64_e64 s2, s[8:9], 0
	v_cmp_neq_f64_e64 s3, s[10:11], 0
	s_or_b32 s2, s2, s3
.LBB112_3:
	s_delay_alu instid0(SALU_CYCLE_1)
	s_and_b32 vcc_lo, exec_lo, s2
	s_cbranch_vccz .LBB112_39
; %bb.4:
	s_load_b32 s27, s[0:1], 0x60
	s_bfe_u32 s2, ttmp6, 0x40014
	s_lshr_b32 s3, ttmp7, 16
	s_add_co_i32 s2, s2, 1
	s_wait_xcnt 0x0
	s_bfe_u32 s16, ttmp6, 0x40008
	s_mul_i32 s2, s3, s2
	s_getreg_b32 s34, hwreg(HW_REG_IB_STS2, 6, 4)
	s_add_co_i32 s16, s16, s2
	s_cmp_eq_u32 s34, 0
	s_mov_b32 s17, 0
	s_cselect_b32 s16, s3, s16
	s_wait_kmcnt 0x0
	s_cmp_ge_u32 s16, s27
	s_cbranch_scc1 .LBB112_39
; %bb.5:
	s_clause 0x2
	s_load_b32 s2, s[0:1], 0x18
	s_load_b32 s30, s[0:1], 0x30
	s_load_b96 s[24:26], s[0:1], 0x48
	v_and_b32_e32 v1, 0x3ff, v0
	v_bfe_u32 v9, v0, 10, 10
	s_clause 0x1
	s_load_b128 s[20:23], s[0:1], 0x20
	s_load_b64 s[28:29], s[0:1], 0x58
	s_wait_xcnt 0x0
	s_bfe_u32 s1, ttmp6, 0x4000c
	s_bfe_u32 s39, ttmp6, 0x40010
	s_add_co_i32 s1, s1, 1
	s_add_co_i32 s39, s39, 1
	v_and_b32_e32 v6, 7, v0
	v_lshl_add_u32 v0, v9, 4, v1
	s_and_b32 s0, ttmp6, 15
	s_mul_i32 s1, ttmp9, s1
	s_bfe_u32 s40, ttmp6, 0x40004
	s_add_co_i32 s0, s0, s1
	v_dual_lshrrev_b32 v5, 3, v0 :: v_dual_bitop2_b32 v8, 31, v0 bitop3:0x40
	v_lshrrev_b32_e32 v38, 5, v0
	s_wait_kmcnt 0x0
	s_ashr_i32 s3, s2, 31
	s_ashr_i32 s31, s30, 31
	;; [unrolled: 1-line block ×3, first 2 shown]
	s_mov_b32 s36, s26
	s_and_b32 s26, ttmp7, 0xffff
	v_cmp_neq_f64_e64 s35, s[8:9], 0
	s_mul_i32 s39, s26, s39
	v_cmp_neq_f64_e64 s38, s[10:11], 0
	s_add_co_i32 s40, s40, s39
	s_cmp_eq_u32 s34, 0
	v_cmp_neq_f64_e64 s34, s[4:5], 0
	s_cselect_b32 s0, ttmp9, s0
	s_cselect_b32 s1, s26, s40
	s_lshl_b32 s26, s0, 5
	s_lshl_b32 s0, s1, 5
	s_delay_alu instid0(SALU_CYCLE_1) | instskip(SKIP_2) | instid1(VALU_DEP_3)
	v_dual_add_nc_u32 v4, s0, v5 :: v_dual_bitop2_b32 v2, s26, v8 bitop3:0x54
	v_dual_mov_b32 v0, 0 :: v_dual_add_nc_u32 v16, s0, v9
	v_lshlrev_b32_e32 v10, 4, v6
	v_ashrrev_i32_e32 v3, 31, v2
	v_cmp_gt_i32_e32 vcc_lo, s14, v2
	s_delay_alu instid0(VALU_DEP_4) | instskip(NEXT) | instid1(VALU_DEP_4)
	v_dual_mov_b32 v7, v0 :: v_dual_lshlrev_b32 v40, 4, v1
	v_lshl_or_b32 v5, v5, 7, v10
	s_delay_alu instid0(VALU_DEP_4) | instskip(SKIP_1) | instid1(VALU_DEP_4)
	v_mul_u64_e32 v[18:19], s[2:3], v[2:3]
	v_lshlrev_b32_e32 v3, 4, v8
	v_mul_u64_e32 v[20:21], s[30:31], v[6:7]
	v_dual_add_nc_u32 v2, 16, v16 :: v_dual_ashrrev_i32 v17, 31, v16
	v_add_nc_u32_e32 v39, 0x1000, v5
	s_delay_alu instid0(VALU_DEP_4) | instskip(NEXT) | instid1(VALU_DEP_3)
	v_lshl_or_b32 v7, v38, 9, v3
	v_dual_ashrrev_i32 v5, 31, v4 :: v_dual_ashrrev_i32 v3, 31, v2
	s_delay_alu instid0(VALU_DEP_4)
	v_mul_u64_e32 v[10:11], s[36:37], v[16:17]
	v_add_nc_u32_e32 v8, s26, v1
	v_cmp_gt_i32_e64 s1, s14, v16
	v_cmp_gt_i32_e64 s0, s14, v4
	v_mul_u64_e32 v[12:13], s[36:37], v[2:3]
	s_or_b32 s38, s35, s38
	v_cmp_le_i32_e64 s2, v8, v16
	v_add_nc_u32_e32 v14, 16, v8
	s_cmp_gt_i32 s15, 0
	v_lshlrev_b64_e32 v[4:5], 4, v[4:5]
	s_cselect_b32 s39, -1, 0
	s_xor_b32 s3, s33, -1
	v_lshl_add_u32 v41, v9, 7, 0x1000
	s_and_b32 s33, s1, s2
	v_ashrrev_i32_e32 v9, 31, v8
	v_cmp_le_i32_e64 s2, v14, v16
	v_dual_mov_b32 v17, v0 :: v_dual_lshlrev_b32 v16, 4, v38
	s_or_b32 s26, s34, s3
	v_cmp_le_i32_e64 s3, v14, v2
	s_and_b32 s34, s1, s2
	v_cmp_gt_i32_e64 s1, s14, v2
	v_cmp_le_i32_e64 s2, v8, v2
	v_lshl_add_u64 v[2:3], v[18:19], 4, v[16:17]
	v_ashrrev_i32_e32 v15, 31, v14
	v_lshl_add_u64 v[4:5], v[20:21], 4, v[4:5]
	s_and_b32 s35, s1, s3
	s_and_b32 s14, s1, s2
	v_add_nc_u64_e32 v[16:17], s[18:19], v[2:3]
	s_lshl_b64 s[2:3], s[20:21], 4
	v_add_nc_u64_e32 v[18:19], s[22:23], v[4:5]
	s_lshl_b64 s[12:13], s[12:13], 4
	s_and_b32 s20, s38, s39
	s_lshl_b64 s[18:19], s[30:31], 7
	s_xor_b32 s21, vcc_lo, -1
	s_xor_b32 s22, s0, -1
	s_branch .LBB112_7
.LBB112_6:                              ;   in Loop: Header=BB112_7 Depth=1
	s_wait_xcnt 0x0
	s_or_b32 exec_lo, exec_lo, s0
	s_add_co_i32 s16, s16, 0x10000
	s_delay_alu instid0(SALU_CYCLE_1)
	s_cmp_lt_u32 s16, s27
	s_cbranch_scc0 .LBB112_39
.LBB112_7:                              ; =>This Loop Header: Depth=1
                                        ;     Child Loop BB112_10 Depth 2
	v_mov_b64_e32 v[30:31], 0
	v_mov_b64_e32 v[32:33], 0
	;; [unrolled: 1-line block ×8, first 2 shown]
	s_and_not1_b32 vcc_lo, exec_lo, s20
	s_cbranch_vccnz .LBB112_18
; %bb.8:                                ;   in Loop: Header=BB112_7 Depth=1
	v_mad_nc_u64_u32 v[4:5], s2, s16, v[16:17]
	v_mad_nc_u64_u32 v[20:21], s12, s16, v[18:19]
	v_mov_b64_e32 v[34:35], 0
	v_mov_b64_e32 v[36:37], 0
	;; [unrolled: 1-line block ×8, first 2 shown]
	s_mov_b32 s0, 0
	v_mad_u32 v5, s3, s16, v5
	v_mad_u32 v21, s13, s16, v21
	s_branch .LBB112_10
.LBB112_9:                              ;   in Loop: Header=BB112_10 Depth=2
	s_wait_xcnt 0x0
	s_or_b32 exec_lo, exec_lo, s1
	s_wait_dscnt 0x0
	s_barrier_signal -1
	s_barrier_wait -1
	ds_load_b128 v[42:45], v41
	ds_load_b128 v[46:49], v41 offset:16
	ds_load_b128 v[50:53], v41 offset:32
	;; [unrolled: 1-line block ×3, first 2 shown]
	ds_load_b128 v[58:61], v40
	v_add_nc_u64_e32 v[4:5], 0x80, v[4:5]
	v_add_nc_u64_e32 v[20:21], s[18:19], v[20:21]
	s_add_co_i32 s0, s0, 8
	s_delay_alu instid0(SALU_CYCLE_1) | instskip(SKIP_3) | instid1(VALU_DEP_2)
	s_cmp_lt_i32 s0, s15
	s_wait_dscnt 0x0
	v_mul_f64_e32 v[2:3], v[44:45], v[60:61]
	v_mul_f64_e32 v[62:63], v[42:43], v[60:61]
	v_fma_f64 v[2:3], v[42:43], v[58:59], -v[2:3]
	s_delay_alu instid0(VALU_DEP_2) | instskip(NEXT) | instid1(VALU_DEP_2)
	v_fmac_f64_e32 v[62:63], v[44:45], v[58:59]
	v_add_f64_e32 v[2:3], v[30:31], v[2:3]
	s_delay_alu instid0(VALU_DEP_2) | instskip(SKIP_3) | instid1(VALU_DEP_1)
	v_add_f64_e32 v[62:63], v[62:63], v[32:33]
	ds_load_b128 v[30:33], v40 offset:256
	s_wait_dscnt 0x0
	v_mul_f64_e32 v[64:65], v[44:45], v[32:33]
	v_fma_f64 v[64:65], v[42:43], v[30:31], -v[64:65]
	v_mul_f64_e32 v[42:43], v[42:43], v[32:33]
	s_delay_alu instid0(VALU_DEP_1) | instskip(NEXT) | instid1(VALU_DEP_3)
	v_fmac_f64_e32 v[42:43], v[44:45], v[30:31]
	v_add_f64_e32 v[44:45], v[22:23], v[64:65]
	s_delay_alu instid0(VALU_DEP_2) | instskip(SKIP_4) | instid1(VALU_DEP_2)
	v_add_f64_e32 v[42:43], v[42:43], v[24:25]
	ds_load_b128 v[22:25], v41 offset:2048
	s_wait_dscnt 0x0
	v_mul_f64_e32 v[64:65], v[24:25], v[60:61]
	v_mul_f64_e32 v[60:61], v[22:23], v[60:61]
	v_fma_f64 v[64:65], v[22:23], v[58:59], -v[64:65]
	s_delay_alu instid0(VALU_DEP_2) | instskip(NEXT) | instid1(VALU_DEP_2)
	v_fmac_f64_e32 v[60:61], v[24:25], v[58:59]
	v_add_f64_e32 v[58:59], v[26:27], v[64:65]
	v_mul_f64_e32 v[26:27], v[24:25], v[32:33]
	s_delay_alu instid0(VALU_DEP_3) | instskip(NEXT) | instid1(VALU_DEP_2)
	v_add_f64_e32 v[60:61], v[60:61], v[28:29]
	v_fma_f64 v[26:27], v[22:23], v[30:31], -v[26:27]
	v_mul_f64_e32 v[22:23], v[22:23], v[32:33]
	s_delay_alu instid0(VALU_DEP_2) | instskip(NEXT) | instid1(VALU_DEP_2)
	v_add_f64_e32 v[36:37], v[36:37], v[26:27]
	v_fmac_f64_e32 v[22:23], v[24:25], v[30:31]
	s_delay_alu instid0(VALU_DEP_1) | instskip(SKIP_4) | instid1(VALU_DEP_2)
	v_add_f64_e32 v[34:35], v[22:23], v[34:35]
	ds_load_b128 v[22:25], v40 offset:512
	s_wait_dscnt 0x0
	v_mul_f64_e32 v[26:27], v[48:49], v[24:25]
	v_mul_f64_e32 v[28:29], v[46:47], v[24:25]
	v_fma_f64 v[26:27], v[46:47], v[22:23], -v[26:27]
	s_delay_alu instid0(VALU_DEP_2) | instskip(NEXT) | instid1(VALU_DEP_2)
	v_fmac_f64_e32 v[28:29], v[48:49], v[22:23]
	v_add_f64_e32 v[2:3], v[2:3], v[26:27]
	s_delay_alu instid0(VALU_DEP_2) | instskip(SKIP_4) | instid1(VALU_DEP_2)
	v_add_f64_e32 v[62:63], v[28:29], v[62:63]
	ds_load_b128 v[26:29], v40 offset:768
	s_wait_dscnt 0x0
	v_mul_f64_e32 v[30:31], v[48:49], v[28:29]
	v_mul_f64_e32 v[32:33], v[46:47], v[28:29]
	v_fma_f64 v[30:31], v[46:47], v[26:27], -v[30:31]
	s_delay_alu instid0(VALU_DEP_2) | instskip(NEXT) | instid1(VALU_DEP_2)
	v_fmac_f64_e32 v[32:33], v[48:49], v[26:27]
	v_add_f64_e32 v[44:45], v[44:45], v[30:31]
	s_delay_alu instid0(VALU_DEP_2) | instskip(SKIP_4) | instid1(VALU_DEP_2)
	v_add_f64_e32 v[42:43], v[32:33], v[42:43]
	ds_load_b128 v[30:33], v41 offset:2064
	s_wait_dscnt 0x0
	v_mul_f64_e32 v[46:47], v[32:33], v[24:25]
	v_mul_f64_e32 v[24:25], v[30:31], v[24:25]
	v_fma_f64 v[46:47], v[30:31], v[22:23], -v[46:47]
	s_delay_alu instid0(VALU_DEP_2) | instskip(SKIP_1) | instid1(VALU_DEP_3)
	v_fmac_f64_e32 v[24:25], v[32:33], v[22:23]
	v_mul_f64_e32 v[22:23], v[32:33], v[28:29]
	v_add_f64_e32 v[46:47], v[58:59], v[46:47]
	s_delay_alu instid0(VALU_DEP_3) | instskip(SKIP_1) | instid1(VALU_DEP_4)
	v_add_f64_e32 v[48:49], v[24:25], v[60:61]
	v_mul_f64_e32 v[24:25], v[30:31], v[28:29]
	v_fma_f64 v[22:23], v[30:31], v[26:27], -v[22:23]
	s_delay_alu instid0(VALU_DEP_2) | instskip(NEXT) | instid1(VALU_DEP_2)
	v_fmac_f64_e32 v[24:25], v[32:33], v[26:27]
	v_add_f64_e32 v[36:37], v[36:37], v[22:23]
	s_delay_alu instid0(VALU_DEP_2) | instskip(SKIP_4) | instid1(VALU_DEP_2)
	v_add_f64_e32 v[34:35], v[24:25], v[34:35]
	ds_load_b128 v[22:25], v40 offset:1024
	s_wait_dscnt 0x0
	v_mul_f64_e32 v[26:27], v[52:53], v[24:25]
	v_mul_f64_e32 v[28:29], v[50:51], v[24:25]
	v_fma_f64 v[26:27], v[50:51], v[22:23], -v[26:27]
	s_delay_alu instid0(VALU_DEP_2) | instskip(NEXT) | instid1(VALU_DEP_2)
	v_fmac_f64_e32 v[28:29], v[52:53], v[22:23]
	v_add_f64_e32 v[2:3], v[2:3], v[26:27]
	s_delay_alu instid0(VALU_DEP_2) | instskip(SKIP_4) | instid1(VALU_DEP_2)
	v_add_f64_e32 v[58:59], v[28:29], v[62:63]
	ds_load_b128 v[26:29], v40 offset:1280
	s_wait_dscnt 0x0
	v_mul_f64_e32 v[30:31], v[52:53], v[28:29]
	;; [unrolled: 10-line block ×3, first 2 shown]
	v_mul_f64_e32 v[24:25], v[30:31], v[24:25]
	v_fma_f64 v[50:51], v[30:31], v[22:23], -v[50:51]
	s_delay_alu instid0(VALU_DEP_2) | instskip(SKIP_1) | instid1(VALU_DEP_3)
	v_fmac_f64_e32 v[24:25], v[32:33], v[22:23]
	v_mul_f64_e32 v[22:23], v[32:33], v[28:29]
	v_add_f64_e32 v[46:47], v[46:47], v[50:51]
	s_delay_alu instid0(VALU_DEP_3) | instskip(SKIP_1) | instid1(VALU_DEP_4)
	v_add_f64_e32 v[48:49], v[24:25], v[48:49]
	v_mul_f64_e32 v[24:25], v[30:31], v[28:29]
	v_fma_f64 v[22:23], v[30:31], v[26:27], -v[22:23]
	s_delay_alu instid0(VALU_DEP_2) | instskip(NEXT) | instid1(VALU_DEP_2)
	v_fmac_f64_e32 v[24:25], v[32:33], v[26:27]
	v_add_f64_e32 v[36:37], v[36:37], v[22:23]
	s_delay_alu instid0(VALU_DEP_2) | instskip(SKIP_4) | instid1(VALU_DEP_2)
	v_add_f64_e32 v[34:35], v[24:25], v[34:35]
	ds_load_b128 v[22:25], v40 offset:1536
	s_wait_dscnt 0x0
	v_mul_f64_e32 v[26:27], v[56:57], v[24:25]
	v_mul_f64_e32 v[28:29], v[54:55], v[24:25]
	v_fma_f64 v[26:27], v[54:55], v[22:23], -v[26:27]
	s_delay_alu instid0(VALU_DEP_2) | instskip(NEXT) | instid1(VALU_DEP_2)
	v_fmac_f64_e32 v[28:29], v[56:57], v[22:23]
	v_add_f64_e32 v[2:3], v[2:3], v[26:27]
	s_delay_alu instid0(VALU_DEP_2) | instskip(SKIP_4) | instid1(VALU_DEP_2)
	v_add_f64_e32 v[50:51], v[28:29], v[58:59]
	ds_load_b128 v[26:29], v40 offset:1792
	s_wait_dscnt 0x0
	v_mul_f64_e32 v[30:31], v[56:57], v[28:29]
	;; [unrolled: 10-line block ×3, first 2 shown]
	v_mul_f64_e32 v[24:25], v[30:31], v[24:25]
	v_fma_f64 v[52:53], v[30:31], v[22:23], -v[52:53]
	s_delay_alu instid0(VALU_DEP_2) | instskip(SKIP_1) | instid1(VALU_DEP_3)
	v_fmac_f64_e32 v[24:25], v[32:33], v[22:23]
	v_mul_f64_e32 v[22:23], v[32:33], v[28:29]
	v_add_f64_e32 v[46:47], v[46:47], v[52:53]
	s_delay_alu instid0(VALU_DEP_3) | instskip(SKIP_1) | instid1(VALU_DEP_4)
	v_add_f64_e32 v[48:49], v[24:25], v[48:49]
	v_mul_f64_e32 v[24:25], v[30:31], v[28:29]
	v_fma_f64 v[22:23], v[30:31], v[26:27], -v[22:23]
	s_delay_alu instid0(VALU_DEP_2) | instskip(NEXT) | instid1(VALU_DEP_2)
	v_fmac_f64_e32 v[24:25], v[32:33], v[26:27]
	v_add_f64_e32 v[36:37], v[36:37], v[22:23]
	s_delay_alu instid0(VALU_DEP_2)
	v_add_f64_e32 v[34:35], v[24:25], v[34:35]
	ds_load_b128 v[22:25], v41 offset:64
	ds_load_b128 v[26:29], v40 offset:2048
	s_wait_dscnt 0x0
	v_mul_f64_e32 v[30:31], v[24:25], v[28:29]
	v_mul_f64_e32 v[32:33], v[22:23], v[28:29]
	s_delay_alu instid0(VALU_DEP_2) | instskip(NEXT) | instid1(VALU_DEP_2)
	v_fma_f64 v[30:31], v[22:23], v[26:27], -v[30:31]
	v_fmac_f64_e32 v[32:33], v[24:25], v[26:27]
	s_delay_alu instid0(VALU_DEP_2) | instskip(NEXT) | instid1(VALU_DEP_2)
	v_add_f64_e32 v[2:3], v[2:3], v[30:31]
	v_add_f64_e32 v[50:51], v[32:33], v[50:51]
	ds_load_b128 v[30:33], v40 offset:2304
	s_wait_dscnt 0x0
	v_mul_f64_e32 v[52:53], v[24:25], v[32:33]
	s_delay_alu instid0(VALU_DEP_1) | instskip(SKIP_1) | instid1(VALU_DEP_2)
	v_fma_f64 v[52:53], v[22:23], v[30:31], -v[52:53]
	v_mul_f64_e32 v[22:23], v[22:23], v[32:33]
	v_add_f64_e32 v[44:45], v[44:45], v[52:53]
	s_delay_alu instid0(VALU_DEP_2) | instskip(NEXT) | instid1(VALU_DEP_1)
	v_fmac_f64_e32 v[22:23], v[24:25], v[30:31]
	v_add_f64_e32 v[42:43], v[22:23], v[42:43]
	ds_load_b128 v[22:25], v41 offset:2112
	s_wait_dscnt 0x0
	v_mul_f64_e32 v[52:53], v[24:25], v[28:29]
	v_mul_f64_e32 v[28:29], v[22:23], v[28:29]
	s_delay_alu instid0(VALU_DEP_2) | instskip(NEXT) | instid1(VALU_DEP_2)
	v_fma_f64 v[52:53], v[22:23], v[26:27], -v[52:53]
	v_fmac_f64_e32 v[28:29], v[24:25], v[26:27]
	v_mul_f64_e32 v[26:27], v[24:25], v[32:33]
	s_delay_alu instid0(VALU_DEP_3) | instskip(NEXT) | instid1(VALU_DEP_3)
	v_add_f64_e32 v[46:47], v[46:47], v[52:53]
	v_add_f64_e32 v[48:49], v[28:29], v[48:49]
	s_delay_alu instid0(VALU_DEP_3) | instskip(SKIP_1) | instid1(VALU_DEP_2)
	v_fma_f64 v[26:27], v[22:23], v[30:31], -v[26:27]
	v_mul_f64_e32 v[22:23], v[22:23], v[32:33]
	v_add_f64_e32 v[36:37], v[36:37], v[26:27]
	s_delay_alu instid0(VALU_DEP_2) | instskip(NEXT) | instid1(VALU_DEP_1)
	v_fmac_f64_e32 v[22:23], v[24:25], v[30:31]
	v_add_f64_e32 v[34:35], v[22:23], v[34:35]
	ds_load_b128 v[22:25], v41 offset:80
	ds_load_b128 v[26:29], v40 offset:2560
	s_wait_dscnt 0x0
	v_mul_f64_e32 v[30:31], v[24:25], v[28:29]
	v_mul_f64_e32 v[32:33], v[22:23], v[28:29]
	s_delay_alu instid0(VALU_DEP_2) | instskip(NEXT) | instid1(VALU_DEP_2)
	v_fma_f64 v[30:31], v[22:23], v[26:27], -v[30:31]
	v_fmac_f64_e32 v[32:33], v[24:25], v[26:27]
	s_delay_alu instid0(VALU_DEP_2) | instskip(NEXT) | instid1(VALU_DEP_2)
	v_add_f64_e32 v[2:3], v[2:3], v[30:31]
	v_add_f64_e32 v[50:51], v[32:33], v[50:51]
	ds_load_b128 v[30:33], v40 offset:2816
	s_wait_dscnt 0x0
	v_mul_f64_e32 v[52:53], v[24:25], v[32:33]
	s_delay_alu instid0(VALU_DEP_1) | instskip(SKIP_1) | instid1(VALU_DEP_2)
	v_fma_f64 v[52:53], v[22:23], v[30:31], -v[52:53]
	v_mul_f64_e32 v[22:23], v[22:23], v[32:33]
	v_add_f64_e32 v[44:45], v[44:45], v[52:53]
	s_delay_alu instid0(VALU_DEP_2) | instskip(NEXT) | instid1(VALU_DEP_1)
	v_fmac_f64_e32 v[22:23], v[24:25], v[30:31]
	v_add_f64_e32 v[42:43], v[22:23], v[42:43]
	ds_load_b128 v[22:25], v41 offset:2128
	s_wait_dscnt 0x0
	v_mul_f64_e32 v[52:53], v[24:25], v[28:29]
	v_mul_f64_e32 v[28:29], v[22:23], v[28:29]
	s_delay_alu instid0(VALU_DEP_2) | instskip(NEXT) | instid1(VALU_DEP_2)
	v_fma_f64 v[52:53], v[22:23], v[26:27], -v[52:53]
	v_fmac_f64_e32 v[28:29], v[24:25], v[26:27]
	v_mul_f64_e32 v[26:27], v[24:25], v[32:33]
	s_delay_alu instid0(VALU_DEP_3) | instskip(NEXT) | instid1(VALU_DEP_3)
	v_add_f64_e32 v[46:47], v[46:47], v[52:53]
	v_add_f64_e32 v[48:49], v[28:29], v[48:49]
	s_delay_alu instid0(VALU_DEP_3) | instskip(SKIP_1) | instid1(VALU_DEP_2)
	v_fma_f64 v[26:27], v[22:23], v[30:31], -v[26:27]
	v_mul_f64_e32 v[22:23], v[22:23], v[32:33]
	v_add_f64_e32 v[36:37], v[36:37], v[26:27]
	s_delay_alu instid0(VALU_DEP_2) | instskip(NEXT) | instid1(VALU_DEP_1)
	v_fmac_f64_e32 v[22:23], v[24:25], v[30:31]
	;; [unrolled: 39-line block ×3, first 2 shown]
	v_add_f64_e32 v[54:55], v[22:23], v[34:35]
	ds_load_b128 v[22:25], v41 offset:112
	ds_load_b128 v[26:29], v40 offset:3584
	;; [unrolled: 1-line block ×3, first 2 shown]
	s_wait_dscnt 0x1
	v_mul_f64_e32 v[30:31], v[24:25], v[28:29]
	v_mul_f64_e32 v[32:33], v[22:23], v[28:29]
	s_delay_alu instid0(VALU_DEP_2) | instskip(NEXT) | instid1(VALU_DEP_2)
	v_fma_f64 v[30:31], v[22:23], v[26:27], -v[30:31]
	v_fmac_f64_e32 v[32:33], v[24:25], v[26:27]
	s_delay_alu instid0(VALU_DEP_2) | instskip(NEXT) | instid1(VALU_DEP_2)
	v_add_f64_e32 v[30:31], v[2:3], v[30:31]
	v_add_f64_e32 v[32:33], v[32:33], v[50:51]
	s_wait_dscnt 0x0
	v_mul_f64_e32 v[2:3], v[24:25], v[36:37]
	v_mul_f64_e32 v[50:51], v[22:23], v[36:37]
	s_delay_alu instid0(VALU_DEP_2) | instskip(NEXT) | instid1(VALU_DEP_2)
	v_fma_f64 v[2:3], v[22:23], v[34:35], -v[2:3]
	v_fmac_f64_e32 v[50:51], v[24:25], v[34:35]
	s_delay_alu instid0(VALU_DEP_2) | instskip(NEXT) | instid1(VALU_DEP_2)
	v_add_f64_e32 v[22:23], v[44:45], v[2:3]
	v_add_f64_e32 v[24:25], v[50:51], v[42:43]
	ds_load_b128 v[42:45], v41 offset:2160
	s_wait_dscnt 0x0
	s_barrier_signal -1
	s_barrier_wait -1
	v_mul_f64_e32 v[2:3], v[44:45], v[28:29]
	v_mul_f64_e32 v[28:29], v[42:43], v[28:29]
	s_delay_alu instid0(VALU_DEP_2) | instskip(NEXT) | instid1(VALU_DEP_2)
	v_fma_f64 v[2:3], v[42:43], v[26:27], -v[2:3]
	v_fmac_f64_e32 v[28:29], v[44:45], v[26:27]
	s_delay_alu instid0(VALU_DEP_2) | instskip(SKIP_1) | instid1(VALU_DEP_3)
	v_add_f64_e32 v[26:27], v[46:47], v[2:3]
	v_mul_f64_e32 v[2:3], v[44:45], v[36:37]
	v_add_f64_e32 v[28:29], v[28:29], v[48:49]
	s_delay_alu instid0(VALU_DEP_2) | instskip(SKIP_1) | instid1(VALU_DEP_2)
	v_fma_f64 v[2:3], v[42:43], v[34:35], -v[2:3]
	v_mul_f64_e32 v[42:43], v[42:43], v[36:37]
	v_add_f64_e32 v[36:37], v[52:53], v[2:3]
	s_delay_alu instid0(VALU_DEP_2) | instskip(NEXT) | instid1(VALU_DEP_1)
	v_fmac_f64_e32 v[42:43], v[44:45], v[34:35]
	v_add_f64_e32 v[34:35], v[42:43], v[54:55]
	s_cbranch_scc0 .LBB112_18
.LBB112_10:                             ;   Parent Loop BB112_7 Depth=1
                                        ; =>  This Inner Loop Header: Depth=2
	v_add_nc_u32_e32 v1, s0, v38
	s_delay_alu instid0(VALU_DEP_1) | instskip(SKIP_1) | instid1(SALU_CYCLE_1)
	v_cmp_le_i32_e32 vcc_lo, s15, v1
	s_or_b32 s1, s21, vcc_lo
	s_and_saveexec_b32 s23, s1
	s_delay_alu instid0(SALU_CYCLE_1)
	s_xor_b32 s1, exec_lo, s23
; %bb.11:                               ;   in Loop: Header=BB112_10 Depth=2
	v_dual_mov_b32 v1, v0 :: v_dual_mov_b32 v2, v0
	v_mov_b32_e32 v3, v0
	ds_store_b128 v7, v[0:3]
; %bb.12:                               ;   in Loop: Header=BB112_10 Depth=2
	s_and_not1_saveexec_b32 s1, s1
	s_cbranch_execz .LBB112_14
; %bb.13:                               ;   in Loop: Header=BB112_10 Depth=2
	global_load_b128 v[42:45], v[4:5], off
	s_wait_loadcnt 0x0
	ds_store_2addr_b64 v7, v[42:43], v[44:45] offset1:1
.LBB112_14:                             ;   in Loop: Header=BB112_10 Depth=2
	s_wait_xcnt 0x0
	s_or_b32 exec_lo, exec_lo, s1
	v_add_nc_u32_e32 v1, s0, v6
	s_delay_alu instid0(VALU_DEP_1) | instskip(SKIP_1) | instid1(SALU_CYCLE_1)
	v_cmp_le_i32_e32 vcc_lo, s15, v1
	s_or_b32 s1, vcc_lo, s22
	s_and_saveexec_b32 s23, s1
	s_delay_alu instid0(SALU_CYCLE_1)
	s_xor_b32 s1, exec_lo, s23
; %bb.15:                               ;   in Loop: Header=BB112_10 Depth=2
	v_dual_mov_b32 v1, v0 :: v_dual_mov_b32 v2, v0
	v_mov_b32_e32 v3, v0
	ds_store_b128 v39, v[0:3]
; %bb.16:                               ;   in Loop: Header=BB112_10 Depth=2
	s_and_not1_saveexec_b32 s1, s1
	s_cbranch_execz .LBB112_9
; %bb.17:                               ;   in Loop: Header=BB112_10 Depth=2
	global_load_b128 v[42:45], v[20:21], off
	s_wait_loadcnt 0x0
	ds_store_2addr_b64 v39, v[42:43], v[44:45] offset1:1
	s_branch .LBB112_9
.LBB112_18:                             ;   in Loop: Header=BB112_7 Depth=1
	s_mul_u64 s[0:1], s[28:29], s[16:17]
	s_delay_alu instid0(SALU_CYCLE_1) | instskip(NEXT) | instid1(SALU_CYCLE_1)
	s_lshl_b64 s[0:1], s[0:1], 4
	s_add_nc_u64 s[0:1], s[24:25], s[0:1]
	s_delay_alu instid0(SALU_CYCLE_1)
	v_lshl_add_u64 v[20:21], v[10:11], 4, s[0:1]
	s_and_saveexec_b32 s23, s33
	s_cbranch_execz .LBB112_23
; %bb.19:                               ;   in Loop: Header=BB112_7 Depth=1
	v_mul_f64_e32 v[2:3], s[10:11], v[32:33]
	v_mul_f64_e32 v[4:5], s[8:9], v[32:33]
	s_and_b32 vcc_lo, exec_lo, s26
	s_mov_b32 s30, -1
	s_delay_alu instid0(VALU_DEP_2) | instskip(NEXT) | instid1(VALU_DEP_2)
	v_fma_f64 v[2:3], s[8:9], v[30:31], -v[2:3]
	v_fmac_f64_e32 v[4:5], s[10:11], v[30:31]
	v_lshl_add_u64 v[30:31], v[8:9], 4, v[20:21]
	s_cbranch_vccz .LBB112_21
; %bb.20:                               ;   in Loop: Header=BB112_7 Depth=1
	global_load_b128 v[42:45], v[30:31], off
	s_mov_b32 s30, 0
	s_wait_loadcnt 0x0
	v_mul_f64_e32 v[32:33], s[6:7], v[44:45]
	v_mul_f64_e32 v[44:45], s[4:5], v[44:45]
	s_delay_alu instid0(VALU_DEP_2) | instskip(NEXT) | instid1(VALU_DEP_2)
	v_fma_f64 v[32:33], s[4:5], v[42:43], -v[32:33]
	v_fmac_f64_e32 v[44:45], s[6:7], v[42:43]
	s_delay_alu instid0(VALU_DEP_2) | instskip(NEXT) | instid1(VALU_DEP_2)
	v_add_f64_e32 v[42:43], v[2:3], v[32:33]
	v_add_f64_e32 v[44:45], v[4:5], v[44:45]
	global_store_b128 v[30:31], v[42:45], off
.LBB112_21:                             ;   in Loop: Header=BB112_7 Depth=1
	s_and_not1_b32 vcc_lo, exec_lo, s30
	s_cbranch_vccnz .LBB112_23
; %bb.22:                               ;   in Loop: Header=BB112_7 Depth=1
	global_store_b128 v[30:31], v[2:5], off
.LBB112_23:                             ;   in Loop: Header=BB112_7 Depth=1
	s_wait_xcnt 0x0
	s_or_b32 exec_lo, exec_lo, s23
	s_and_saveexec_b32 s23, s34
	s_cbranch_execz .LBB112_28
; %bb.24:                               ;   in Loop: Header=BB112_7 Depth=1
	v_mul_f64_e32 v[2:3], s[10:11], v[24:25]
	v_mul_f64_e32 v[4:5], s[8:9], v[24:25]
	v_lshl_add_u64 v[20:21], v[14:15], 4, v[20:21]
	s_and_not1_b32 vcc_lo, exec_lo, s26
	s_mov_b32 s30, -1
	s_delay_alu instid0(VALU_DEP_3) | instskip(NEXT) | instid1(VALU_DEP_3)
	v_fma_f64 v[2:3], s[8:9], v[22:23], -v[2:3]
	v_fmac_f64_e32 v[4:5], s[10:11], v[22:23]
	s_cbranch_vccnz .LBB112_26
; %bb.25:                               ;   in Loop: Header=BB112_7 Depth=1
	global_load_b128 v[22:25], v[20:21], off
	s_mov_b32 s30, 0
	s_wait_loadcnt 0x0
	v_mul_f64_e32 v[30:31], s[6:7], v[24:25]
	v_mul_f64_e32 v[24:25], s[4:5], v[24:25]
	s_delay_alu instid0(VALU_DEP_2) | instskip(NEXT) | instid1(VALU_DEP_2)
	v_fma_f64 v[30:31], s[4:5], v[22:23], -v[30:31]
	v_fmac_f64_e32 v[24:25], s[6:7], v[22:23]
	s_delay_alu instid0(VALU_DEP_2) | instskip(NEXT) | instid1(VALU_DEP_2)
	v_add_f64_e32 v[22:23], v[2:3], v[30:31]
	v_add_f64_e32 v[24:25], v[4:5], v[24:25]
	global_store_b128 v[20:21], v[22:25], off
.LBB112_26:                             ;   in Loop: Header=BB112_7 Depth=1
	s_and_not1_b32 vcc_lo, exec_lo, s30
	s_cbranch_vccnz .LBB112_28
; %bb.27:                               ;   in Loop: Header=BB112_7 Depth=1
	global_store_b128 v[20:21], v[2:5], off
.LBB112_28:                             ;   in Loop: Header=BB112_7 Depth=1
	s_wait_xcnt 0x0
	s_or_b32 exec_lo, exec_lo, s23
	v_lshl_add_u64 v[20:21], v[12:13], 4, s[0:1]
	s_and_saveexec_b32 s0, s14
	s_cbranch_execz .LBB112_33
; %bb.29:                               ;   in Loop: Header=BB112_7 Depth=1
	v_mul_f64_e32 v[2:3], s[10:11], v[28:29]
	v_mul_f64_e32 v[4:5], s[8:9], v[28:29]
	v_lshl_add_u64 v[22:23], v[8:9], 4, v[20:21]
	s_and_not1_b32 vcc_lo, exec_lo, s26
	s_mov_b32 s1, -1
	s_delay_alu instid0(VALU_DEP_3) | instskip(NEXT) | instid1(VALU_DEP_3)
	v_fma_f64 v[2:3], s[8:9], v[26:27], -v[2:3]
	v_fmac_f64_e32 v[4:5], s[10:11], v[26:27]
	s_cbranch_vccnz .LBB112_31
; %bb.30:                               ;   in Loop: Header=BB112_7 Depth=1
	global_load_b128 v[24:27], v[22:23], off
	s_mov_b32 s1, 0
	s_wait_loadcnt 0x0
	v_mul_f64_e32 v[28:29], s[6:7], v[26:27]
	v_mul_f64_e32 v[26:27], s[4:5], v[26:27]
	s_delay_alu instid0(VALU_DEP_2) | instskip(NEXT) | instid1(VALU_DEP_2)
	v_fma_f64 v[28:29], s[4:5], v[24:25], -v[28:29]
	v_fmac_f64_e32 v[26:27], s[6:7], v[24:25]
	s_delay_alu instid0(VALU_DEP_2) | instskip(NEXT) | instid1(VALU_DEP_2)
	v_add_f64_e32 v[24:25], v[2:3], v[28:29]
	v_add_f64_e32 v[26:27], v[4:5], v[26:27]
	global_store_b128 v[22:23], v[24:27], off
.LBB112_31:                             ;   in Loop: Header=BB112_7 Depth=1
	s_and_not1_b32 vcc_lo, exec_lo, s1
	s_cbranch_vccnz .LBB112_33
; %bb.32:                               ;   in Loop: Header=BB112_7 Depth=1
	global_store_b128 v[22:23], v[2:5], off
.LBB112_33:                             ;   in Loop: Header=BB112_7 Depth=1
	s_wait_xcnt 0x0
	s_or_b32 exec_lo, exec_lo, s0
	s_and_saveexec_b32 s0, s35
	s_cbranch_execz .LBB112_6
; %bb.34:                               ;   in Loop: Header=BB112_7 Depth=1
	s_delay_alu instid0(VALU_DEP_3) | instskip(SKIP_4) | instid1(VALU_DEP_3)
	v_mul_f64_e32 v[2:3], s[10:11], v[34:35]
	v_mul_f64_e32 v[4:5], s[8:9], v[34:35]
	v_lshl_add_u64 v[20:21], v[14:15], 4, v[20:21]
	s_and_not1_b32 vcc_lo, exec_lo, s26
	s_mov_b32 s1, -1
	v_fma_f64 v[2:3], s[8:9], v[36:37], -v[2:3]
	s_delay_alu instid0(VALU_DEP_3)
	v_fmac_f64_e32 v[4:5], s[10:11], v[36:37]
	s_cbranch_vccnz .LBB112_36
; %bb.35:                               ;   in Loop: Header=BB112_7 Depth=1
	global_load_b128 v[22:25], v[20:21], off
	s_mov_b32 s1, 0
	s_wait_loadcnt 0x0
	v_mul_f64_e32 v[26:27], s[6:7], v[24:25]
	v_mul_f64_e32 v[24:25], s[4:5], v[24:25]
	s_delay_alu instid0(VALU_DEP_2) | instskip(NEXT) | instid1(VALU_DEP_2)
	v_fma_f64 v[26:27], s[4:5], v[22:23], -v[26:27]
	v_fmac_f64_e32 v[24:25], s[6:7], v[22:23]
	s_delay_alu instid0(VALU_DEP_2) | instskip(NEXT) | instid1(VALU_DEP_2)
	v_add_f64_e32 v[22:23], v[2:3], v[26:27]
	v_add_f64_e32 v[24:25], v[4:5], v[24:25]
	global_store_b128 v[20:21], v[22:25], off
.LBB112_36:                             ;   in Loop: Header=BB112_7 Depth=1
	s_and_not1_b32 vcc_lo, exec_lo, s1
	s_cbranch_vccnz .LBB112_6
; %bb.37:                               ;   in Loop: Header=BB112_7 Depth=1
	global_store_b128 v[20:21], v[2:5], off
	s_branch .LBB112_6
.LBB112_38:
.LBB112_39:
	s_sendmsg sendmsg(MSG_DEALLOC_VGPRS)
	s_endpgm
	.section	.rodata,"a",@progbits
	.p2align	6, 0x0
	.amdhsa_kernel _ZL29rocblas_internal_gemmt_kernelIiLi16ELi32ELi8ELc84ELc84ELc85ELb0ELb0E19rocblas_complex_numIdEPKS1_S3_PS1_EviT_T9_T10_S5_lS7_S5_lS6_T11_S5_li
		.amdhsa_group_segment_fixed_size 8192
		.amdhsa_private_segment_fixed_size 0
		.amdhsa_kernarg_size 100
		.amdhsa_user_sgpr_count 2
		.amdhsa_user_sgpr_dispatch_ptr 0
		.amdhsa_user_sgpr_queue_ptr 0
		.amdhsa_user_sgpr_kernarg_segment_ptr 1
		.amdhsa_user_sgpr_dispatch_id 0
		.amdhsa_user_sgpr_kernarg_preload_length 0
		.amdhsa_user_sgpr_kernarg_preload_offset 0
		.amdhsa_user_sgpr_private_segment_size 0
		.amdhsa_wavefront_size32 1
		.amdhsa_uses_dynamic_stack 0
		.amdhsa_enable_private_segment 0
		.amdhsa_system_sgpr_workgroup_id_x 1
		.amdhsa_system_sgpr_workgroup_id_y 1
		.amdhsa_system_sgpr_workgroup_id_z 1
		.amdhsa_system_sgpr_workgroup_info 0
		.amdhsa_system_vgpr_workitem_id 1
		.amdhsa_next_free_vgpr 66
		.amdhsa_next_free_sgpr 41
		.amdhsa_named_barrier_count 0
		.amdhsa_reserve_vcc 1
		.amdhsa_float_round_mode_32 0
		.amdhsa_float_round_mode_16_64 0
		.amdhsa_float_denorm_mode_32 3
		.amdhsa_float_denorm_mode_16_64 3
		.amdhsa_fp16_overflow 0
		.amdhsa_memory_ordered 1
		.amdhsa_forward_progress 1
		.amdhsa_inst_pref_size 26
		.amdhsa_round_robin_scheduling 0
		.amdhsa_exception_fp_ieee_invalid_op 0
		.amdhsa_exception_fp_denorm_src 0
		.amdhsa_exception_fp_ieee_div_zero 0
		.amdhsa_exception_fp_ieee_overflow 0
		.amdhsa_exception_fp_ieee_underflow 0
		.amdhsa_exception_fp_ieee_inexact 0
		.amdhsa_exception_int_div_zero 0
	.end_amdhsa_kernel
	.section	.text._ZL29rocblas_internal_gemmt_kernelIiLi16ELi32ELi8ELc84ELc84ELc85ELb0ELb0E19rocblas_complex_numIdEPKS1_S3_PS1_EviT_T9_T10_S5_lS7_S5_lS6_T11_S5_li,"axG",@progbits,_ZL29rocblas_internal_gemmt_kernelIiLi16ELi32ELi8ELc84ELc84ELc85ELb0ELb0E19rocblas_complex_numIdEPKS1_S3_PS1_EviT_T9_T10_S5_lS7_S5_lS6_T11_S5_li,comdat
.Lfunc_end112:
	.size	_ZL29rocblas_internal_gemmt_kernelIiLi16ELi32ELi8ELc84ELc84ELc85ELb0ELb0E19rocblas_complex_numIdEPKS1_S3_PS1_EviT_T9_T10_S5_lS7_S5_lS6_T11_S5_li, .Lfunc_end112-_ZL29rocblas_internal_gemmt_kernelIiLi16ELi32ELi8ELc84ELc84ELc85ELb0ELb0E19rocblas_complex_numIdEPKS1_S3_PS1_EviT_T9_T10_S5_lS7_S5_lS6_T11_S5_li
                                        ; -- End function
	.set _ZL29rocblas_internal_gemmt_kernelIiLi16ELi32ELi8ELc84ELc84ELc85ELb0ELb0E19rocblas_complex_numIdEPKS1_S3_PS1_EviT_T9_T10_S5_lS7_S5_lS6_T11_S5_li.num_vgpr, 66
	.set _ZL29rocblas_internal_gemmt_kernelIiLi16ELi32ELi8ELc84ELc84ELc85ELb0ELb0E19rocblas_complex_numIdEPKS1_S3_PS1_EviT_T9_T10_S5_lS7_S5_lS6_T11_S5_li.num_agpr, 0
	.set _ZL29rocblas_internal_gemmt_kernelIiLi16ELi32ELi8ELc84ELc84ELc85ELb0ELb0E19rocblas_complex_numIdEPKS1_S3_PS1_EviT_T9_T10_S5_lS7_S5_lS6_T11_S5_li.numbered_sgpr, 41
	.set _ZL29rocblas_internal_gemmt_kernelIiLi16ELi32ELi8ELc84ELc84ELc85ELb0ELb0E19rocblas_complex_numIdEPKS1_S3_PS1_EviT_T9_T10_S5_lS7_S5_lS6_T11_S5_li.num_named_barrier, 0
	.set _ZL29rocblas_internal_gemmt_kernelIiLi16ELi32ELi8ELc84ELc84ELc85ELb0ELb0E19rocblas_complex_numIdEPKS1_S3_PS1_EviT_T9_T10_S5_lS7_S5_lS6_T11_S5_li.private_seg_size, 0
	.set _ZL29rocblas_internal_gemmt_kernelIiLi16ELi32ELi8ELc84ELc84ELc85ELb0ELb0E19rocblas_complex_numIdEPKS1_S3_PS1_EviT_T9_T10_S5_lS7_S5_lS6_T11_S5_li.uses_vcc, 1
	.set _ZL29rocblas_internal_gemmt_kernelIiLi16ELi32ELi8ELc84ELc84ELc85ELb0ELb0E19rocblas_complex_numIdEPKS1_S3_PS1_EviT_T9_T10_S5_lS7_S5_lS6_T11_S5_li.uses_flat_scratch, 0
	.set _ZL29rocblas_internal_gemmt_kernelIiLi16ELi32ELi8ELc84ELc84ELc85ELb0ELb0E19rocblas_complex_numIdEPKS1_S3_PS1_EviT_T9_T10_S5_lS7_S5_lS6_T11_S5_li.has_dyn_sized_stack, 0
	.set _ZL29rocblas_internal_gemmt_kernelIiLi16ELi32ELi8ELc84ELc84ELc85ELb0ELb0E19rocblas_complex_numIdEPKS1_S3_PS1_EviT_T9_T10_S5_lS7_S5_lS6_T11_S5_li.has_recursion, 0
	.set _ZL29rocblas_internal_gemmt_kernelIiLi16ELi32ELi8ELc84ELc84ELc85ELb0ELb0E19rocblas_complex_numIdEPKS1_S3_PS1_EviT_T9_T10_S5_lS7_S5_lS6_T11_S5_li.has_indirect_call, 0
	.section	.AMDGPU.csdata,"",@progbits
; Kernel info:
; codeLenInByte = 3248
; TotalNumSgprs: 43
; NumVgprs: 66
; ScratchSize: 0
; MemoryBound: 0
; FloatMode: 240
; IeeeMode: 1
; LDSByteSize: 8192 bytes/workgroup (compile time only)
; SGPRBlocks: 0
; VGPRBlocks: 4
; NumSGPRsForWavesPerEU: 43
; NumVGPRsForWavesPerEU: 66
; NamedBarCnt: 0
; Occupancy: 12
; WaveLimiterHint : 0
; COMPUTE_PGM_RSRC2:SCRATCH_EN: 0
; COMPUTE_PGM_RSRC2:USER_SGPR: 2
; COMPUTE_PGM_RSRC2:TRAP_HANDLER: 0
; COMPUTE_PGM_RSRC2:TGID_X_EN: 1
; COMPUTE_PGM_RSRC2:TGID_Y_EN: 1
; COMPUTE_PGM_RSRC2:TGID_Z_EN: 1
; COMPUTE_PGM_RSRC2:TIDIG_COMP_CNT: 1
	.section	.text._ZL29rocblas_internal_gemmt_kernelIiLi16ELi32ELi8ELc84ELc67ELc85ELb0ELb1E19rocblas_complex_numIdEPKS1_S3_PS1_EviT_T9_T10_S5_lS7_S5_lS6_T11_S5_li,"axG",@progbits,_ZL29rocblas_internal_gemmt_kernelIiLi16ELi32ELi8ELc84ELc67ELc85ELb0ELb1E19rocblas_complex_numIdEPKS1_S3_PS1_EviT_T9_T10_S5_lS7_S5_lS6_T11_S5_li,comdat
	.globl	_ZL29rocblas_internal_gemmt_kernelIiLi16ELi32ELi8ELc84ELc67ELc85ELb0ELb1E19rocblas_complex_numIdEPKS1_S3_PS1_EviT_T9_T10_S5_lS7_S5_lS6_T11_S5_li ; -- Begin function _ZL29rocblas_internal_gemmt_kernelIiLi16ELi32ELi8ELc84ELc67ELc85ELb0ELb1E19rocblas_complex_numIdEPKS1_S3_PS1_EviT_T9_T10_S5_lS7_S5_lS6_T11_S5_li
	.p2align	8
	.type	_ZL29rocblas_internal_gemmt_kernelIiLi16ELi32ELi8ELc84ELc67ELc85ELb0ELb1E19rocblas_complex_numIdEPKS1_S3_PS1_EviT_T9_T10_S5_lS7_S5_lS6_T11_S5_li,@function
_ZL29rocblas_internal_gemmt_kernelIiLi16ELi32ELi8ELc84ELc67ELc85ELb0ELb1E19rocblas_complex_numIdEPKS1_S3_PS1_EviT_T9_T10_S5_lS7_S5_lS6_T11_S5_li: ; @_ZL29rocblas_internal_gemmt_kernelIiLi16ELi32ELi8ELc84ELc67ELc85ELb0ELb1E19rocblas_complex_numIdEPKS1_S3_PS1_EviT_T9_T10_S5_lS7_S5_lS6_T11_S5_li
; %bb.0:
	s_load_b128 s[16:19], s[0:1], 0x38
	s_wait_kmcnt 0x0
	s_load_b128 s[8:11], s[18:19], 0x0
	s_load_b128 s[4:7], s[0:1], 0x8
	s_wait_xcnt 0x0
	s_load_b64 s[18:19], s[0:1], 0x0
	s_wait_kmcnt 0x0
	v_cmp_eq_f64_e64 s2, s[8:9], 1.0
	v_cmp_eq_f64_e64 s33, s[10:11], 0
	s_load_b128 s[12:15], s[4:5], 0x0
	s_and_b32 s2, s2, s33
	s_delay_alu instid0(SALU_CYCLE_1)
	s_and_not1_b32 vcc_lo, exec_lo, s2
	s_mov_b32 s2, -1
	s_cbranch_vccnz .LBB113_3
; %bb.1:
	s_cmp_lg_u32 s19, 0
	s_cbranch_scc0 .LBB113_36
; %bb.2:
	s_wait_kmcnt 0x0
	v_cmp_neq_f64_e64 s2, s[12:13], 0
	v_cmp_neq_f64_e64 s3, s[14:15], 0
	s_or_b32 s2, s2, s3
.LBB113_3:
	s_delay_alu instid0(SALU_CYCLE_1)
	s_and_b32 vcc_lo, exec_lo, s2
	s_cbranch_vccz .LBB113_37
; %bb.4:
	s_load_b32 s27, s[0:1], 0x60
	s_bfe_u32 s2, ttmp6, 0x40014
	s_lshr_b32 s3, ttmp7, 16
	s_add_co_i32 s2, s2, 1
	s_wait_xcnt 0x0
	s_bfe_u32 s5, ttmp6, 0x40008
	s_mul_i32 s2, s3, s2
	s_getreg_b32 s4, hwreg(HW_REG_IB_STS2, 6, 4)
	s_add_co_i32 s5, s5, s2
	s_cmp_eq_u32 s4, 0
	s_mov_b32 s29, 0
	s_cselect_b32 s28, s3, s5
	s_wait_kmcnt 0x0
	s_cmp_ge_u32 s28, s27
	s_cbranch_scc1 .LBB113_37
; %bb.5:
	s_clause 0x3
	s_load_b32 s2, s[0:1], 0x18
	s_load_b32 s34, s[0:1], 0x30
	s_load_b96 s[24:26], s[0:1], 0x48
	s_load_b128 s[20:23], s[0:1], 0x20
	v_and_b32_e32 v1, 0x3ff, v0
	v_bfe_u32 v9, v0, 10, 10
	s_load_b64 s[30:31], s[0:1], 0x58
	s_wait_xcnt 0x0
	s_bfe_u32 s1, ttmp6, 0x4000c
	s_bfe_u32 s3, ttmp6, 0x40010
	s_and_b32 s38, ttmp7, 0xffff
	s_add_co_i32 s1, s1, 1
	s_add_co_i32 s39, s3, 1
	v_lshl_add_u32 v2, v9, 4, v1
	s_and_b32 s0, ttmp6, 15
	s_mul_i32 s1, ttmp9, s1
	s_mul_i32 s39, s38, s39
	s_bfe_u32 s40, ttmp6, 0x40004
	s_add_co_i32 s0, s0, s1
	s_add_co_i32 s40, s40, s39
	v_dual_lshrrev_b32 v40, 5, v2 :: v_dual_bitop2_b32 v6, 7, v0 bitop3:0x40
	s_wait_kmcnt 0x0
	s_ashr_i32 s3, s2, 31
	s_ashr_i32 s35, s34, 31
	;; [unrolled: 1-line block ×3, first 2 shown]
	s_cmp_eq_u32 s4, 0
	v_dual_mov_b32 v0, 0 :: v_dual_bitop2_b32 v5, 31, v2 bitop3:0x40
	s_cselect_b32 s0, ttmp9, s0
	s_cselect_b32 s1, s38, s40
	s_lshl_b32 s38, s0, 5
	s_delay_alu instid0(VALU_DEP_1) | instid1(SALU_CYCLE_1)
	v_dual_lshrrev_b32 v8, 3, v2 :: v_dual_bitop2_b32 v2, s38, v5 bitop3:0x54
	s_lshl_b32 s0, s1, 5
	v_mov_b32_e32 v7, v0
	v_cmp_neq_f64_e64 s36, s[12:13], 0
	v_cmp_neq_f64_e64 s37, s[14:15], 0
	v_dual_add_nc_u32 v4, s0, v8 :: v_dual_ashrrev_i32 v3, 31, v2
	v_add_nc_u32_e32 v18, s0, v9
	v_mul_u64_e32 v[16:17], s[34:35], v[6:7]
	v_cmp_neq_f64_e64 s39, s[8:9], 0
	v_lshlrev_b32_e32 v7, 4, v6
	v_mul_u64_e32 v[20:21], s[2:3], v[2:3]
	v_lshlrev_b32_e32 v3, 4, v5
	v_cmp_gt_i32_e32 vcc_lo, s18, v2
	v_dual_add_nc_u32 v2, 16, v18 :: v_dual_ashrrev_i32 v19, 31, v18
	v_lshl_or_b32 v5, v8, 7, v7
	s_delay_alu instid0(VALU_DEP_4) | instskip(SKIP_1) | instid1(VALU_DEP_3)
	v_lshl_or_b32 v7, v40, 9, v3
	s_mov_b32 s4, s26
	v_ashrrev_i32_e32 v3, 31, v2
	v_mul_u64_e32 v[10:11], s[4:5], v[18:19]
	v_add_nc_u32_e32 v41, 0x1000, v5
	v_dual_ashrrev_i32 v5, 31, v4 :: v_dual_lshlrev_b32 v42, 4, v1
	v_add_nc_u32_e32 v8, s38, v1
	v_mul_u64_e32 v[12:13], s[4:5], v[2:3]
	v_cmp_gt_i32_e64 s0, s18, v4
	s_delay_alu instid0(VALU_DEP_4)
	v_lshlrev_b64_e32 v[4:5], 4, v[4:5]
	v_cmp_gt_i32_e64 s1, s18, v18
	v_cmp_le_i32_e64 s2, v8, v18
	v_add_nc_u32_e32 v14, 16, v8
	v_lshl_add_u32 v43, v9, 7, 0x1000
	v_dual_ashrrev_i32 v9, 31, v8 :: v_dual_mov_b32 v19, v0
	v_cmp_le_i32_e64 s4, v8, v2
	s_delay_alu instid0(VALU_DEP_4)
	v_cmp_le_i32_e64 s5, v14, v2
	s_or_b32 s36, s36, s37
	s_cmp_gt_i32 s19, 0
	v_ashrrev_i32_e32 v15, 31, v14
	s_cselect_b32 s37, -1, 0
	v_lshl_add_u64 v[4:5], v[16:17], 4, v[4:5]
	s_xor_b32 s3, s33, -1
	s_and_b32 s33, s1, s2
	v_cmp_le_i32_e64 s2, v14, v18
	v_lshlrev_b32_e32 v18, 4, v40
	v_add_nc_u64_e32 v[4:5], s[22:23], v[4:5]
	s_or_b32 s26, s39, s3
	v_cmp_gt_i32_e64 s3, s18, v2
	s_and_b32 s1, s1, s2
	v_lshl_add_u64 v[2:3], v[20:21], 4, v[18:19]
	v_add_nc_u64_e32 v[18:19], 8, v[4:5]
	s_and_b32 s18, s3, s4
	s_delay_alu instid0(VALU_DEP_2)
	v_add_nc_u64_e32 v[16:17], s[6:7], v[2:3]
	s_and_b32 s22, s3, s5
	s_lshl_b64 s[2:3], s[20:21], 4
	s_and_b32 s20, s36, s37
	s_lshl_b64 s[4:5], s[16:17], 4
	s_lshl_b64 s[6:7], s[34:35], 7
	s_xor_b32 s21, vcc_lo, -1
	s_branch .LBB113_7
.LBB113_6:                              ;   in Loop: Header=BB113_7 Depth=1
	s_wait_xcnt 0x0
	s_or_b32 exec_lo, exec_lo, s16
	s_add_co_i32 s28, s28, 0x10000
	s_delay_alu instid0(SALU_CYCLE_1)
	s_cmp_lt_u32 s28, s27
	s_cbranch_scc0 .LBB113_37
.LBB113_7:                              ; =>This Loop Header: Depth=1
                                        ;     Child Loop BB113_10 Depth 2
	v_mov_b64_e32 v[36:37], 0
	v_mov_b64_e32 v[38:39], 0
	;; [unrolled: 1-line block ×8, first 2 shown]
	s_and_not1_b32 vcc_lo, exec_lo, s20
	s_cbranch_vccnz .LBB113_16
; %bb.8:                                ;   in Loop: Header=BB113_7 Depth=1
	v_mad_nc_u64_u32 v[24:25], s2, s28, v[16:17]
	v_mad_nc_u64_u32 v[26:27], s4, s28, v[18:19]
	v_mov_b64_e32 v[20:21], 0
	v_mov_b64_e32 v[22:23], 0
	;; [unrolled: 1-line block ×8, first 2 shown]
	s_mov_b32 s16, 0
	v_mad_u32 v25, s3, s28, v25
	v_mad_u32 v27, s5, s28, v27
	s_branch .LBB113_10
.LBB113_9:                              ;   in Loop: Header=BB113_10 Depth=2
	s_wait_xcnt 0x0
	s_or_b32 exec_lo, exec_lo, s17
	ds_store_b128 v41, v[2:5]
	s_wait_dscnt 0x0
	s_barrier_signal -1
	s_barrier_wait -1
	ds_load_b128 v[2:5], v43
	ds_load_b128 v[44:47], v42
	ds_load_b128 v[48:51], v42 offset:256
	ds_load_b128 v[52:55], v43 offset:2048
	;; [unrolled: 1-line block ×10, first 2 shown]
	v_add_nc_u64_e32 v[24:25], 0x80, v[24:25]
	v_add_nc_u64_e32 v[26:27], s[6:7], v[26:27]
	s_add_co_i32 s16, s16, 8
	s_delay_alu instid0(SALU_CYCLE_1)
	s_cmp_lt_i32 s16, s19
	s_wait_dscnt 0xa
	v_mul_f64_e32 v[88:89], v[4:5], v[46:47]
	v_mul_f64_e32 v[90:91], v[2:3], v[46:47]
	s_wait_dscnt 0x9
	v_mul_f64_e32 v[92:93], v[4:5], v[50:51]
	v_mul_f64_e32 v[94:95], v[2:3], v[50:51]
	s_wait_dscnt 0x8
	v_mul_f64_e32 v[96:97], v[54:55], v[46:47]
	v_mul_f64_e32 v[98:99], v[52:53], v[46:47]
	v_mul_f64_e32 v[46:47], v[54:55], v[50:51]
	v_mul_f64_e32 v[100:101], v[52:53], v[50:51]
	s_wait_dscnt 0x6
	v_mul_f64_e32 v[102:103], v[58:59], v[62:63]
	v_mul_f64_e32 v[104:105], v[56:57], v[62:63]
	s_wait_dscnt 0x5
	v_mul_f64_e32 v[106:107], v[58:59], v[66:67]
	v_mul_f64_e32 v[108:109], v[56:57], v[66:67]
	s_wait_dscnt 0x4
	v_mul_f64_e32 v[110:111], v[70:71], v[62:63]
	v_mul_f64_e32 v[62:63], v[68:69], v[62:63]
	v_mul_f64_e32 v[112:113], v[70:71], v[66:67]
	v_mul_f64_e32 v[66:67], v[68:69], v[66:67]
	;; [unrolled: 11-line block ×3, first 2 shown]
	v_fma_f64 v[88:89], v[2:3], v[44:45], -v[88:89]
	v_fmac_f64_e32 v[90:91], v[4:5], v[44:45]
	v_fma_f64 v[92:93], v[2:3], v[48:49], -v[92:93]
	v_fmac_f64_e32 v[94:95], v[4:5], v[48:49]
	;; [unrolled: 2-line block ×8, first 2 shown]
	ds_load_b128 v[2:5], v43 offset:48
	ds_load_b128 v[44:47], v43 offset:2096
	;; [unrolled: 1-line block ×4, first 2 shown]
	v_fma_f64 v[116:117], v[72:73], v[76:77], -v[116:117]
	v_fmac_f64_e32 v[118:119], v[74:75], v[76:77]
	v_fma_f64 v[72:73], v[72:73], v[80:81], -v[120:121]
	v_fmac_f64_e32 v[122:123], v[74:75], v[80:81]
	;; [unrolled: 2-line block ×4, first 2 shown]
	v_add_f64_e32 v[64:65], v[36:37], v[88:89]
	v_add_f64_e32 v[68:69], v[90:91], v[38:39]
	;; [unrolled: 1-line block ×8, first 2 shown]
	s_wait_dscnt 0x1
	v_mul_f64_e32 v[98:99], v[4:5], v[50:51]
	v_mul_f64_e32 v[100:101], v[2:3], v[50:51]
	s_wait_dscnt 0x0
	v_mul_f64_e32 v[106:107], v[4:5], v[54:55]
	v_mul_f64_e32 v[110:111], v[2:3], v[54:55]
	;; [unrolled: 1-line block ×6, first 2 shown]
	ds_load_b128 v[20:23], v43 offset:64
	ds_load_b128 v[28:31], v42 offset:2048
	;; [unrolled: 1-line block ×4, first 2 shown]
	v_add_f64_e32 v[80:81], v[64:65], v[102:103]
	v_add_f64_e32 v[84:85], v[104:105], v[68:69]
	;; [unrolled: 1-line block ×8, first 2 shown]
	s_wait_dscnt 0x2
	v_mul_f64_e32 v[96:97], v[22:23], v[30:31]
	v_mul_f64_e32 v[102:103], v[20:21], v[30:31]
	s_wait_dscnt 0x1
	v_mul_f64_e32 v[104:105], v[22:23], v[34:35]
	v_mul_f64_e32 v[108:109], v[20:21], v[34:35]
	;; [unrolled: 3-line block ×3, first 2 shown]
	v_mul_f64_e32 v[30:31], v[38:39], v[34:35]
	v_mul_f64_e32 v[126:127], v[36:37], v[34:35]
	v_fma_f64 v[34:35], v[2:3], v[48:49], -v[98:99]
	v_fmac_f64_e32 v[100:101], v[4:5], v[48:49]
	v_fma_f64 v[98:99], v[2:3], v[52:53], -v[106:107]
	v_fmac_f64_e32 v[110:111], v[4:5], v[52:53]
	;; [unrolled: 2-line block ×4, first 2 shown]
	ds_load_b128 v[54:57], v43 offset:80
	ds_load_b128 v[58:61], v43 offset:2128
	;; [unrolled: 1-line block ×4, first 2 shown]
	v_add_f64_e32 v[52:53], v[80:81], v[116:117]
	v_add_f64_e32 v[80:81], v[118:119], v[84:85]
	;; [unrolled: 1-line block ×8, first 2 shown]
	v_fma_f64 v[96:97], v[20:21], v[28:29], -v[96:97]
	v_fmac_f64_e32 v[102:103], v[22:23], v[28:29]
	v_fma_f64 v[104:105], v[20:21], v[32:33], -v[104:105]
	s_wait_dscnt 0x1
	v_mul_f64_e32 v[88:89], v[56:57], v[64:65]
	v_mul_f64_e32 v[90:91], v[54:55], v[64:65]
	s_wait_dscnt 0x0
	v_mul_f64_e32 v[92:93], v[56:57], v[68:69]
	v_mul_f64_e32 v[94:95], v[54:55], v[68:69]
	;; [unrolled: 1-line block ×6, first 2 shown]
	v_fmac_f64_e32 v[108:109], v[22:23], v[32:33]
	v_fma_f64 v[120:121], v[36:37], v[28:29], -v[120:121]
	v_fmac_f64_e32 v[124:125], v[38:39], v[28:29]
	v_fma_f64 v[122:123], v[36:37], v[32:33], -v[30:31]
	v_fmac_f64_e32 v[126:127], v[38:39], v[32:33]
	ds_load_b128 v[2:5], v43 offset:96
	ds_load_b128 v[44:47], v42 offset:3072
	;; [unrolled: 1-line block ×4, first 2 shown]
	v_add_f64_e32 v[52:53], v[52:53], v[34:35]
	v_add_f64_e32 v[80:81], v[100:101], v[80:81]
	;; [unrolled: 1-line block ×8, first 2 shown]
	ds_load_b128 v[20:23], v43 offset:112
	ds_load_b128 v[28:31], v43 offset:2160
	;; [unrolled: 1-line block ×4, first 2 shown]
	s_wait_dscnt 0x0
	v_mul_f64_e32 v[98:99], v[4:5], v[46:47]
	v_mul_f64_e32 v[100:101], v[2:3], v[46:47]
	;; [unrolled: 1-line block ×8, first 2 shown]
	v_fma_f64 v[88:89], v[54:55], v[62:63], -v[88:89]
	v_fmac_f64_e32 v[90:91], v[56:57], v[62:63]
	v_fma_f64 v[54:55], v[54:55], v[66:67], -v[92:93]
	v_fmac_f64_e32 v[94:95], v[56:57], v[66:67]
	;; [unrolled: 2-line block ×4, first 2 shown]
	s_barrier_signal -1
	s_barrier_wait -1
	v_mul_f64_e32 v[92:93], v[20:21], v[38:39]
	v_add_f64_e32 v[52:53], v[52:53], v[96:97]
	v_add_f64_e32 v[60:61], v[102:103], v[80:81]
	;; [unrolled: 1-line block ×8, first 2 shown]
	v_mul_f64_e32 v[82:83], v[22:23], v[34:35]
	v_mul_f64_e32 v[84:85], v[20:21], v[34:35]
	;; [unrolled: 1-line block ×7, first 2 shown]
	v_fma_f64 v[38:39], v[2:3], v[44:45], -v[98:99]
	v_fmac_f64_e32 v[100:101], v[4:5], v[44:45]
	v_fma_f64 v[2:3], v[2:3], v[48:49], -v[106:107]
	v_fmac_f64_e32 v[110:111], v[4:5], v[48:49]
	;; [unrolled: 2-line block ×4, first 2 shown]
	v_fmac_f64_e32 v[92:93], v[22:23], v[36:37]
	v_add_f64_e32 v[48:49], v[52:53], v[88:89]
	v_add_f64_e32 v[52:53], v[90:91], v[60:61]
	;; [unrolled: 1-line block ×8, first 2 shown]
	v_fma_f64 v[66:67], v[20:21], v[32:33], -v[82:83]
	v_fmac_f64_e32 v[84:85], v[22:23], v[32:33]
	v_fma_f64 v[20:21], v[20:21], v[36:37], -v[86:87]
	v_fma_f64 v[22:23], v[28:29], v[32:33], -v[96:97]
	v_fmac_f64_e32 v[102:103], v[30:31], v[32:33]
	v_fma_f64 v[68:69], v[28:29], v[36:37], -v[34:35]
	v_fmac_f64_e32 v[104:105], v[30:31], v[36:37]
	v_add_f64_e32 v[28:29], v[48:49], v[38:39]
	v_add_f64_e32 v[30:31], v[100:101], v[52:53]
	;; [unrolled: 1-line block ×16, first 2 shown]
	s_cbranch_scc0 .LBB113_16
.LBB113_10:                             ;   Parent Loop BB113_7 Depth=1
                                        ; =>  This Inner Loop Header: Depth=2
	v_add_nc_u32_e32 v1, s16, v40
	s_delay_alu instid0(VALU_DEP_1) | instskip(SKIP_1) | instid1(SALU_CYCLE_1)
	v_cmp_le_i32_e32 vcc_lo, s19, v1
	s_or_b32 s17, s21, vcc_lo
	s_and_saveexec_b32 s23, s17
	s_delay_alu instid0(SALU_CYCLE_1)
	s_xor_b32 s17, exec_lo, s23
; %bb.11:                               ;   in Loop: Header=BB113_10 Depth=2
	v_dual_mov_b32 v1, v0 :: v_dual_mov_b32 v2, v0
	v_mov_b32_e32 v3, v0
	ds_store_b128 v7, v[0:3]
; %bb.12:                               ;   in Loop: Header=BB113_10 Depth=2
	s_and_not1_saveexec_b32 s17, s17
	s_cbranch_execz .LBB113_14
; %bb.13:                               ;   in Loop: Header=BB113_10 Depth=2
	global_load_b128 v[2:5], v[24:25], off
	s_wait_loadcnt 0x0
	ds_store_2addr_b64 v7, v[2:3], v[4:5] offset1:1
.LBB113_14:                             ;   in Loop: Header=BB113_10 Depth=2
	s_wait_xcnt 0x0
	s_or_b32 exec_lo, exec_lo, s17
	v_add_nc_u32_e32 v1, s16, v6
	v_mov_b64_e32 v[2:3], 0
	v_mov_b64_e32 v[4:5], 0
	s_delay_alu instid0(VALU_DEP_3) | instskip(SKIP_1) | instid1(SALU_CYCLE_1)
	v_cmp_gt_i32_e32 vcc_lo, s19, v1
	s_and_b32 s23, vcc_lo, s0
	s_and_saveexec_b32 s17, s23
	s_cbranch_execz .LBB113_9
; %bb.15:                               ;   in Loop: Header=BB113_10 Depth=2
	global_load_b128 v[2:5], v[26:27], off offset:-8
	s_wait_loadcnt 0x0
	v_xor_b32_e32 v5, 0x80000000, v5
	s_branch .LBB113_9
.LBB113_16:                             ;   in Loop: Header=BB113_7 Depth=1
	s_mul_u64 s[16:17], s[30:31], s[28:29]
	s_delay_alu instid0(SALU_CYCLE_1) | instskip(NEXT) | instid1(SALU_CYCLE_1)
	s_lshl_b64 s[16:17], s[16:17], 4
	s_add_nc_u64 s[16:17], s[24:25], s[16:17]
	s_delay_alu instid0(SALU_CYCLE_1)
	v_lshl_add_u64 v[24:25], v[10:11], 4, s[16:17]
	s_and_saveexec_b32 s23, s33
	s_cbranch_execz .LBB113_21
; %bb.17:                               ;   in Loop: Header=BB113_7 Depth=1
	v_mul_f64_e32 v[2:3], s[14:15], v[38:39]
	v_mul_f64_e32 v[4:5], s[12:13], v[38:39]
	v_lshl_add_u64 v[26:27], v[8:9], 4, v[24:25]
	s_and_b32 vcc_lo, exec_lo, s26
	s_mov_b32 s34, -1
	s_delay_alu instid0(VALU_DEP_3) | instskip(NEXT) | instid1(VALU_DEP_3)
	v_fma_f64 v[2:3], s[12:13], v[36:37], -v[2:3]
	v_fmac_f64_e32 v[4:5], s[14:15], v[36:37]
	s_cbranch_vccz .LBB113_19
; %bb.18:                               ;   in Loop: Header=BB113_7 Depth=1
	global_load_b128 v[36:39], v[26:27], off
	s_mov_b32 s34, 0
	s_wait_loadcnt 0x0
	v_mul_f64_e32 v[44:45], s[10:11], v[38:39]
	v_mul_f64_e32 v[38:39], s[8:9], v[38:39]
	s_delay_alu instid0(VALU_DEP_2) | instskip(NEXT) | instid1(VALU_DEP_2)
	v_fma_f64 v[44:45], s[8:9], v[36:37], -v[44:45]
	v_fmac_f64_e32 v[38:39], s[10:11], v[36:37]
	s_delay_alu instid0(VALU_DEP_2) | instskip(NEXT) | instid1(VALU_DEP_2)
	v_add_f64_e32 v[36:37], v[2:3], v[44:45]
	v_add_f64_e32 v[38:39], v[4:5], v[38:39]
	global_store_b128 v[26:27], v[36:39], off
.LBB113_19:                             ;   in Loop: Header=BB113_7 Depth=1
	s_and_not1_b32 vcc_lo, exec_lo, s34
	s_cbranch_vccnz .LBB113_21
; %bb.20:                               ;   in Loop: Header=BB113_7 Depth=1
	global_store_b128 v[26:27], v[2:5], off
.LBB113_21:                             ;   in Loop: Header=BB113_7 Depth=1
	s_wait_xcnt 0x0
	s_or_b32 exec_lo, exec_lo, s23
	s_and_saveexec_b32 s23, s1
	s_cbranch_execz .LBB113_26
; %bb.22:                               ;   in Loop: Header=BB113_7 Depth=1
	v_mul_f64_e32 v[2:3], s[14:15], v[34:35]
	v_mul_f64_e32 v[4:5], s[12:13], v[34:35]
	v_lshl_add_u64 v[24:25], v[14:15], 4, v[24:25]
	s_and_not1_b32 vcc_lo, exec_lo, s26
	s_mov_b32 s34, -1
	s_delay_alu instid0(VALU_DEP_3) | instskip(NEXT) | instid1(VALU_DEP_3)
	v_fma_f64 v[2:3], s[12:13], v[32:33], -v[2:3]
	v_fmac_f64_e32 v[4:5], s[14:15], v[32:33]
	s_cbranch_vccnz .LBB113_24
; %bb.23:                               ;   in Loop: Header=BB113_7 Depth=1
	global_load_b128 v[32:35], v[24:25], off
	s_mov_b32 s34, 0
	s_wait_loadcnt 0x0
	v_mul_f64_e32 v[26:27], s[10:11], v[34:35]
	v_mul_f64_e32 v[34:35], s[8:9], v[34:35]
	s_delay_alu instid0(VALU_DEP_2) | instskip(NEXT) | instid1(VALU_DEP_2)
	v_fma_f64 v[26:27], s[8:9], v[32:33], -v[26:27]
	v_fmac_f64_e32 v[34:35], s[10:11], v[32:33]
	s_delay_alu instid0(VALU_DEP_2) | instskip(NEXT) | instid1(VALU_DEP_2)
	v_add_f64_e32 v[32:33], v[2:3], v[26:27]
	v_add_f64_e32 v[34:35], v[4:5], v[34:35]
	global_store_b128 v[24:25], v[32:35], off
.LBB113_24:                             ;   in Loop: Header=BB113_7 Depth=1
	s_and_not1_b32 vcc_lo, exec_lo, s34
	s_cbranch_vccnz .LBB113_26
; %bb.25:                               ;   in Loop: Header=BB113_7 Depth=1
	global_store_b128 v[24:25], v[2:5], off
.LBB113_26:                             ;   in Loop: Header=BB113_7 Depth=1
	s_wait_xcnt 0x0
	s_or_b32 exec_lo, exec_lo, s23
	v_lshl_add_u64 v[24:25], v[12:13], 4, s[16:17]
	s_and_saveexec_b32 s16, s18
	s_cbranch_execz .LBB113_31
; %bb.27:                               ;   in Loop: Header=BB113_7 Depth=1
	v_mul_f64_e32 v[2:3], s[14:15], v[30:31]
	v_mul_f64_e32 v[4:5], s[12:13], v[30:31]
	v_lshl_add_u64 v[26:27], v[8:9], 4, v[24:25]
	s_and_not1_b32 vcc_lo, exec_lo, s26
	s_mov_b32 s17, -1
	s_delay_alu instid0(VALU_DEP_3) | instskip(NEXT) | instid1(VALU_DEP_3)
	v_fma_f64 v[2:3], s[12:13], v[28:29], -v[2:3]
	v_fmac_f64_e32 v[4:5], s[14:15], v[28:29]
	s_cbranch_vccnz .LBB113_29
; %bb.28:                               ;   in Loop: Header=BB113_7 Depth=1
	global_load_b128 v[28:31], v[26:27], off
	s_mov_b32 s17, 0
	s_wait_loadcnt 0x0
	v_mul_f64_e32 v[32:33], s[10:11], v[30:31]
	v_mul_f64_e32 v[30:31], s[8:9], v[30:31]
	s_delay_alu instid0(VALU_DEP_2) | instskip(NEXT) | instid1(VALU_DEP_2)
	v_fma_f64 v[32:33], s[8:9], v[28:29], -v[32:33]
	v_fmac_f64_e32 v[30:31], s[10:11], v[28:29]
	s_delay_alu instid0(VALU_DEP_2) | instskip(NEXT) | instid1(VALU_DEP_2)
	v_add_f64_e32 v[28:29], v[2:3], v[32:33]
	v_add_f64_e32 v[30:31], v[4:5], v[30:31]
	global_store_b128 v[26:27], v[28:31], off
.LBB113_29:                             ;   in Loop: Header=BB113_7 Depth=1
	s_and_not1_b32 vcc_lo, exec_lo, s17
	s_cbranch_vccnz .LBB113_31
; %bb.30:                               ;   in Loop: Header=BB113_7 Depth=1
	global_store_b128 v[26:27], v[2:5], off
.LBB113_31:                             ;   in Loop: Header=BB113_7 Depth=1
	s_wait_xcnt 0x0
	s_or_b32 exec_lo, exec_lo, s16
	s_and_saveexec_b32 s16, s22
	s_cbranch_execz .LBB113_6
; %bb.32:                               ;   in Loop: Header=BB113_7 Depth=1
	s_delay_alu instid0(VALU_DEP_3) | instskip(SKIP_4) | instid1(VALU_DEP_3)
	v_mul_f64_e32 v[2:3], s[14:15], v[20:21]
	v_mul_f64_e32 v[4:5], s[12:13], v[20:21]
	v_lshl_add_u64 v[20:21], v[14:15], 4, v[24:25]
	s_and_not1_b32 vcc_lo, exec_lo, s26
	s_mov_b32 s17, -1
	v_fma_f64 v[2:3], s[12:13], v[22:23], -v[2:3]
	s_delay_alu instid0(VALU_DEP_3)
	v_fmac_f64_e32 v[4:5], s[14:15], v[22:23]
	s_cbranch_vccnz .LBB113_34
; %bb.33:                               ;   in Loop: Header=BB113_7 Depth=1
	global_load_b128 v[22:25], v[20:21], off
	s_mov_b32 s17, 0
	s_wait_loadcnt 0x0
	v_mul_f64_e32 v[26:27], s[10:11], v[24:25]
	v_mul_f64_e32 v[24:25], s[8:9], v[24:25]
	s_delay_alu instid0(VALU_DEP_2) | instskip(NEXT) | instid1(VALU_DEP_2)
	v_fma_f64 v[26:27], s[8:9], v[22:23], -v[26:27]
	v_fmac_f64_e32 v[24:25], s[10:11], v[22:23]
	s_delay_alu instid0(VALU_DEP_2) | instskip(NEXT) | instid1(VALU_DEP_2)
	v_add_f64_e32 v[22:23], v[2:3], v[26:27]
	v_add_f64_e32 v[24:25], v[4:5], v[24:25]
	global_store_b128 v[20:21], v[22:25], off
.LBB113_34:                             ;   in Loop: Header=BB113_7 Depth=1
	s_and_not1_b32 vcc_lo, exec_lo, s17
	s_cbranch_vccnz .LBB113_6
; %bb.35:                               ;   in Loop: Header=BB113_7 Depth=1
	global_store_b128 v[20:21], v[2:5], off
	s_branch .LBB113_6
.LBB113_36:
.LBB113_37:
	s_sendmsg sendmsg(MSG_DEALLOC_VGPRS)
	s_endpgm
	.section	.rodata,"a",@progbits
	.p2align	6, 0x0
	.amdhsa_kernel _ZL29rocblas_internal_gemmt_kernelIiLi16ELi32ELi8ELc84ELc67ELc85ELb0ELb1E19rocblas_complex_numIdEPKS1_S3_PS1_EviT_T9_T10_S5_lS7_S5_lS6_T11_S5_li
		.amdhsa_group_segment_fixed_size 8192
		.amdhsa_private_segment_fixed_size 0
		.amdhsa_kernarg_size 100
		.amdhsa_user_sgpr_count 2
		.amdhsa_user_sgpr_dispatch_ptr 0
		.amdhsa_user_sgpr_queue_ptr 0
		.amdhsa_user_sgpr_kernarg_segment_ptr 1
		.amdhsa_user_sgpr_dispatch_id 0
		.amdhsa_user_sgpr_kernarg_preload_length 0
		.amdhsa_user_sgpr_kernarg_preload_offset 0
		.amdhsa_user_sgpr_private_segment_size 0
		.amdhsa_wavefront_size32 1
		.amdhsa_uses_dynamic_stack 0
		.amdhsa_enable_private_segment 0
		.amdhsa_system_sgpr_workgroup_id_x 1
		.amdhsa_system_sgpr_workgroup_id_y 1
		.amdhsa_system_sgpr_workgroup_id_z 1
		.amdhsa_system_sgpr_workgroup_info 0
		.amdhsa_system_vgpr_workitem_id 1
		.amdhsa_next_free_vgpr 130
		.amdhsa_next_free_sgpr 41
		.amdhsa_named_barrier_count 0
		.amdhsa_reserve_vcc 1
		.amdhsa_float_round_mode_32 0
		.amdhsa_float_round_mode_16_64 0
		.amdhsa_float_denorm_mode_32 3
		.amdhsa_float_denorm_mode_16_64 3
		.amdhsa_fp16_overflow 0
		.amdhsa_memory_ordered 1
		.amdhsa_forward_progress 1
		.amdhsa_inst_pref_size 24
		.amdhsa_round_robin_scheduling 0
		.amdhsa_exception_fp_ieee_invalid_op 0
		.amdhsa_exception_fp_denorm_src 0
		.amdhsa_exception_fp_ieee_div_zero 0
		.amdhsa_exception_fp_ieee_overflow 0
		.amdhsa_exception_fp_ieee_underflow 0
		.amdhsa_exception_fp_ieee_inexact 0
		.amdhsa_exception_int_div_zero 0
	.end_amdhsa_kernel
	.section	.text._ZL29rocblas_internal_gemmt_kernelIiLi16ELi32ELi8ELc84ELc67ELc85ELb0ELb1E19rocblas_complex_numIdEPKS1_S3_PS1_EviT_T9_T10_S5_lS7_S5_lS6_T11_S5_li,"axG",@progbits,_ZL29rocblas_internal_gemmt_kernelIiLi16ELi32ELi8ELc84ELc67ELc85ELb0ELb1E19rocblas_complex_numIdEPKS1_S3_PS1_EviT_T9_T10_S5_lS7_S5_lS6_T11_S5_li,comdat
.Lfunc_end113:
	.size	_ZL29rocblas_internal_gemmt_kernelIiLi16ELi32ELi8ELc84ELc67ELc85ELb0ELb1E19rocblas_complex_numIdEPKS1_S3_PS1_EviT_T9_T10_S5_lS7_S5_lS6_T11_S5_li, .Lfunc_end113-_ZL29rocblas_internal_gemmt_kernelIiLi16ELi32ELi8ELc84ELc67ELc85ELb0ELb1E19rocblas_complex_numIdEPKS1_S3_PS1_EviT_T9_T10_S5_lS7_S5_lS6_T11_S5_li
                                        ; -- End function
	.set _ZL29rocblas_internal_gemmt_kernelIiLi16ELi32ELi8ELc84ELc67ELc85ELb0ELb1E19rocblas_complex_numIdEPKS1_S3_PS1_EviT_T9_T10_S5_lS7_S5_lS6_T11_S5_li.num_vgpr, 130
	.set _ZL29rocblas_internal_gemmt_kernelIiLi16ELi32ELi8ELc84ELc67ELc85ELb0ELb1E19rocblas_complex_numIdEPKS1_S3_PS1_EviT_T9_T10_S5_lS7_S5_lS6_T11_S5_li.num_agpr, 0
	.set _ZL29rocblas_internal_gemmt_kernelIiLi16ELi32ELi8ELc84ELc67ELc85ELb0ELb1E19rocblas_complex_numIdEPKS1_S3_PS1_EviT_T9_T10_S5_lS7_S5_lS6_T11_S5_li.numbered_sgpr, 41
	.set _ZL29rocblas_internal_gemmt_kernelIiLi16ELi32ELi8ELc84ELc67ELc85ELb0ELb1E19rocblas_complex_numIdEPKS1_S3_PS1_EviT_T9_T10_S5_lS7_S5_lS6_T11_S5_li.num_named_barrier, 0
	.set _ZL29rocblas_internal_gemmt_kernelIiLi16ELi32ELi8ELc84ELc67ELc85ELb0ELb1E19rocblas_complex_numIdEPKS1_S3_PS1_EviT_T9_T10_S5_lS7_S5_lS6_T11_S5_li.private_seg_size, 0
	.set _ZL29rocblas_internal_gemmt_kernelIiLi16ELi32ELi8ELc84ELc67ELc85ELb0ELb1E19rocblas_complex_numIdEPKS1_S3_PS1_EviT_T9_T10_S5_lS7_S5_lS6_T11_S5_li.uses_vcc, 1
	.set _ZL29rocblas_internal_gemmt_kernelIiLi16ELi32ELi8ELc84ELc67ELc85ELb0ELb1E19rocblas_complex_numIdEPKS1_S3_PS1_EviT_T9_T10_S5_lS7_S5_lS6_T11_S5_li.uses_flat_scratch, 0
	.set _ZL29rocblas_internal_gemmt_kernelIiLi16ELi32ELi8ELc84ELc67ELc85ELb0ELb1E19rocblas_complex_numIdEPKS1_S3_PS1_EviT_T9_T10_S5_lS7_S5_lS6_T11_S5_li.has_dyn_sized_stack, 0
	.set _ZL29rocblas_internal_gemmt_kernelIiLi16ELi32ELi8ELc84ELc67ELc85ELb0ELb1E19rocblas_complex_numIdEPKS1_S3_PS1_EviT_T9_T10_S5_lS7_S5_lS6_T11_S5_li.has_recursion, 0
	.set _ZL29rocblas_internal_gemmt_kernelIiLi16ELi32ELi8ELc84ELc67ELc85ELb0ELb1E19rocblas_complex_numIdEPKS1_S3_PS1_EviT_T9_T10_S5_lS7_S5_lS6_T11_S5_li.has_indirect_call, 0
	.section	.AMDGPU.csdata,"",@progbits
; Kernel info:
; codeLenInByte = 2952
; TotalNumSgprs: 43
; NumVgprs: 130
; ScratchSize: 0
; MemoryBound: 1
; FloatMode: 240
; IeeeMode: 1
; LDSByteSize: 8192 bytes/workgroup (compile time only)
; SGPRBlocks: 0
; VGPRBlocks: 8
; NumSGPRsForWavesPerEU: 43
; NumVGPRsForWavesPerEU: 130
; NamedBarCnt: 0
; Occupancy: 7
; WaveLimiterHint : 0
; COMPUTE_PGM_RSRC2:SCRATCH_EN: 0
; COMPUTE_PGM_RSRC2:USER_SGPR: 2
; COMPUTE_PGM_RSRC2:TRAP_HANDLER: 0
; COMPUTE_PGM_RSRC2:TGID_X_EN: 1
; COMPUTE_PGM_RSRC2:TGID_Y_EN: 1
; COMPUTE_PGM_RSRC2:TGID_Z_EN: 1
; COMPUTE_PGM_RSRC2:TIDIG_COMP_CNT: 1
	.section	.text._ZL29rocblas_internal_gemmt_kernelIiLi16ELi32ELi8ELc67ELc78ELc85ELb1ELb0E19rocblas_complex_numIdEPKS1_S3_PS1_EviT_T9_T10_S5_lS7_S5_lS6_T11_S5_li,"axG",@progbits,_ZL29rocblas_internal_gemmt_kernelIiLi16ELi32ELi8ELc67ELc78ELc85ELb1ELb0E19rocblas_complex_numIdEPKS1_S3_PS1_EviT_T9_T10_S5_lS7_S5_lS6_T11_S5_li,comdat
	.globl	_ZL29rocblas_internal_gemmt_kernelIiLi16ELi32ELi8ELc67ELc78ELc85ELb1ELb0E19rocblas_complex_numIdEPKS1_S3_PS1_EviT_T9_T10_S5_lS7_S5_lS6_T11_S5_li ; -- Begin function _ZL29rocblas_internal_gemmt_kernelIiLi16ELi32ELi8ELc67ELc78ELc85ELb1ELb0E19rocblas_complex_numIdEPKS1_S3_PS1_EviT_T9_T10_S5_lS7_S5_lS6_T11_S5_li
	.p2align	8
	.type	_ZL29rocblas_internal_gemmt_kernelIiLi16ELi32ELi8ELc67ELc78ELc85ELb1ELb0E19rocblas_complex_numIdEPKS1_S3_PS1_EviT_T9_T10_S5_lS7_S5_lS6_T11_S5_li,@function
_ZL29rocblas_internal_gemmt_kernelIiLi16ELi32ELi8ELc67ELc78ELc85ELb1ELb0E19rocblas_complex_numIdEPKS1_S3_PS1_EviT_T9_T10_S5_lS7_S5_lS6_T11_S5_li: ; @_ZL29rocblas_internal_gemmt_kernelIiLi16ELi32ELi8ELc67ELc78ELc85ELb1ELb0E19rocblas_complex_numIdEPKS1_S3_PS1_EviT_T9_T10_S5_lS7_S5_lS6_T11_S5_li
; %bb.0:
	s_load_b128 s[16:19], s[0:1], 0x38
	s_wait_kmcnt 0x0
	s_load_b128 s[8:11], s[18:19], 0x0
	s_load_b128 s[4:7], s[0:1], 0x8
	s_wait_xcnt 0x0
	s_load_b64 s[18:19], s[0:1], 0x0
	s_wait_kmcnt 0x0
	v_cmp_eq_f64_e64 s2, s[8:9], 1.0
	v_cmp_eq_f64_e64 s33, s[10:11], 0
	s_load_b128 s[12:15], s[4:5], 0x0
	s_and_b32 s2, s2, s33
	s_delay_alu instid0(SALU_CYCLE_1)
	s_and_not1_b32 vcc_lo, exec_lo, s2
	s_mov_b32 s2, -1
	s_cbranch_vccnz .LBB114_3
; %bb.1:
	s_cmp_lg_u32 s19, 0
	s_cbranch_scc0 .LBB114_36
; %bb.2:
	s_wait_kmcnt 0x0
	v_cmp_neq_f64_e64 s2, s[12:13], 0
	v_cmp_neq_f64_e64 s3, s[14:15], 0
	s_or_b32 s2, s2, s3
.LBB114_3:
	s_delay_alu instid0(SALU_CYCLE_1)
	s_and_b32 vcc_lo, exec_lo, s2
	s_cbranch_vccz .LBB114_37
; %bb.4:
	s_load_b32 s27, s[0:1], 0x60
	s_bfe_u32 s2, ttmp6, 0x40014
	s_lshr_b32 s3, ttmp7, 16
	s_add_co_i32 s2, s2, 1
	s_wait_xcnt 0x0
	s_bfe_u32 s4, ttmp6, 0x40008
	s_mul_i32 s2, s3, s2
	s_getreg_b32 s34, hwreg(HW_REG_IB_STS2, 6, 4)
	s_add_co_i32 s4, s4, s2
	s_cmp_eq_u32 s34, 0
	s_mov_b32 s29, 0
	s_cselect_b32 s28, s3, s4
	s_wait_kmcnt 0x0
	s_cmp_ge_u32 s28, s27
	s_cbranch_scc1 .LBB114_37
; %bb.5:
	s_clause 0x3
	s_load_b32 s4, s[0:1], 0x18
	s_load_b32 s2, s[0:1], 0x30
	s_load_b96 s[24:26], s[0:1], 0x48
	s_load_b128 s[20:23], s[0:1], 0x20
	v_and_b32_e32 v6, 0x3ff, v0
	v_bfe_u32 v7, v0, 10, 10
	s_bfe_u32 s3, ttmp6, 0x4000c
	s_bfe_u32 s5, ttmp6, 0x40010
	s_and_b32 s37, ttmp7, 0xffff
	s_add_co_i32 s3, s3, 1
	s_add_co_i32 s5, s5, 1
	v_lshl_add_u32 v1, v7, 4, v6
	s_load_b64 s[30:31], s[0:1], 0x58
	s_wait_xcnt 0x0
	s_and_b32 s0, ttmp6, 15
	s_mul_i32 s38, ttmp9, s3
	s_mul_i32 s39, s37, s5
	s_bfe_u32 s40, ttmp6, 0x40004
	s_add_co_i32 s0, s0, s38
	s_add_co_i32 s40, s40, s39
	v_dual_lshrrev_b32 v38, 5, v1 :: v_dual_bitop2_b32 v8, 31, v1 bitop3:0x40
	s_wait_kmcnt 0x0
	s_ashr_i32 s5, s4, 31
	s_ashr_i32 s3, s2, 31
	;; [unrolled: 1-line block ×3, first 2 shown]
	s_cmp_eq_u32 s34, 0
	v_cmp_neq_f64_e64 s1, s[12:13], 0
	s_cselect_b32 s0, ttmp9, s0
	s_cselect_b32 s34, s37, s40
	s_lshl_b32 s37, s0, 5
	s_delay_alu instid0(SALU_CYCLE_1) | instskip(SKIP_3) | instid1(VALU_DEP_3)
	v_dual_lshrrev_b32 v9, 3, v1 :: v_dual_bitop2_b32 v2, s37, v8 bitop3:0x54
	v_and_b32_e32 v39, 7, v0
	s_lshl_b32 s0, s34, 5
	v_cmp_neq_f64_e64 s36, s[14:15], 0
	v_dual_add_nc_u32 v0, s0, v9 :: v_dual_add_nc_u32 v14, s0, v7
	v_ashrrev_i32_e32 v3, 31, v2
	v_cmp_neq_f64_e64 s38, s[8:9], 0
	v_cmp_gt_i32_e64 s0, s18, v2
	s_delay_alu instid0(VALU_DEP_4) | instskip(NEXT) | instid1(VALU_DEP_4)
	v_dual_ashrrev_i32 v1, 31, v0 :: v_dual_lshlrev_b32 v16, 4, v39
	v_mul_u64_e32 v[4:5], s[4:5], v[2:3]
	v_dual_lshlrev_b32 v3, 4, v8 :: v_dual_add_nc_u32 v2, 16, v14
	s_delay_alu instid0(VALU_DEP_3) | instskip(SKIP_2) | instid1(VALU_DEP_4)
	v_mul_u64_e32 v[18:19], s[2:3], v[0:1]
	v_cmp_gt_i32_e32 vcc_lo, s18, v0
	v_dual_mov_b32 v0, 0 :: v_dual_ashrrev_i32 v15, 31, v14
	v_lshl_or_b32 v40, v38, 9, v3
	v_ashrrev_i32_e32 v3, 31, v2
	s_mov_b32 s34, s26
	v_lshl_or_b32 v1, v9, 7, v16
	v_mul_u64_e32 v[8:9], s[34:35], v[14:15]
	v_mov_b32_e32 v21, v0
	v_mul_u64_e32 v[10:11], s[34:35], v[2:3]
	v_dual_mov_b32 v17, v0 :: v_dual_lshlrev_b32 v20, 4, v38
	v_dual_lshlrev_b32 v42, 4, v6 :: v_dual_add_nc_u32 v6, s37, v6
	v_lshl_add_u32 v43, v7, 7, 0x1000
	v_add_nc_u32_e32 v41, 0x1000, v1
	s_delay_alu instid0(VALU_DEP_3)
	v_dual_add_nc_u32 v12, 16, v6 :: v_dual_ashrrev_i32 v7, 31, v6
	s_or_b32 s36, s1, s36
	s_cmp_gt_i32 s19, 0
	v_cmp_gt_i32_e64 s1, s18, v14
	s_cselect_b32 s39, -1, 0
	s_xor_b32 s3, s33, -1
	v_cmp_le_i32_e64 s2, v6, v14
	s_or_b32 s26, s38, s3
	v_cmp_gt_i32_e64 s3, s18, v2
	v_lshl_add_u64 v[4:5], v[4:5], 4, v[20:21]
	v_cmp_le_i32_e64 s4, v6, v2
	v_cmp_le_i32_e64 s5, v12, v2
	v_lshl_add_u64 v[2:3], v[18:19], 4, v[16:17]
	s_and_b32 s33, s1, s2
	v_add_nc_u64_e32 v[4:5], s[6:7], v[4:5]
	v_cmp_le_i32_e64 s2, v12, v14
	v_ashrrev_i32_e32 v13, 31, v12
	v_add_nc_u64_e32 v[16:17], s[22:23], v[2:3]
	s_and_b32 s18, s3, s4
	s_and_b32 s34, s3, s5
	;; [unrolled: 1-line block ×3, first 2 shown]
	v_add_nc_u64_e32 v[14:15], 8, v[4:5]
	s_and_b32 s22, s36, s39
	s_lshl_b64 s[2:3], s[20:21], 4
	s_lshl_b64 s[4:5], s[16:17], 4
	s_xor_b32 s16, vcc_lo, -1
	s_branch .LBB114_7
.LBB114_6:                              ;   in Loop: Header=BB114_7 Depth=1
	s_wait_xcnt 0x0
	s_or_b32 exec_lo, exec_lo, s6
	s_add_co_i32 s28, s28, 0x10000
	s_delay_alu instid0(SALU_CYCLE_1)
	s_cmp_lt_u32 s28, s27
	s_cbranch_scc0 .LBB114_37
.LBB114_7:                              ; =>This Loop Header: Depth=1
                                        ;     Child Loop BB114_10 Depth 2
	v_mov_b64_e32 v[34:35], 0
	v_mov_b64_e32 v[36:37], 0
	;; [unrolled: 1-line block ×8, first 2 shown]
	s_and_not1_b32 vcc_lo, exec_lo, s22
	s_cbranch_vccnz .LBB114_16
; %bb.8:                                ;   in Loop: Header=BB114_7 Depth=1
	v_mad_nc_u64_u32 v[22:23], s2, s28, v[14:15]
	v_mad_nc_u64_u32 v[24:25], s4, s28, v[16:17]
	v_mov_b64_e32 v[18:19], 0
	v_mov_b64_e32 v[20:21], 0
	v_mov_b64_e32 v[28:29], 0
	v_mov_b64_e32 v[26:27], 0
	v_mov_b64_e32 v[32:33], 0
	v_mov_b64_e32 v[30:31], 0
	v_mov_b64_e32 v[36:37], 0
	v_mov_b64_e32 v[34:35], 0
	s_mov_b32 s6, 0
	v_mad_u32 v23, s3, s28, v23
	v_mad_u32 v25, s5, s28, v25
	s_branch .LBB114_10
.LBB114_9:                              ;   in Loop: Header=BB114_10 Depth=2
	s_wait_xcnt 0x0
	s_or_b32 exec_lo, exec_lo, s7
	s_wait_dscnt 0x0
	s_barrier_signal -1
	s_barrier_wait -1
	ds_load_b128 v[2:5], v43
	ds_load_b128 v[44:47], v42
	ds_load_b128 v[48:51], v42 offset:256
	ds_load_b128 v[52:55], v43 offset:2048
	;; [unrolled: 1-line block ×10, first 2 shown]
	v_add_nc_u64_e32 v[22:23], 0x80, v[22:23]
	v_add_nc_u64_e32 v[24:25], 0x80, v[24:25]
	s_add_co_i32 s6, s6, 8
	s_delay_alu instid0(SALU_CYCLE_1)
	s_cmp_lt_i32 s6, s19
	s_wait_dscnt 0xa
	v_mul_f64_e32 v[88:89], v[4:5], v[46:47]
	v_mul_f64_e32 v[90:91], v[2:3], v[46:47]
	s_wait_dscnt 0x9
	v_mul_f64_e32 v[92:93], v[4:5], v[50:51]
	v_mul_f64_e32 v[94:95], v[2:3], v[50:51]
	s_wait_dscnt 0x8
	v_mul_f64_e32 v[96:97], v[54:55], v[46:47]
	v_mul_f64_e32 v[98:99], v[52:53], v[46:47]
	v_mul_f64_e32 v[46:47], v[54:55], v[50:51]
	v_mul_f64_e32 v[100:101], v[52:53], v[50:51]
	s_wait_dscnt 0x6
	v_mul_f64_e32 v[102:103], v[58:59], v[62:63]
	v_mul_f64_e32 v[104:105], v[56:57], v[62:63]
	s_wait_dscnt 0x5
	v_mul_f64_e32 v[106:107], v[58:59], v[66:67]
	v_mul_f64_e32 v[108:109], v[56:57], v[66:67]
	s_wait_dscnt 0x4
	v_mul_f64_e32 v[110:111], v[70:71], v[62:63]
	v_mul_f64_e32 v[62:63], v[68:69], v[62:63]
	v_mul_f64_e32 v[112:113], v[70:71], v[66:67]
	v_mul_f64_e32 v[66:67], v[68:69], v[66:67]
	;; [unrolled: 11-line block ×3, first 2 shown]
	v_fma_f64 v[88:89], v[2:3], v[44:45], -v[88:89]
	v_fmac_f64_e32 v[90:91], v[4:5], v[44:45]
	v_fma_f64 v[92:93], v[2:3], v[48:49], -v[92:93]
	v_fmac_f64_e32 v[94:95], v[4:5], v[48:49]
	;; [unrolled: 2-line block ×8, first 2 shown]
	ds_load_b128 v[2:5], v43 offset:48
	ds_load_b128 v[44:47], v43 offset:2096
	ds_load_b128 v[48:51], v42 offset:1536
	ds_load_b128 v[52:55], v42 offset:1792
	v_fma_f64 v[116:117], v[72:73], v[76:77], -v[116:117]
	v_fmac_f64_e32 v[118:119], v[74:75], v[76:77]
	v_fma_f64 v[72:73], v[72:73], v[80:81], -v[120:121]
	v_fmac_f64_e32 v[122:123], v[74:75], v[80:81]
	;; [unrolled: 2-line block ×4, first 2 shown]
	v_add_f64_e32 v[64:65], v[34:35], v[88:89]
	v_add_f64_e32 v[68:69], v[90:91], v[36:37]
	;; [unrolled: 1-line block ×8, first 2 shown]
	s_wait_dscnt 0x1
	v_mul_f64_e32 v[98:99], v[4:5], v[50:51]
	v_mul_f64_e32 v[100:101], v[2:3], v[50:51]
	s_wait_dscnt 0x0
	v_mul_f64_e32 v[106:107], v[4:5], v[54:55]
	v_mul_f64_e32 v[110:111], v[2:3], v[54:55]
	;; [unrolled: 1-line block ×6, first 2 shown]
	ds_load_b128 v[18:21], v43 offset:64
	ds_load_b128 v[26:29], v42 offset:2048
	;; [unrolled: 1-line block ×4, first 2 shown]
	v_add_f64_e32 v[80:81], v[64:65], v[102:103]
	v_add_f64_e32 v[84:85], v[104:105], v[68:69]
	;; [unrolled: 1-line block ×8, first 2 shown]
	s_wait_dscnt 0x2
	v_mul_f64_e32 v[96:97], v[20:21], v[28:29]
	v_mul_f64_e32 v[102:103], v[18:19], v[28:29]
	s_wait_dscnt 0x1
	v_mul_f64_e32 v[104:105], v[20:21], v[32:33]
	v_mul_f64_e32 v[108:109], v[18:19], v[32:33]
	;; [unrolled: 3-line block ×3, first 2 shown]
	v_mul_f64_e32 v[28:29], v[36:37], v[32:33]
	v_mul_f64_e32 v[126:127], v[34:35], v[32:33]
	v_fma_f64 v[32:33], v[2:3], v[48:49], -v[98:99]
	v_fmac_f64_e32 v[100:101], v[4:5], v[48:49]
	v_fma_f64 v[98:99], v[2:3], v[52:53], -v[106:107]
	v_fmac_f64_e32 v[110:111], v[4:5], v[52:53]
	;; [unrolled: 2-line block ×4, first 2 shown]
	ds_load_b128 v[54:57], v43 offset:80
	ds_load_b128 v[58:61], v43 offset:2128
	;; [unrolled: 1-line block ×4, first 2 shown]
	v_add_f64_e32 v[52:53], v[80:81], v[116:117]
	v_add_f64_e32 v[80:81], v[118:119], v[84:85]
	;; [unrolled: 1-line block ×8, first 2 shown]
	v_fma_f64 v[96:97], v[18:19], v[26:27], -v[96:97]
	v_fmac_f64_e32 v[102:103], v[20:21], v[26:27]
	v_fma_f64 v[104:105], v[18:19], v[30:31], -v[104:105]
	s_wait_dscnt 0x1
	v_mul_f64_e32 v[88:89], v[56:57], v[64:65]
	v_mul_f64_e32 v[90:91], v[54:55], v[64:65]
	s_wait_dscnt 0x0
	v_mul_f64_e32 v[92:93], v[56:57], v[68:69]
	v_mul_f64_e32 v[94:95], v[54:55], v[68:69]
	;; [unrolled: 1-line block ×6, first 2 shown]
	v_fmac_f64_e32 v[108:109], v[20:21], v[30:31]
	v_fma_f64 v[120:121], v[34:35], v[26:27], -v[120:121]
	v_fmac_f64_e32 v[124:125], v[36:37], v[26:27]
	v_fma_f64 v[122:123], v[34:35], v[30:31], -v[28:29]
	v_fmac_f64_e32 v[126:127], v[36:37], v[30:31]
	ds_load_b128 v[2:5], v43 offset:96
	ds_load_b128 v[44:47], v42 offset:3072
	;; [unrolled: 1-line block ×4, first 2 shown]
	v_add_f64_e32 v[52:53], v[52:53], v[32:33]
	v_add_f64_e32 v[80:81], v[100:101], v[80:81]
	;; [unrolled: 1-line block ×8, first 2 shown]
	ds_load_b128 v[18:21], v43 offset:112
	ds_load_b128 v[26:29], v43 offset:2160
	;; [unrolled: 1-line block ×4, first 2 shown]
	s_wait_dscnt 0x0
	v_mul_f64_e32 v[98:99], v[4:5], v[46:47]
	v_mul_f64_e32 v[100:101], v[2:3], v[46:47]
	;; [unrolled: 1-line block ×8, first 2 shown]
	v_fma_f64 v[88:89], v[54:55], v[62:63], -v[88:89]
	v_fmac_f64_e32 v[90:91], v[56:57], v[62:63]
	v_fma_f64 v[54:55], v[54:55], v[66:67], -v[92:93]
	v_fmac_f64_e32 v[94:95], v[56:57], v[66:67]
	;; [unrolled: 2-line block ×4, first 2 shown]
	s_barrier_signal -1
	s_barrier_wait -1
	v_mul_f64_e32 v[92:93], v[18:19], v[36:37]
	v_add_f64_e32 v[52:53], v[52:53], v[96:97]
	v_add_f64_e32 v[60:61], v[102:103], v[80:81]
	;; [unrolled: 1-line block ×8, first 2 shown]
	v_mul_f64_e32 v[82:83], v[20:21], v[32:33]
	v_mul_f64_e32 v[84:85], v[18:19], v[32:33]
	v_mul_f64_e32 v[86:87], v[20:21], v[36:37]
	v_mul_f64_e32 v[96:97], v[28:29], v[32:33]
	v_mul_f64_e32 v[102:103], v[26:27], v[32:33]
	v_mul_f64_e32 v[32:33], v[28:29], v[36:37]
	v_mul_f64_e32 v[104:105], v[26:27], v[36:37]
	v_fma_f64 v[36:37], v[2:3], v[44:45], -v[98:99]
	v_fmac_f64_e32 v[100:101], v[4:5], v[44:45]
	v_fma_f64 v[2:3], v[2:3], v[48:49], -v[106:107]
	v_fmac_f64_e32 v[110:111], v[4:5], v[48:49]
	;; [unrolled: 2-line block ×4, first 2 shown]
	v_fmac_f64_e32 v[92:93], v[20:21], v[34:35]
	v_add_f64_e32 v[48:49], v[52:53], v[88:89]
	v_add_f64_e32 v[52:53], v[90:91], v[60:61]
	;; [unrolled: 1-line block ×8, first 2 shown]
	v_fma_f64 v[66:67], v[18:19], v[30:31], -v[82:83]
	v_fmac_f64_e32 v[84:85], v[20:21], v[30:31]
	v_fma_f64 v[18:19], v[18:19], v[34:35], -v[86:87]
	v_fma_f64 v[20:21], v[26:27], v[30:31], -v[96:97]
	v_fmac_f64_e32 v[102:103], v[28:29], v[30:31]
	v_fma_f64 v[68:69], v[26:27], v[34:35], -v[32:33]
	v_fmac_f64_e32 v[104:105], v[28:29], v[34:35]
	v_add_f64_e32 v[26:27], v[48:49], v[36:37]
	v_add_f64_e32 v[28:29], v[100:101], v[52:53]
	;; [unrolled: 1-line block ×16, first 2 shown]
	s_cbranch_scc0 .LBB114_16
.LBB114_10:                             ;   Parent Loop BB114_7 Depth=1
                                        ; =>  This Inner Loop Header: Depth=2
	v_add_nc_u32_e32 v1, s6, v38
	v_mov_b64_e32 v[2:3], 0
	v_mov_b64_e32 v[4:5], 0
	s_delay_alu instid0(VALU_DEP_3) | instskip(SKIP_1) | instid1(SALU_CYCLE_1)
	v_cmp_gt_i32_e32 vcc_lo, s19, v1
	s_and_b32 s17, s0, vcc_lo
	s_and_saveexec_b32 s7, s17
	s_cbranch_execz .LBB114_12
; %bb.11:                               ;   in Loop: Header=BB114_10 Depth=2
	global_load_b128 v[2:5], v[22:23], off offset:-8
	s_wait_loadcnt 0x0
	v_xor_b32_e32 v5, 0x80000000, v5
.LBB114_12:                             ;   in Loop: Header=BB114_10 Depth=2
	s_wait_xcnt 0x0
	s_or_b32 exec_lo, exec_lo, s7
	v_add_nc_u32_e32 v1, s6, v39
	ds_store_b128 v40, v[2:5]
	v_cmp_le_i32_e32 vcc_lo, s19, v1
	s_or_b32 s7, vcc_lo, s16
	s_delay_alu instid0(SALU_CYCLE_1) | instskip(NEXT) | instid1(SALU_CYCLE_1)
	s_and_saveexec_b32 s17, s7
	s_xor_b32 s7, exec_lo, s17
; %bb.13:                               ;   in Loop: Header=BB114_10 Depth=2
	v_dual_mov_b32 v1, v0 :: v_dual_mov_b32 v2, v0
	v_mov_b32_e32 v3, v0
	ds_store_b128 v41, v[0:3]
; %bb.14:                               ;   in Loop: Header=BB114_10 Depth=2
	s_and_not1_saveexec_b32 s7, s7
	s_cbranch_execz .LBB114_9
; %bb.15:                               ;   in Loop: Header=BB114_10 Depth=2
	global_load_b128 v[2:5], v[24:25], off
	s_wait_loadcnt 0x0
	ds_store_2addr_b64 v41, v[2:3], v[4:5] offset1:1
	s_branch .LBB114_9
.LBB114_16:                             ;   in Loop: Header=BB114_7 Depth=1
	s_mul_u64 s[6:7], s[30:31], s[28:29]
	s_delay_alu instid0(SALU_CYCLE_1) | instskip(NEXT) | instid1(SALU_CYCLE_1)
	s_lshl_b64 s[6:7], s[6:7], 4
	s_add_nc_u64 s[6:7], s[24:25], s[6:7]
	s_delay_alu instid0(SALU_CYCLE_1)
	v_lshl_add_u64 v[22:23], v[8:9], 4, s[6:7]
	s_and_saveexec_b32 s17, s33
	s_cbranch_execz .LBB114_21
; %bb.17:                               ;   in Loop: Header=BB114_7 Depth=1
	v_mul_f64_e32 v[2:3], s[14:15], v[36:37]
	v_mul_f64_e32 v[4:5], s[12:13], v[36:37]
	v_lshl_add_u64 v[24:25], v[6:7], 4, v[22:23]
	s_and_b32 vcc_lo, exec_lo, s26
	s_mov_b32 s20, -1
	s_delay_alu instid0(VALU_DEP_3) | instskip(NEXT) | instid1(VALU_DEP_3)
	v_fma_f64 v[2:3], s[12:13], v[34:35], -v[2:3]
	v_fmac_f64_e32 v[4:5], s[14:15], v[34:35]
	s_cbranch_vccz .LBB114_19
; %bb.18:                               ;   in Loop: Header=BB114_7 Depth=1
	global_load_b128 v[34:37], v[24:25], off
	s_mov_b32 s20, 0
	s_wait_loadcnt 0x0
	v_mul_f64_e32 v[44:45], s[10:11], v[36:37]
	v_mul_f64_e32 v[36:37], s[8:9], v[36:37]
	s_delay_alu instid0(VALU_DEP_2) | instskip(NEXT) | instid1(VALU_DEP_2)
	v_fma_f64 v[44:45], s[8:9], v[34:35], -v[44:45]
	v_fmac_f64_e32 v[36:37], s[10:11], v[34:35]
	s_delay_alu instid0(VALU_DEP_2) | instskip(NEXT) | instid1(VALU_DEP_2)
	v_add_f64_e32 v[34:35], v[2:3], v[44:45]
	v_add_f64_e32 v[36:37], v[4:5], v[36:37]
	global_store_b128 v[24:25], v[34:37], off
.LBB114_19:                             ;   in Loop: Header=BB114_7 Depth=1
	s_and_not1_b32 vcc_lo, exec_lo, s20
	s_cbranch_vccnz .LBB114_21
; %bb.20:                               ;   in Loop: Header=BB114_7 Depth=1
	global_store_b128 v[24:25], v[2:5], off
.LBB114_21:                             ;   in Loop: Header=BB114_7 Depth=1
	s_wait_xcnt 0x0
	s_or_b32 exec_lo, exec_lo, s17
	s_and_saveexec_b32 s17, s1
	s_cbranch_execz .LBB114_26
; %bb.22:                               ;   in Loop: Header=BB114_7 Depth=1
	v_mul_f64_e32 v[2:3], s[14:15], v[32:33]
	v_mul_f64_e32 v[4:5], s[12:13], v[32:33]
	v_lshl_add_u64 v[22:23], v[12:13], 4, v[22:23]
	s_and_not1_b32 vcc_lo, exec_lo, s26
	s_mov_b32 s20, -1
	s_delay_alu instid0(VALU_DEP_3) | instskip(NEXT) | instid1(VALU_DEP_3)
	v_fma_f64 v[2:3], s[12:13], v[30:31], -v[2:3]
	v_fmac_f64_e32 v[4:5], s[14:15], v[30:31]
	s_cbranch_vccnz .LBB114_24
; %bb.23:                               ;   in Loop: Header=BB114_7 Depth=1
	global_load_b128 v[30:33], v[22:23], off
	s_mov_b32 s20, 0
	s_wait_loadcnt 0x0
	v_mul_f64_e32 v[24:25], s[10:11], v[32:33]
	v_mul_f64_e32 v[32:33], s[8:9], v[32:33]
	s_delay_alu instid0(VALU_DEP_2) | instskip(NEXT) | instid1(VALU_DEP_2)
	v_fma_f64 v[24:25], s[8:9], v[30:31], -v[24:25]
	v_fmac_f64_e32 v[32:33], s[10:11], v[30:31]
	s_delay_alu instid0(VALU_DEP_2) | instskip(NEXT) | instid1(VALU_DEP_2)
	v_add_f64_e32 v[30:31], v[2:3], v[24:25]
	v_add_f64_e32 v[32:33], v[4:5], v[32:33]
	global_store_b128 v[22:23], v[30:33], off
.LBB114_24:                             ;   in Loop: Header=BB114_7 Depth=1
	s_and_not1_b32 vcc_lo, exec_lo, s20
	s_cbranch_vccnz .LBB114_26
; %bb.25:                               ;   in Loop: Header=BB114_7 Depth=1
	global_store_b128 v[22:23], v[2:5], off
.LBB114_26:                             ;   in Loop: Header=BB114_7 Depth=1
	s_wait_xcnt 0x0
	s_or_b32 exec_lo, exec_lo, s17
	v_lshl_add_u64 v[22:23], v[10:11], 4, s[6:7]
	s_and_saveexec_b32 s6, s18
	s_cbranch_execz .LBB114_31
; %bb.27:                               ;   in Loop: Header=BB114_7 Depth=1
	v_mul_f64_e32 v[2:3], s[14:15], v[28:29]
	v_mul_f64_e32 v[4:5], s[12:13], v[28:29]
	v_lshl_add_u64 v[24:25], v[6:7], 4, v[22:23]
	s_and_not1_b32 vcc_lo, exec_lo, s26
	s_mov_b32 s7, -1
	s_delay_alu instid0(VALU_DEP_3) | instskip(NEXT) | instid1(VALU_DEP_3)
	v_fma_f64 v[2:3], s[12:13], v[26:27], -v[2:3]
	v_fmac_f64_e32 v[4:5], s[14:15], v[26:27]
	s_cbranch_vccnz .LBB114_29
; %bb.28:                               ;   in Loop: Header=BB114_7 Depth=1
	global_load_b128 v[26:29], v[24:25], off
	s_mov_b32 s7, 0
	s_wait_loadcnt 0x0
	v_mul_f64_e32 v[30:31], s[10:11], v[28:29]
	v_mul_f64_e32 v[28:29], s[8:9], v[28:29]
	s_delay_alu instid0(VALU_DEP_2) | instskip(NEXT) | instid1(VALU_DEP_2)
	v_fma_f64 v[30:31], s[8:9], v[26:27], -v[30:31]
	v_fmac_f64_e32 v[28:29], s[10:11], v[26:27]
	s_delay_alu instid0(VALU_DEP_2) | instskip(NEXT) | instid1(VALU_DEP_2)
	v_add_f64_e32 v[26:27], v[2:3], v[30:31]
	v_add_f64_e32 v[28:29], v[4:5], v[28:29]
	global_store_b128 v[24:25], v[26:29], off
.LBB114_29:                             ;   in Loop: Header=BB114_7 Depth=1
	s_and_not1_b32 vcc_lo, exec_lo, s7
	s_cbranch_vccnz .LBB114_31
; %bb.30:                               ;   in Loop: Header=BB114_7 Depth=1
	global_store_b128 v[24:25], v[2:5], off
.LBB114_31:                             ;   in Loop: Header=BB114_7 Depth=1
	s_wait_xcnt 0x0
	s_or_b32 exec_lo, exec_lo, s6
	s_and_saveexec_b32 s6, s34
	s_cbranch_execz .LBB114_6
; %bb.32:                               ;   in Loop: Header=BB114_7 Depth=1
	s_delay_alu instid0(VALU_DEP_3) | instskip(SKIP_4) | instid1(VALU_DEP_3)
	v_mul_f64_e32 v[2:3], s[14:15], v[18:19]
	v_mul_f64_e32 v[4:5], s[12:13], v[18:19]
	v_lshl_add_u64 v[18:19], v[12:13], 4, v[22:23]
	s_and_not1_b32 vcc_lo, exec_lo, s26
	s_mov_b32 s7, -1
	v_fma_f64 v[2:3], s[12:13], v[20:21], -v[2:3]
	s_delay_alu instid0(VALU_DEP_3)
	v_fmac_f64_e32 v[4:5], s[14:15], v[20:21]
	s_cbranch_vccnz .LBB114_34
; %bb.33:                               ;   in Loop: Header=BB114_7 Depth=1
	global_load_b128 v[20:23], v[18:19], off
	s_mov_b32 s7, 0
	s_wait_loadcnt 0x0
	v_mul_f64_e32 v[24:25], s[10:11], v[22:23]
	v_mul_f64_e32 v[22:23], s[8:9], v[22:23]
	s_delay_alu instid0(VALU_DEP_2) | instskip(NEXT) | instid1(VALU_DEP_2)
	v_fma_f64 v[24:25], s[8:9], v[20:21], -v[24:25]
	v_fmac_f64_e32 v[22:23], s[10:11], v[20:21]
	s_delay_alu instid0(VALU_DEP_2) | instskip(NEXT) | instid1(VALU_DEP_2)
	v_add_f64_e32 v[20:21], v[2:3], v[24:25]
	v_add_f64_e32 v[22:23], v[4:5], v[22:23]
	global_store_b128 v[18:19], v[20:23], off
.LBB114_34:                             ;   in Loop: Header=BB114_7 Depth=1
	s_and_not1_b32 vcc_lo, exec_lo, s7
	s_cbranch_vccnz .LBB114_6
; %bb.35:                               ;   in Loop: Header=BB114_7 Depth=1
	global_store_b128 v[18:19], v[2:5], off
	s_branch .LBB114_6
.LBB114_36:
.LBB114_37:
	s_sendmsg sendmsg(MSG_DEALLOC_VGPRS)
	s_endpgm
	.section	.rodata,"a",@progbits
	.p2align	6, 0x0
	.amdhsa_kernel _ZL29rocblas_internal_gemmt_kernelIiLi16ELi32ELi8ELc67ELc78ELc85ELb1ELb0E19rocblas_complex_numIdEPKS1_S3_PS1_EviT_T9_T10_S5_lS7_S5_lS6_T11_S5_li
		.amdhsa_group_segment_fixed_size 8192
		.amdhsa_private_segment_fixed_size 0
		.amdhsa_kernarg_size 100
		.amdhsa_user_sgpr_count 2
		.amdhsa_user_sgpr_dispatch_ptr 0
		.amdhsa_user_sgpr_queue_ptr 0
		.amdhsa_user_sgpr_kernarg_segment_ptr 1
		.amdhsa_user_sgpr_dispatch_id 0
		.amdhsa_user_sgpr_kernarg_preload_length 0
		.amdhsa_user_sgpr_kernarg_preload_offset 0
		.amdhsa_user_sgpr_private_segment_size 0
		.amdhsa_wavefront_size32 1
		.amdhsa_uses_dynamic_stack 0
		.amdhsa_enable_private_segment 0
		.amdhsa_system_sgpr_workgroup_id_x 1
		.amdhsa_system_sgpr_workgroup_id_y 1
		.amdhsa_system_sgpr_workgroup_id_z 1
		.amdhsa_system_sgpr_workgroup_info 0
		.amdhsa_system_vgpr_workitem_id 1
		.amdhsa_next_free_vgpr 130
		.amdhsa_next_free_sgpr 41
		.amdhsa_named_barrier_count 0
		.amdhsa_reserve_vcc 1
		.amdhsa_float_round_mode_32 0
		.amdhsa_float_round_mode_16_64 0
		.amdhsa_float_denorm_mode_32 3
		.amdhsa_float_denorm_mode_16_64 3
		.amdhsa_fp16_overflow 0
		.amdhsa_memory_ordered 1
		.amdhsa_forward_progress 1
		.amdhsa_inst_pref_size 23
		.amdhsa_round_robin_scheduling 0
		.amdhsa_exception_fp_ieee_invalid_op 0
		.amdhsa_exception_fp_denorm_src 0
		.amdhsa_exception_fp_ieee_div_zero 0
		.amdhsa_exception_fp_ieee_overflow 0
		.amdhsa_exception_fp_ieee_underflow 0
		.amdhsa_exception_fp_ieee_inexact 0
		.amdhsa_exception_int_div_zero 0
	.end_amdhsa_kernel
	.section	.text._ZL29rocblas_internal_gemmt_kernelIiLi16ELi32ELi8ELc67ELc78ELc85ELb1ELb0E19rocblas_complex_numIdEPKS1_S3_PS1_EviT_T9_T10_S5_lS7_S5_lS6_T11_S5_li,"axG",@progbits,_ZL29rocblas_internal_gemmt_kernelIiLi16ELi32ELi8ELc67ELc78ELc85ELb1ELb0E19rocblas_complex_numIdEPKS1_S3_PS1_EviT_T9_T10_S5_lS7_S5_lS6_T11_S5_li,comdat
.Lfunc_end114:
	.size	_ZL29rocblas_internal_gemmt_kernelIiLi16ELi32ELi8ELc67ELc78ELc85ELb1ELb0E19rocblas_complex_numIdEPKS1_S3_PS1_EviT_T9_T10_S5_lS7_S5_lS6_T11_S5_li, .Lfunc_end114-_ZL29rocblas_internal_gemmt_kernelIiLi16ELi32ELi8ELc67ELc78ELc85ELb1ELb0E19rocblas_complex_numIdEPKS1_S3_PS1_EviT_T9_T10_S5_lS7_S5_lS6_T11_S5_li
                                        ; -- End function
	.set _ZL29rocblas_internal_gemmt_kernelIiLi16ELi32ELi8ELc67ELc78ELc85ELb1ELb0E19rocblas_complex_numIdEPKS1_S3_PS1_EviT_T9_T10_S5_lS7_S5_lS6_T11_S5_li.num_vgpr, 130
	.set _ZL29rocblas_internal_gemmt_kernelIiLi16ELi32ELi8ELc67ELc78ELc85ELb1ELb0E19rocblas_complex_numIdEPKS1_S3_PS1_EviT_T9_T10_S5_lS7_S5_lS6_T11_S5_li.num_agpr, 0
	.set _ZL29rocblas_internal_gemmt_kernelIiLi16ELi32ELi8ELc67ELc78ELc85ELb1ELb0E19rocblas_complex_numIdEPKS1_S3_PS1_EviT_T9_T10_S5_lS7_S5_lS6_T11_S5_li.numbered_sgpr, 41
	.set _ZL29rocblas_internal_gemmt_kernelIiLi16ELi32ELi8ELc67ELc78ELc85ELb1ELb0E19rocblas_complex_numIdEPKS1_S3_PS1_EviT_T9_T10_S5_lS7_S5_lS6_T11_S5_li.num_named_barrier, 0
	.set _ZL29rocblas_internal_gemmt_kernelIiLi16ELi32ELi8ELc67ELc78ELc85ELb1ELb0E19rocblas_complex_numIdEPKS1_S3_PS1_EviT_T9_T10_S5_lS7_S5_lS6_T11_S5_li.private_seg_size, 0
	.set _ZL29rocblas_internal_gemmt_kernelIiLi16ELi32ELi8ELc67ELc78ELc85ELb1ELb0E19rocblas_complex_numIdEPKS1_S3_PS1_EviT_T9_T10_S5_lS7_S5_lS6_T11_S5_li.uses_vcc, 1
	.set _ZL29rocblas_internal_gemmt_kernelIiLi16ELi32ELi8ELc67ELc78ELc85ELb1ELb0E19rocblas_complex_numIdEPKS1_S3_PS1_EviT_T9_T10_S5_lS7_S5_lS6_T11_S5_li.uses_flat_scratch, 0
	.set _ZL29rocblas_internal_gemmt_kernelIiLi16ELi32ELi8ELc67ELc78ELc85ELb1ELb0E19rocblas_complex_numIdEPKS1_S3_PS1_EviT_T9_T10_S5_lS7_S5_lS6_T11_S5_li.has_dyn_sized_stack, 0
	.set _ZL29rocblas_internal_gemmt_kernelIiLi16ELi32ELi8ELc67ELc78ELc85ELb1ELb0E19rocblas_complex_numIdEPKS1_S3_PS1_EviT_T9_T10_S5_lS7_S5_lS6_T11_S5_li.has_recursion, 0
	.set _ZL29rocblas_internal_gemmt_kernelIiLi16ELi32ELi8ELc67ELc78ELc85ELb1ELb0E19rocblas_complex_numIdEPKS1_S3_PS1_EviT_T9_T10_S5_lS7_S5_lS6_T11_S5_li.has_indirect_call, 0
	.section	.AMDGPU.csdata,"",@progbits
; Kernel info:
; codeLenInByte = 2940
; TotalNumSgprs: 43
; NumVgprs: 130
; ScratchSize: 0
; MemoryBound: 1
; FloatMode: 240
; IeeeMode: 1
; LDSByteSize: 8192 bytes/workgroup (compile time only)
; SGPRBlocks: 0
; VGPRBlocks: 8
; NumSGPRsForWavesPerEU: 43
; NumVGPRsForWavesPerEU: 130
; NamedBarCnt: 0
; Occupancy: 7
; WaveLimiterHint : 0
; COMPUTE_PGM_RSRC2:SCRATCH_EN: 0
; COMPUTE_PGM_RSRC2:USER_SGPR: 2
; COMPUTE_PGM_RSRC2:TRAP_HANDLER: 0
; COMPUTE_PGM_RSRC2:TGID_X_EN: 1
; COMPUTE_PGM_RSRC2:TGID_Y_EN: 1
; COMPUTE_PGM_RSRC2:TGID_Z_EN: 1
; COMPUTE_PGM_RSRC2:TIDIG_COMP_CNT: 1
	.section	.text._ZL29rocblas_internal_gemmt_kernelIiLi16ELi32ELi8ELc67ELc84ELc85ELb1ELb0E19rocblas_complex_numIdEPKS1_S3_PS1_EviT_T9_T10_S5_lS7_S5_lS6_T11_S5_li,"axG",@progbits,_ZL29rocblas_internal_gemmt_kernelIiLi16ELi32ELi8ELc67ELc84ELc85ELb1ELb0E19rocblas_complex_numIdEPKS1_S3_PS1_EviT_T9_T10_S5_lS7_S5_lS6_T11_S5_li,comdat
	.globl	_ZL29rocblas_internal_gemmt_kernelIiLi16ELi32ELi8ELc67ELc84ELc85ELb1ELb0E19rocblas_complex_numIdEPKS1_S3_PS1_EviT_T9_T10_S5_lS7_S5_lS6_T11_S5_li ; -- Begin function _ZL29rocblas_internal_gemmt_kernelIiLi16ELi32ELi8ELc67ELc84ELc85ELb1ELb0E19rocblas_complex_numIdEPKS1_S3_PS1_EviT_T9_T10_S5_lS7_S5_lS6_T11_S5_li
	.p2align	8
	.type	_ZL29rocblas_internal_gemmt_kernelIiLi16ELi32ELi8ELc67ELc84ELc85ELb1ELb0E19rocblas_complex_numIdEPKS1_S3_PS1_EviT_T9_T10_S5_lS7_S5_lS6_T11_S5_li,@function
_ZL29rocblas_internal_gemmt_kernelIiLi16ELi32ELi8ELc67ELc84ELc85ELb1ELb0E19rocblas_complex_numIdEPKS1_S3_PS1_EviT_T9_T10_S5_lS7_S5_lS6_T11_S5_li: ; @_ZL29rocblas_internal_gemmt_kernelIiLi16ELi32ELi8ELc67ELc84ELc85ELb1ELb0E19rocblas_complex_numIdEPKS1_S3_PS1_EviT_T9_T10_S5_lS7_S5_lS6_T11_S5_li
; %bb.0:
	s_load_b128 s[16:19], s[0:1], 0x38
	s_wait_kmcnt 0x0
	s_load_b128 s[8:11], s[18:19], 0x0
	s_load_b128 s[4:7], s[0:1], 0x8
	s_wait_xcnt 0x0
	s_load_b64 s[18:19], s[0:1], 0x0
	s_wait_kmcnt 0x0
	v_cmp_eq_f64_e64 s2, s[8:9], 1.0
	v_cmp_eq_f64_e64 s33, s[10:11], 0
	s_load_b128 s[12:15], s[4:5], 0x0
	s_and_b32 s2, s2, s33
	s_delay_alu instid0(SALU_CYCLE_1)
	s_and_not1_b32 vcc_lo, exec_lo, s2
	s_mov_b32 s2, -1
	s_cbranch_vccnz .LBB115_3
; %bb.1:
	s_cmp_lg_u32 s19, 0
	s_cbranch_scc0 .LBB115_36
; %bb.2:
	s_wait_kmcnt 0x0
	v_cmp_neq_f64_e64 s2, s[12:13], 0
	v_cmp_neq_f64_e64 s3, s[14:15], 0
	s_or_b32 s2, s2, s3
.LBB115_3:
	s_delay_alu instid0(SALU_CYCLE_1)
	s_and_b32 vcc_lo, exec_lo, s2
	s_cbranch_vccz .LBB115_37
; %bb.4:
	s_load_b32 s27, s[0:1], 0x60
	s_bfe_u32 s2, ttmp6, 0x40014
	s_lshr_b32 s3, ttmp7, 16
	s_add_co_i32 s2, s2, 1
	s_wait_xcnt 0x0
	s_bfe_u32 s5, ttmp6, 0x40008
	s_mul_i32 s2, s3, s2
	s_getreg_b32 s4, hwreg(HW_REG_IB_STS2, 6, 4)
	s_add_co_i32 s5, s5, s2
	s_cmp_eq_u32 s4, 0
	s_mov_b32 s29, 0
	s_cselect_b32 s28, s3, s5
	s_wait_kmcnt 0x0
	s_cmp_ge_u32 s28, s27
	s_cbranch_scc1 .LBB115_37
; %bb.5:
	s_clause 0x3
	s_load_b32 s2, s[0:1], 0x18
	s_load_b32 s34, s[0:1], 0x30
	s_load_b96 s[24:26], s[0:1], 0x48
	s_load_b128 s[20:23], s[0:1], 0x20
	v_and_b32_e32 v1, 0x3ff, v0
	v_bfe_u32 v9, v0, 10, 10
	s_bfe_u32 s3, ttmp6, 0x4000c
	s_bfe_u32 s5, ttmp6, 0x40010
	s_and_b32 s37, ttmp7, 0xffff
	s_add_co_i32 s3, s3, 1
	s_add_co_i32 s5, s5, 1
	v_lshl_add_u32 v3, v9, 4, v1
	s_load_b64 s[30:31], s[0:1], 0x58
	s_wait_xcnt 0x0
	s_and_b32 s0, ttmp6, 15
	s_mul_i32 s38, ttmp9, s3
	s_mul_i32 s39, s37, s5
	s_bfe_u32 s40, ttmp6, 0x40004
	s_add_co_i32 s0, s0, s38
	s_add_co_i32 s40, s40, s39
	v_dual_lshrrev_b32 v40, 5, v3 :: v_dual_bitop2_b32 v5, 31, v3 bitop3:0x40
	s_wait_kmcnt 0x0
	s_ashr_i32 s3, s2, 31
	s_ashr_i32 s35, s34, 31
	;; [unrolled: 1-line block ×3, first 2 shown]
	s_cmp_eq_u32 s4, 0
	v_cmp_neq_f64_e64 s1, s[12:13], 0
	s_cselect_b32 s0, ttmp9, s0
	s_cselect_b32 s37, s37, s40
	s_lshl_b32 s38, s0, 5
	s_delay_alu instid0(SALU_CYCLE_1) | instskip(SKIP_3) | instid1(VALU_DEP_3)
	v_dual_lshrrev_b32 v8, 3, v3 :: v_dual_bitop2_b32 v2, s38, v5 bitop3:0x54
	v_and_b32_e32 v6, 7, v0
	s_lshl_b32 s0, s37, 5
	v_cmp_neq_f64_e64 s36, s[14:15], 0
	v_dual_add_nc_u32 v4, s0, v8 :: v_dual_mov_b32 v0, 0
	v_dual_ashrrev_i32 v3, 31, v2 :: v_dual_add_nc_u32 v18, s0, v9
	s_mov_b32 s4, s26
	v_cmp_neq_f64_e64 s26, s[8:9], 0
	s_delay_alu instid0(VALU_DEP_3) | instskip(NEXT) | instid1(VALU_DEP_3)
	v_mov_b32_e32 v7, v0
	v_mul_u64_e32 v[16:17], s[2:3], v[2:3]
	v_dual_lshlrev_b32 v3, 4, v6 :: v_dual_lshlrev_b32 v5, 4, v5
	v_cmp_gt_i32_e64 s0, s18, v2
	s_delay_alu instid0(VALU_DEP_4) | instskip(SKIP_1) | instid1(VALU_DEP_4)
	v_mul_u64_e32 v[20:21], s[34:35], v[6:7]
	v_add_nc_u32_e32 v2, 16, v18
	v_lshl_or_b32 v3, v8, 7, v3
	v_lshl_or_b32 v7, v40, 9, v5
	v_ashrrev_i32_e32 v5, 31, v4
	v_dual_mov_b32 v23, v0 :: v_dual_lshlrev_b32 v22, 4, v40
	s_delay_alu instid0(VALU_DEP_4) | instskip(SKIP_4) | instid1(VALU_DEP_4)
	v_add_nc_u32_e32 v41, 0x1000, v3
	v_ashrrev_i32_e32 v3, 31, v2
	v_dual_ashrrev_i32 v19, 31, v18 :: v_dual_lshlrev_b32 v42, 4, v1
	v_add_nc_u32_e32 v8, s38, v1
	v_cmp_gt_i32_e32 vcc_lo, s18, v4
	v_mul_u64_e32 v[12:13], s[4:5], v[2:3]
	s_delay_alu instid0(VALU_DEP_4)
	v_mul_u64_e32 v[10:11], s[4:5], v[18:19]
	v_lshlrev_b64_e32 v[4:5], 4, v[4:5]
	v_add_nc_u32_e32 v14, 16, v8
	v_lshl_add_u32 v43, v9, 7, 0x1000
	v_cmp_le_i32_e64 s2, v8, v18
	v_ashrrev_i32_e32 v9, 31, v8
	s_or_b32 s37, s1, s36
	s_cmp_gt_i32 s19, 0
	v_cmp_gt_i32_e64 s1, s18, v18
	s_cselect_b32 s39, -1, 0
	s_xor_b32 s3, s33, -1
	v_cmp_le_i32_e64 s4, v8, v2
	s_or_b32 s26, s26, s3
	v_cmp_gt_i32_e64 s3, s18, v2
	v_lshl_add_u64 v[16:17], v[16:17], 4, v[22:23]
	v_cmp_le_i32_e64 s5, v14, v2
	s_and_b32 s33, s1, s2
	v_cmp_le_i32_e64 s2, v14, v18
	v_lshl_add_u64 v[2:3], v[20:21], 4, v[4:5]
	v_add_nc_u64_e32 v[16:17], s[6:7], v[16:17]
	v_ashrrev_i32_e32 v15, 31, v14
	s_and_b32 s18, s3, s4
	s_and_b32 s1, s1, s2
	v_add_nc_u64_e32 v[18:19], s[22:23], v[2:3]
	s_and_b32 s36, s3, s5
	s_lshl_b64 s[2:3], s[20:21], 4
	v_add_nc_u64_e32 v[16:17], 8, v[16:17]
	s_and_b32 s20, s37, s39
	s_lshl_b64 s[4:5], s[16:17], 4
	s_lshl_b64 s[6:7], s[34:35], 7
	s_xor_b32 s21, vcc_lo, -1
	s_branch .LBB115_7
.LBB115_6:                              ;   in Loop: Header=BB115_7 Depth=1
	s_wait_xcnt 0x0
	s_or_b32 exec_lo, exec_lo, s16
	s_add_co_i32 s28, s28, 0x10000
	s_delay_alu instid0(SALU_CYCLE_1)
	s_cmp_lt_u32 s28, s27
	s_cbranch_scc0 .LBB115_37
.LBB115_7:                              ; =>This Loop Header: Depth=1
                                        ;     Child Loop BB115_10 Depth 2
	v_mov_b64_e32 v[36:37], 0
	v_mov_b64_e32 v[38:39], 0
	;; [unrolled: 1-line block ×8, first 2 shown]
	s_and_not1_b32 vcc_lo, exec_lo, s20
	s_cbranch_vccnz .LBB115_16
; %bb.8:                                ;   in Loop: Header=BB115_7 Depth=1
	v_mad_nc_u64_u32 v[24:25], s2, s28, v[16:17]
	v_mad_nc_u64_u32 v[26:27], s4, s28, v[18:19]
	v_mov_b64_e32 v[20:21], 0
	v_mov_b64_e32 v[22:23], 0
	;; [unrolled: 1-line block ×8, first 2 shown]
	s_mov_b32 s16, 0
	v_mad_u32 v25, s3, s28, v25
	v_mad_u32 v27, s5, s28, v27
	s_branch .LBB115_10
.LBB115_9:                              ;   in Loop: Header=BB115_10 Depth=2
	s_wait_xcnt 0x0
	s_or_b32 exec_lo, exec_lo, s17
	s_wait_dscnt 0x0
	s_barrier_signal -1
	s_barrier_wait -1
	ds_load_b128 v[2:5], v43
	ds_load_b128 v[44:47], v42
	ds_load_b128 v[48:51], v42 offset:256
	ds_load_b128 v[52:55], v43 offset:2048
	;; [unrolled: 1-line block ×10, first 2 shown]
	v_add_nc_u64_e32 v[24:25], 0x80, v[24:25]
	v_add_nc_u64_e32 v[26:27], s[6:7], v[26:27]
	s_add_co_i32 s16, s16, 8
	s_delay_alu instid0(SALU_CYCLE_1)
	s_cmp_lt_i32 s16, s19
	s_wait_dscnt 0xa
	v_mul_f64_e32 v[88:89], v[4:5], v[46:47]
	v_mul_f64_e32 v[90:91], v[2:3], v[46:47]
	s_wait_dscnt 0x9
	v_mul_f64_e32 v[92:93], v[4:5], v[50:51]
	v_mul_f64_e32 v[94:95], v[2:3], v[50:51]
	s_wait_dscnt 0x8
	v_mul_f64_e32 v[96:97], v[54:55], v[46:47]
	v_mul_f64_e32 v[98:99], v[52:53], v[46:47]
	v_mul_f64_e32 v[46:47], v[54:55], v[50:51]
	v_mul_f64_e32 v[100:101], v[52:53], v[50:51]
	s_wait_dscnt 0x6
	v_mul_f64_e32 v[102:103], v[58:59], v[62:63]
	v_mul_f64_e32 v[104:105], v[56:57], v[62:63]
	s_wait_dscnt 0x5
	v_mul_f64_e32 v[106:107], v[58:59], v[66:67]
	v_mul_f64_e32 v[108:109], v[56:57], v[66:67]
	s_wait_dscnt 0x4
	v_mul_f64_e32 v[110:111], v[70:71], v[62:63]
	v_mul_f64_e32 v[62:63], v[68:69], v[62:63]
	v_mul_f64_e32 v[112:113], v[70:71], v[66:67]
	v_mul_f64_e32 v[66:67], v[68:69], v[66:67]
	;; [unrolled: 11-line block ×3, first 2 shown]
	v_fma_f64 v[88:89], v[2:3], v[44:45], -v[88:89]
	v_fmac_f64_e32 v[90:91], v[4:5], v[44:45]
	v_fma_f64 v[92:93], v[2:3], v[48:49], -v[92:93]
	v_fmac_f64_e32 v[94:95], v[4:5], v[48:49]
	v_fma_f64 v[96:97], v[52:53], v[44:45], -v[96:97]
	v_fmac_f64_e32 v[98:99], v[54:55], v[44:45]
	v_fma_f64 v[114:115], v[52:53], v[48:49], -v[46:47]
	v_fmac_f64_e32 v[100:101], v[54:55], v[48:49]
	v_fma_f64 v[102:103], v[56:57], v[60:61], -v[102:103]
	v_fmac_f64_e32 v[104:105], v[58:59], v[60:61]
	v_fma_f64 v[56:57], v[56:57], v[64:65], -v[106:107]
	v_fmac_f64_e32 v[108:109], v[58:59], v[64:65]
	v_fma_f64 v[58:59], v[68:69], v[60:61], -v[110:111]
	v_fmac_f64_e32 v[62:63], v[70:71], v[60:61]
	v_fma_f64 v[60:61], v[68:69], v[64:65], -v[112:113]
	v_fmac_f64_e32 v[66:67], v[70:71], v[64:65]
	ds_load_b128 v[2:5], v43 offset:48
	ds_load_b128 v[44:47], v43 offset:2096
	;; [unrolled: 1-line block ×4, first 2 shown]
	v_fma_f64 v[116:117], v[72:73], v[76:77], -v[116:117]
	v_fmac_f64_e32 v[118:119], v[74:75], v[76:77]
	v_fma_f64 v[72:73], v[72:73], v[80:81], -v[120:121]
	v_fmac_f64_e32 v[122:123], v[74:75], v[80:81]
	;; [unrolled: 2-line block ×4, first 2 shown]
	v_add_f64_e32 v[64:65], v[36:37], v[88:89]
	v_add_f64_e32 v[68:69], v[90:91], v[38:39]
	;; [unrolled: 1-line block ×8, first 2 shown]
	s_wait_dscnt 0x1
	v_mul_f64_e32 v[98:99], v[4:5], v[50:51]
	v_mul_f64_e32 v[100:101], v[2:3], v[50:51]
	s_wait_dscnt 0x0
	v_mul_f64_e32 v[106:107], v[4:5], v[54:55]
	v_mul_f64_e32 v[110:111], v[2:3], v[54:55]
	v_mul_f64_e32 v[112:113], v[46:47], v[50:51]
	v_mul_f64_e32 v[114:115], v[44:45], v[50:51]
	v_mul_f64_e32 v[50:51], v[46:47], v[54:55]
	v_mul_f64_e32 v[128:129], v[44:45], v[54:55]
	ds_load_b128 v[20:23], v43 offset:64
	ds_load_b128 v[28:31], v42 offset:2048
	;; [unrolled: 1-line block ×4, first 2 shown]
	v_add_f64_e32 v[80:81], v[64:65], v[102:103]
	v_add_f64_e32 v[84:85], v[104:105], v[68:69]
	;; [unrolled: 1-line block ×8, first 2 shown]
	s_wait_dscnt 0x2
	v_mul_f64_e32 v[96:97], v[22:23], v[30:31]
	v_mul_f64_e32 v[102:103], v[20:21], v[30:31]
	s_wait_dscnt 0x1
	v_mul_f64_e32 v[104:105], v[22:23], v[34:35]
	v_mul_f64_e32 v[108:109], v[20:21], v[34:35]
	;; [unrolled: 3-line block ×3, first 2 shown]
	v_mul_f64_e32 v[30:31], v[38:39], v[34:35]
	v_mul_f64_e32 v[126:127], v[36:37], v[34:35]
	v_fma_f64 v[34:35], v[2:3], v[48:49], -v[98:99]
	v_fmac_f64_e32 v[100:101], v[4:5], v[48:49]
	v_fma_f64 v[98:99], v[2:3], v[52:53], -v[106:107]
	v_fmac_f64_e32 v[110:111], v[4:5], v[52:53]
	;; [unrolled: 2-line block ×4, first 2 shown]
	ds_load_b128 v[54:57], v43 offset:80
	ds_load_b128 v[58:61], v43 offset:2128
	;; [unrolled: 1-line block ×4, first 2 shown]
	v_add_f64_e32 v[52:53], v[80:81], v[116:117]
	v_add_f64_e32 v[80:81], v[118:119], v[84:85]
	;; [unrolled: 1-line block ×8, first 2 shown]
	v_fma_f64 v[96:97], v[20:21], v[28:29], -v[96:97]
	v_fmac_f64_e32 v[102:103], v[22:23], v[28:29]
	v_fma_f64 v[104:105], v[20:21], v[32:33], -v[104:105]
	s_wait_dscnt 0x1
	v_mul_f64_e32 v[88:89], v[56:57], v[64:65]
	v_mul_f64_e32 v[90:91], v[54:55], v[64:65]
	s_wait_dscnt 0x0
	v_mul_f64_e32 v[92:93], v[56:57], v[68:69]
	v_mul_f64_e32 v[94:95], v[54:55], v[68:69]
	;; [unrolled: 1-line block ×6, first 2 shown]
	v_fmac_f64_e32 v[108:109], v[22:23], v[32:33]
	v_fma_f64 v[120:121], v[36:37], v[28:29], -v[120:121]
	v_fmac_f64_e32 v[124:125], v[38:39], v[28:29]
	v_fma_f64 v[122:123], v[36:37], v[32:33], -v[30:31]
	v_fmac_f64_e32 v[126:127], v[38:39], v[32:33]
	ds_load_b128 v[2:5], v43 offset:96
	ds_load_b128 v[44:47], v42 offset:3072
	;; [unrolled: 1-line block ×4, first 2 shown]
	v_add_f64_e32 v[52:53], v[52:53], v[34:35]
	v_add_f64_e32 v[80:81], v[100:101], v[80:81]
	;; [unrolled: 1-line block ×8, first 2 shown]
	ds_load_b128 v[20:23], v43 offset:112
	ds_load_b128 v[28:31], v43 offset:2160
	;; [unrolled: 1-line block ×4, first 2 shown]
	s_wait_dscnt 0x0
	v_mul_f64_e32 v[98:99], v[4:5], v[46:47]
	v_mul_f64_e32 v[100:101], v[2:3], v[46:47]
	;; [unrolled: 1-line block ×8, first 2 shown]
	v_fma_f64 v[88:89], v[54:55], v[62:63], -v[88:89]
	v_fmac_f64_e32 v[90:91], v[56:57], v[62:63]
	v_fma_f64 v[54:55], v[54:55], v[66:67], -v[92:93]
	v_fmac_f64_e32 v[94:95], v[56:57], v[66:67]
	;; [unrolled: 2-line block ×4, first 2 shown]
	s_barrier_signal -1
	s_barrier_wait -1
	v_mul_f64_e32 v[92:93], v[20:21], v[38:39]
	v_add_f64_e32 v[52:53], v[52:53], v[96:97]
	v_add_f64_e32 v[60:61], v[102:103], v[80:81]
	;; [unrolled: 1-line block ×8, first 2 shown]
	v_mul_f64_e32 v[82:83], v[22:23], v[34:35]
	v_mul_f64_e32 v[84:85], v[20:21], v[34:35]
	;; [unrolled: 1-line block ×7, first 2 shown]
	v_fma_f64 v[38:39], v[2:3], v[44:45], -v[98:99]
	v_fmac_f64_e32 v[100:101], v[4:5], v[44:45]
	v_fma_f64 v[2:3], v[2:3], v[48:49], -v[106:107]
	v_fmac_f64_e32 v[110:111], v[4:5], v[48:49]
	;; [unrolled: 2-line block ×4, first 2 shown]
	v_fmac_f64_e32 v[92:93], v[22:23], v[36:37]
	v_add_f64_e32 v[48:49], v[52:53], v[88:89]
	v_add_f64_e32 v[52:53], v[90:91], v[60:61]
	;; [unrolled: 1-line block ×8, first 2 shown]
	v_fma_f64 v[66:67], v[20:21], v[32:33], -v[82:83]
	v_fmac_f64_e32 v[84:85], v[22:23], v[32:33]
	v_fma_f64 v[20:21], v[20:21], v[36:37], -v[86:87]
	v_fma_f64 v[22:23], v[28:29], v[32:33], -v[96:97]
	v_fmac_f64_e32 v[102:103], v[30:31], v[32:33]
	v_fma_f64 v[68:69], v[28:29], v[36:37], -v[34:35]
	v_fmac_f64_e32 v[104:105], v[30:31], v[36:37]
	v_add_f64_e32 v[28:29], v[48:49], v[38:39]
	v_add_f64_e32 v[30:31], v[100:101], v[52:53]
	;; [unrolled: 1-line block ×16, first 2 shown]
	s_cbranch_scc0 .LBB115_16
.LBB115_10:                             ;   Parent Loop BB115_7 Depth=1
                                        ; =>  This Inner Loop Header: Depth=2
	v_add_nc_u32_e32 v1, s16, v40
	v_mov_b64_e32 v[2:3], 0
	v_mov_b64_e32 v[4:5], 0
	s_delay_alu instid0(VALU_DEP_3) | instskip(SKIP_1) | instid1(SALU_CYCLE_1)
	v_cmp_gt_i32_e32 vcc_lo, s19, v1
	s_and_b32 s22, s0, vcc_lo
	s_and_saveexec_b32 s17, s22
	s_cbranch_execz .LBB115_12
; %bb.11:                               ;   in Loop: Header=BB115_10 Depth=2
	global_load_b128 v[2:5], v[24:25], off offset:-8
	s_wait_loadcnt 0x0
	v_xor_b32_e32 v5, 0x80000000, v5
.LBB115_12:                             ;   in Loop: Header=BB115_10 Depth=2
	s_wait_xcnt 0x0
	s_or_b32 exec_lo, exec_lo, s17
	v_add_nc_u32_e32 v1, s16, v6
	ds_store_b128 v7, v[2:5]
	v_cmp_le_i32_e32 vcc_lo, s19, v1
	s_or_b32 s17, vcc_lo, s21
	s_delay_alu instid0(SALU_CYCLE_1) | instskip(NEXT) | instid1(SALU_CYCLE_1)
	s_and_saveexec_b32 s22, s17
	s_xor_b32 s17, exec_lo, s22
; %bb.13:                               ;   in Loop: Header=BB115_10 Depth=2
	v_dual_mov_b32 v1, v0 :: v_dual_mov_b32 v2, v0
	v_mov_b32_e32 v3, v0
	ds_store_b128 v41, v[0:3]
; %bb.14:                               ;   in Loop: Header=BB115_10 Depth=2
	s_and_not1_saveexec_b32 s17, s17
	s_cbranch_execz .LBB115_9
; %bb.15:                               ;   in Loop: Header=BB115_10 Depth=2
	global_load_b128 v[2:5], v[26:27], off
	s_wait_loadcnt 0x0
	ds_store_2addr_b64 v41, v[2:3], v[4:5] offset1:1
	s_branch .LBB115_9
.LBB115_16:                             ;   in Loop: Header=BB115_7 Depth=1
	s_mul_u64 s[16:17], s[30:31], s[28:29]
	s_delay_alu instid0(SALU_CYCLE_1) | instskip(NEXT) | instid1(SALU_CYCLE_1)
	s_lshl_b64 s[16:17], s[16:17], 4
	s_add_nc_u64 s[16:17], s[24:25], s[16:17]
	s_delay_alu instid0(SALU_CYCLE_1)
	v_lshl_add_u64 v[24:25], v[10:11], 4, s[16:17]
	s_and_saveexec_b32 s22, s33
	s_cbranch_execz .LBB115_21
; %bb.17:                               ;   in Loop: Header=BB115_7 Depth=1
	v_mul_f64_e32 v[2:3], s[14:15], v[38:39]
	v_mul_f64_e32 v[4:5], s[12:13], v[38:39]
	v_lshl_add_u64 v[26:27], v[8:9], 4, v[24:25]
	s_and_b32 vcc_lo, exec_lo, s26
	s_mov_b32 s23, -1
	s_delay_alu instid0(VALU_DEP_3) | instskip(NEXT) | instid1(VALU_DEP_3)
	v_fma_f64 v[2:3], s[12:13], v[36:37], -v[2:3]
	v_fmac_f64_e32 v[4:5], s[14:15], v[36:37]
	s_cbranch_vccz .LBB115_19
; %bb.18:                               ;   in Loop: Header=BB115_7 Depth=1
	global_load_b128 v[36:39], v[26:27], off
	s_mov_b32 s23, 0
	s_wait_loadcnt 0x0
	v_mul_f64_e32 v[44:45], s[10:11], v[38:39]
	v_mul_f64_e32 v[38:39], s[8:9], v[38:39]
	s_delay_alu instid0(VALU_DEP_2) | instskip(NEXT) | instid1(VALU_DEP_2)
	v_fma_f64 v[44:45], s[8:9], v[36:37], -v[44:45]
	v_fmac_f64_e32 v[38:39], s[10:11], v[36:37]
	s_delay_alu instid0(VALU_DEP_2) | instskip(NEXT) | instid1(VALU_DEP_2)
	v_add_f64_e32 v[36:37], v[2:3], v[44:45]
	v_add_f64_e32 v[38:39], v[4:5], v[38:39]
	global_store_b128 v[26:27], v[36:39], off
.LBB115_19:                             ;   in Loop: Header=BB115_7 Depth=1
	s_and_not1_b32 vcc_lo, exec_lo, s23
	s_cbranch_vccnz .LBB115_21
; %bb.20:                               ;   in Loop: Header=BB115_7 Depth=1
	global_store_b128 v[26:27], v[2:5], off
.LBB115_21:                             ;   in Loop: Header=BB115_7 Depth=1
	s_wait_xcnt 0x0
	s_or_b32 exec_lo, exec_lo, s22
	s_and_saveexec_b32 s22, s1
	s_cbranch_execz .LBB115_26
; %bb.22:                               ;   in Loop: Header=BB115_7 Depth=1
	v_mul_f64_e32 v[2:3], s[14:15], v[34:35]
	v_mul_f64_e32 v[4:5], s[12:13], v[34:35]
	v_lshl_add_u64 v[24:25], v[14:15], 4, v[24:25]
	s_and_not1_b32 vcc_lo, exec_lo, s26
	s_mov_b32 s23, -1
	s_delay_alu instid0(VALU_DEP_3) | instskip(NEXT) | instid1(VALU_DEP_3)
	v_fma_f64 v[2:3], s[12:13], v[32:33], -v[2:3]
	v_fmac_f64_e32 v[4:5], s[14:15], v[32:33]
	s_cbranch_vccnz .LBB115_24
; %bb.23:                               ;   in Loop: Header=BB115_7 Depth=1
	global_load_b128 v[32:35], v[24:25], off
	s_mov_b32 s23, 0
	s_wait_loadcnt 0x0
	v_mul_f64_e32 v[26:27], s[10:11], v[34:35]
	v_mul_f64_e32 v[34:35], s[8:9], v[34:35]
	s_delay_alu instid0(VALU_DEP_2) | instskip(NEXT) | instid1(VALU_DEP_2)
	v_fma_f64 v[26:27], s[8:9], v[32:33], -v[26:27]
	v_fmac_f64_e32 v[34:35], s[10:11], v[32:33]
	s_delay_alu instid0(VALU_DEP_2) | instskip(NEXT) | instid1(VALU_DEP_2)
	v_add_f64_e32 v[32:33], v[2:3], v[26:27]
	v_add_f64_e32 v[34:35], v[4:5], v[34:35]
	global_store_b128 v[24:25], v[32:35], off
.LBB115_24:                             ;   in Loop: Header=BB115_7 Depth=1
	s_and_not1_b32 vcc_lo, exec_lo, s23
	s_cbranch_vccnz .LBB115_26
; %bb.25:                               ;   in Loop: Header=BB115_7 Depth=1
	global_store_b128 v[24:25], v[2:5], off
.LBB115_26:                             ;   in Loop: Header=BB115_7 Depth=1
	s_wait_xcnt 0x0
	s_or_b32 exec_lo, exec_lo, s22
	v_lshl_add_u64 v[24:25], v[12:13], 4, s[16:17]
	s_and_saveexec_b32 s16, s18
	s_cbranch_execz .LBB115_31
; %bb.27:                               ;   in Loop: Header=BB115_7 Depth=1
	v_mul_f64_e32 v[2:3], s[14:15], v[30:31]
	v_mul_f64_e32 v[4:5], s[12:13], v[30:31]
	v_lshl_add_u64 v[26:27], v[8:9], 4, v[24:25]
	s_and_not1_b32 vcc_lo, exec_lo, s26
	s_mov_b32 s17, -1
	s_delay_alu instid0(VALU_DEP_3) | instskip(NEXT) | instid1(VALU_DEP_3)
	v_fma_f64 v[2:3], s[12:13], v[28:29], -v[2:3]
	v_fmac_f64_e32 v[4:5], s[14:15], v[28:29]
	s_cbranch_vccnz .LBB115_29
; %bb.28:                               ;   in Loop: Header=BB115_7 Depth=1
	global_load_b128 v[28:31], v[26:27], off
	s_mov_b32 s17, 0
	s_wait_loadcnt 0x0
	v_mul_f64_e32 v[32:33], s[10:11], v[30:31]
	v_mul_f64_e32 v[30:31], s[8:9], v[30:31]
	s_delay_alu instid0(VALU_DEP_2) | instskip(NEXT) | instid1(VALU_DEP_2)
	v_fma_f64 v[32:33], s[8:9], v[28:29], -v[32:33]
	v_fmac_f64_e32 v[30:31], s[10:11], v[28:29]
	s_delay_alu instid0(VALU_DEP_2) | instskip(NEXT) | instid1(VALU_DEP_2)
	v_add_f64_e32 v[28:29], v[2:3], v[32:33]
	v_add_f64_e32 v[30:31], v[4:5], v[30:31]
	global_store_b128 v[26:27], v[28:31], off
.LBB115_29:                             ;   in Loop: Header=BB115_7 Depth=1
	s_and_not1_b32 vcc_lo, exec_lo, s17
	s_cbranch_vccnz .LBB115_31
; %bb.30:                               ;   in Loop: Header=BB115_7 Depth=1
	global_store_b128 v[26:27], v[2:5], off
.LBB115_31:                             ;   in Loop: Header=BB115_7 Depth=1
	s_wait_xcnt 0x0
	s_or_b32 exec_lo, exec_lo, s16
	s_and_saveexec_b32 s16, s36
	s_cbranch_execz .LBB115_6
; %bb.32:                               ;   in Loop: Header=BB115_7 Depth=1
	s_delay_alu instid0(VALU_DEP_3) | instskip(SKIP_4) | instid1(VALU_DEP_3)
	v_mul_f64_e32 v[2:3], s[14:15], v[20:21]
	v_mul_f64_e32 v[4:5], s[12:13], v[20:21]
	v_lshl_add_u64 v[20:21], v[14:15], 4, v[24:25]
	s_and_not1_b32 vcc_lo, exec_lo, s26
	s_mov_b32 s17, -1
	v_fma_f64 v[2:3], s[12:13], v[22:23], -v[2:3]
	s_delay_alu instid0(VALU_DEP_3)
	v_fmac_f64_e32 v[4:5], s[14:15], v[22:23]
	s_cbranch_vccnz .LBB115_34
; %bb.33:                               ;   in Loop: Header=BB115_7 Depth=1
	global_load_b128 v[22:25], v[20:21], off
	s_mov_b32 s17, 0
	s_wait_loadcnt 0x0
	v_mul_f64_e32 v[26:27], s[10:11], v[24:25]
	v_mul_f64_e32 v[24:25], s[8:9], v[24:25]
	s_delay_alu instid0(VALU_DEP_2) | instskip(NEXT) | instid1(VALU_DEP_2)
	v_fma_f64 v[26:27], s[8:9], v[22:23], -v[26:27]
	v_fmac_f64_e32 v[24:25], s[10:11], v[22:23]
	s_delay_alu instid0(VALU_DEP_2) | instskip(NEXT) | instid1(VALU_DEP_2)
	v_add_f64_e32 v[22:23], v[2:3], v[26:27]
	v_add_f64_e32 v[24:25], v[4:5], v[24:25]
	global_store_b128 v[20:21], v[22:25], off
.LBB115_34:                             ;   in Loop: Header=BB115_7 Depth=1
	s_and_not1_b32 vcc_lo, exec_lo, s17
	s_cbranch_vccnz .LBB115_6
; %bb.35:                               ;   in Loop: Header=BB115_7 Depth=1
	global_store_b128 v[20:21], v[2:5], off
	s_branch .LBB115_6
.LBB115_36:
.LBB115_37:
	s_sendmsg sendmsg(MSG_DEALLOC_VGPRS)
	s_endpgm
	.section	.rodata,"a",@progbits
	.p2align	6, 0x0
	.amdhsa_kernel _ZL29rocblas_internal_gemmt_kernelIiLi16ELi32ELi8ELc67ELc84ELc85ELb1ELb0E19rocblas_complex_numIdEPKS1_S3_PS1_EviT_T9_T10_S5_lS7_S5_lS6_T11_S5_li
		.amdhsa_group_segment_fixed_size 8192
		.amdhsa_private_segment_fixed_size 0
		.amdhsa_kernarg_size 100
		.amdhsa_user_sgpr_count 2
		.amdhsa_user_sgpr_dispatch_ptr 0
		.amdhsa_user_sgpr_queue_ptr 0
		.amdhsa_user_sgpr_kernarg_segment_ptr 1
		.amdhsa_user_sgpr_dispatch_id 0
		.amdhsa_user_sgpr_kernarg_preload_length 0
		.amdhsa_user_sgpr_kernarg_preload_offset 0
		.amdhsa_user_sgpr_private_segment_size 0
		.amdhsa_wavefront_size32 1
		.amdhsa_uses_dynamic_stack 0
		.amdhsa_enable_private_segment 0
		.amdhsa_system_sgpr_workgroup_id_x 1
		.amdhsa_system_sgpr_workgroup_id_y 1
		.amdhsa_system_sgpr_workgroup_id_z 1
		.amdhsa_system_sgpr_workgroup_info 0
		.amdhsa_system_vgpr_workitem_id 1
		.amdhsa_next_free_vgpr 130
		.amdhsa_next_free_sgpr 41
		.amdhsa_named_barrier_count 0
		.amdhsa_reserve_vcc 1
		.amdhsa_float_round_mode_32 0
		.amdhsa_float_round_mode_16_64 0
		.amdhsa_float_denorm_mode_32 3
		.amdhsa_float_denorm_mode_16_64 3
		.amdhsa_fp16_overflow 0
		.amdhsa_memory_ordered 1
		.amdhsa_forward_progress 1
		.amdhsa_inst_pref_size 23
		.amdhsa_round_robin_scheduling 0
		.amdhsa_exception_fp_ieee_invalid_op 0
		.amdhsa_exception_fp_denorm_src 0
		.amdhsa_exception_fp_ieee_div_zero 0
		.amdhsa_exception_fp_ieee_overflow 0
		.amdhsa_exception_fp_ieee_underflow 0
		.amdhsa_exception_fp_ieee_inexact 0
		.amdhsa_exception_int_div_zero 0
	.end_amdhsa_kernel
	.section	.text._ZL29rocblas_internal_gemmt_kernelIiLi16ELi32ELi8ELc67ELc84ELc85ELb1ELb0E19rocblas_complex_numIdEPKS1_S3_PS1_EviT_T9_T10_S5_lS7_S5_lS6_T11_S5_li,"axG",@progbits,_ZL29rocblas_internal_gemmt_kernelIiLi16ELi32ELi8ELc67ELc84ELc85ELb1ELb0E19rocblas_complex_numIdEPKS1_S3_PS1_EviT_T9_T10_S5_lS7_S5_lS6_T11_S5_li,comdat
.Lfunc_end115:
	.size	_ZL29rocblas_internal_gemmt_kernelIiLi16ELi32ELi8ELc67ELc84ELc85ELb1ELb0E19rocblas_complex_numIdEPKS1_S3_PS1_EviT_T9_T10_S5_lS7_S5_lS6_T11_S5_li, .Lfunc_end115-_ZL29rocblas_internal_gemmt_kernelIiLi16ELi32ELi8ELc67ELc84ELc85ELb1ELb0E19rocblas_complex_numIdEPKS1_S3_PS1_EviT_T9_T10_S5_lS7_S5_lS6_T11_S5_li
                                        ; -- End function
	.set _ZL29rocblas_internal_gemmt_kernelIiLi16ELi32ELi8ELc67ELc84ELc85ELb1ELb0E19rocblas_complex_numIdEPKS1_S3_PS1_EviT_T9_T10_S5_lS7_S5_lS6_T11_S5_li.num_vgpr, 130
	.set _ZL29rocblas_internal_gemmt_kernelIiLi16ELi32ELi8ELc67ELc84ELc85ELb1ELb0E19rocblas_complex_numIdEPKS1_S3_PS1_EviT_T9_T10_S5_lS7_S5_lS6_T11_S5_li.num_agpr, 0
	.set _ZL29rocblas_internal_gemmt_kernelIiLi16ELi32ELi8ELc67ELc84ELc85ELb1ELb0E19rocblas_complex_numIdEPKS1_S3_PS1_EviT_T9_T10_S5_lS7_S5_lS6_T11_S5_li.numbered_sgpr, 41
	.set _ZL29rocblas_internal_gemmt_kernelIiLi16ELi32ELi8ELc67ELc84ELc85ELb1ELb0E19rocblas_complex_numIdEPKS1_S3_PS1_EviT_T9_T10_S5_lS7_S5_lS6_T11_S5_li.num_named_barrier, 0
	.set _ZL29rocblas_internal_gemmt_kernelIiLi16ELi32ELi8ELc67ELc84ELc85ELb1ELb0E19rocblas_complex_numIdEPKS1_S3_PS1_EviT_T9_T10_S5_lS7_S5_lS6_T11_S5_li.private_seg_size, 0
	.set _ZL29rocblas_internal_gemmt_kernelIiLi16ELi32ELi8ELc67ELc84ELc85ELb1ELb0E19rocblas_complex_numIdEPKS1_S3_PS1_EviT_T9_T10_S5_lS7_S5_lS6_T11_S5_li.uses_vcc, 1
	.set _ZL29rocblas_internal_gemmt_kernelIiLi16ELi32ELi8ELc67ELc84ELc85ELb1ELb0E19rocblas_complex_numIdEPKS1_S3_PS1_EviT_T9_T10_S5_lS7_S5_lS6_T11_S5_li.uses_flat_scratch, 0
	.set _ZL29rocblas_internal_gemmt_kernelIiLi16ELi32ELi8ELc67ELc84ELc85ELb1ELb0E19rocblas_complex_numIdEPKS1_S3_PS1_EviT_T9_T10_S5_lS7_S5_lS6_T11_S5_li.has_dyn_sized_stack, 0
	.set _ZL29rocblas_internal_gemmt_kernelIiLi16ELi32ELi8ELc67ELc84ELc85ELb1ELb0E19rocblas_complex_numIdEPKS1_S3_PS1_EviT_T9_T10_S5_lS7_S5_lS6_T11_S5_li.has_recursion, 0
	.set _ZL29rocblas_internal_gemmt_kernelIiLi16ELi32ELi8ELc67ELc84ELc85ELb1ELb0E19rocblas_complex_numIdEPKS1_S3_PS1_EviT_T9_T10_S5_lS7_S5_lS6_T11_S5_li.has_indirect_call, 0
	.section	.AMDGPU.csdata,"",@progbits
; Kernel info:
; codeLenInByte = 2944
; TotalNumSgprs: 43
; NumVgprs: 130
; ScratchSize: 0
; MemoryBound: 1
; FloatMode: 240
; IeeeMode: 1
; LDSByteSize: 8192 bytes/workgroup (compile time only)
; SGPRBlocks: 0
; VGPRBlocks: 8
; NumSGPRsForWavesPerEU: 43
; NumVGPRsForWavesPerEU: 130
; NamedBarCnt: 0
; Occupancy: 7
; WaveLimiterHint : 0
; COMPUTE_PGM_RSRC2:SCRATCH_EN: 0
; COMPUTE_PGM_RSRC2:USER_SGPR: 2
; COMPUTE_PGM_RSRC2:TRAP_HANDLER: 0
; COMPUTE_PGM_RSRC2:TGID_X_EN: 1
; COMPUTE_PGM_RSRC2:TGID_Y_EN: 1
; COMPUTE_PGM_RSRC2:TGID_Z_EN: 1
; COMPUTE_PGM_RSRC2:TIDIG_COMP_CNT: 1
	.section	.text._ZL29rocblas_internal_gemmt_kernelIiLi16ELi32ELi8ELc67ELc67ELc85ELb1ELb1E19rocblas_complex_numIdEPKS1_S3_PS1_EviT_T9_T10_S5_lS7_S5_lS6_T11_S5_li,"axG",@progbits,_ZL29rocblas_internal_gemmt_kernelIiLi16ELi32ELi8ELc67ELc67ELc85ELb1ELb1E19rocblas_complex_numIdEPKS1_S3_PS1_EviT_T9_T10_S5_lS7_S5_lS6_T11_S5_li,comdat
	.globl	_ZL29rocblas_internal_gemmt_kernelIiLi16ELi32ELi8ELc67ELc67ELc85ELb1ELb1E19rocblas_complex_numIdEPKS1_S3_PS1_EviT_T9_T10_S5_lS7_S5_lS6_T11_S5_li ; -- Begin function _ZL29rocblas_internal_gemmt_kernelIiLi16ELi32ELi8ELc67ELc67ELc85ELb1ELb1E19rocblas_complex_numIdEPKS1_S3_PS1_EviT_T9_T10_S5_lS7_S5_lS6_T11_S5_li
	.p2align	8
	.type	_ZL29rocblas_internal_gemmt_kernelIiLi16ELi32ELi8ELc67ELc67ELc85ELb1ELb1E19rocblas_complex_numIdEPKS1_S3_PS1_EviT_T9_T10_S5_lS7_S5_lS6_T11_S5_li,@function
_ZL29rocblas_internal_gemmt_kernelIiLi16ELi32ELi8ELc67ELc67ELc85ELb1ELb1E19rocblas_complex_numIdEPKS1_S3_PS1_EviT_T9_T10_S5_lS7_S5_lS6_T11_S5_li: ; @_ZL29rocblas_internal_gemmt_kernelIiLi16ELi32ELi8ELc67ELc67ELc85ELb1ELb1E19rocblas_complex_numIdEPKS1_S3_PS1_EviT_T9_T10_S5_lS7_S5_lS6_T11_S5_li
; %bb.0:
	s_load_b128 s[16:19], s[0:1], 0x38
	s_wait_kmcnt 0x0
	s_load_b128 s[8:11], s[18:19], 0x0
	s_load_b128 s[4:7], s[0:1], 0x8
	s_wait_xcnt 0x0
	s_load_b64 s[18:19], s[0:1], 0x0
	s_wait_kmcnt 0x0
	v_cmp_eq_f64_e64 s2, s[8:9], 1.0
	v_cmp_eq_f64_e64 s33, s[10:11], 0
	s_load_b128 s[12:15], s[4:5], 0x0
	s_and_b32 s2, s2, s33
	s_delay_alu instid0(SALU_CYCLE_1)
	s_and_not1_b32 vcc_lo, exec_lo, s2
	s_mov_b32 s2, -1
	s_cbranch_vccnz .LBB116_3
; %bb.1:
	s_cmp_lg_u32 s19, 0
	s_cbranch_scc0 .LBB116_34
; %bb.2:
	s_wait_kmcnt 0x0
	v_cmp_neq_f64_e64 s2, s[12:13], 0
	v_cmp_neq_f64_e64 s3, s[14:15], 0
	s_or_b32 s2, s2, s3
.LBB116_3:
	s_delay_alu instid0(SALU_CYCLE_1)
	s_and_b32 vcc_lo, exec_lo, s2
	s_cbranch_vccz .LBB116_35
; %bb.4:
	s_load_b32 s27, s[0:1], 0x60
	s_bfe_u32 s2, ttmp6, 0x40014
	s_lshr_b32 s3, ttmp7, 16
	s_add_co_i32 s2, s2, 1
	s_wait_xcnt 0x0
	s_bfe_u32 s5, ttmp6, 0x40008
	s_mul_i32 s2, s3, s2
	s_getreg_b32 s4, hwreg(HW_REG_IB_STS2, 6, 4)
	s_add_co_i32 s5, s5, s2
	s_cmp_eq_u32 s4, 0
	s_mov_b32 s29, 0
	s_cselect_b32 s28, s3, s5
	s_wait_kmcnt 0x0
	s_cmp_ge_u32 s28, s27
	s_cbranch_scc1 .LBB116_35
; %bb.5:
	s_clause 0x3
	s_load_b32 s2, s[0:1], 0x18
	s_load_b32 s34, s[0:1], 0x30
	s_load_b96 s[24:26], s[0:1], 0x48
	s_load_b128 s[20:23], s[0:1], 0x20
	v_and_b32_e32 v11, 0x3ff, v0
	v_bfe_u32 v17, v0, 10, 10
	s_load_b64 s[30:31], s[0:1], 0x58
	s_wait_xcnt 0x0
	s_bfe_u32 s1, ttmp6, 0x4000c
	s_bfe_u32 s3, ttmp6, 0x40010
	s_and_b32 s36, ttmp7, 0xffff
	s_add_co_i32 s1, s1, 1
	s_add_co_i32 s3, s3, 1
	v_lshl_add_u32 v3, v17, 4, v11
	s_and_b32 s0, ttmp6, 15
	s_mul_i32 s1, ttmp9, s1
	s_mul_i32 s39, s36, s3
	s_bfe_u32 s40, ttmp6, 0x40004
	s_add_co_i32 s0, s0, s1
	s_add_co_i32 s40, s40, s39
	v_dual_mov_b32 v1, 0 :: v_dual_bitop2_b32 v10, 31, v3 bitop3:0x40
	s_wait_kmcnt 0x0
	s_ashr_i32 s3, s2, 31
	s_ashr_i32 s35, s34, 31
	;; [unrolled: 1-line block ×3, first 2 shown]
	s_cmp_eq_u32 s4, 0
	v_dual_lshrrev_b32 v0, 3, v3 :: v_dual_bitop2_b32 v8, 7, v0 bitop3:0x40
	s_cselect_b32 s0, ttmp9, s0
	s_cselect_b32 s1, s36, s40
	s_lshl_b32 s36, s0, 5
	s_delay_alu instid0(SALU_CYCLE_1) | instskip(SKIP_4) | instid1(SALU_CYCLE_1)
	v_dual_lshrrev_b32 v42, 5, v3 :: v_dual_bitop2_b32 v2, s36, v10 bitop3:0x54
	v_cmp_neq_f64_e64 s37, s[12:13], 0
	v_cmp_neq_f64_e64 s38, s[14:15], 0
	v_mov_b32_e32 v9, v1
	s_lshl_b32 s0, s1, 5
	v_dual_ashrrev_i32 v3, 31, v2 :: v_dual_add_nc_u32 v18, s0, v0
	v_add_nc_u32_e32 v20, s0, v17
	s_delay_alu instid0(VALU_DEP_3) | instskip(SKIP_1) | instid1(VALU_DEP_4)
	v_mul_u64_e32 v[6:7], s[34:35], v[8:9]
	v_cmp_neq_f64_e64 s39, s[8:9], 0
	v_mul_u64_e32 v[4:5], s[2:3], v[2:3]
	v_dual_lshlrev_b32 v3, 4, v8 :: v_dual_lshlrev_b32 v9, 4, v10
	v_cmp_gt_i32_e64 s0, s18, v2
	v_dual_add_nc_u32 v2, 16, v20 :: v_dual_ashrrev_i32 v21, 31, v20
	s_delay_alu instid0(VALU_DEP_3) | instskip(SKIP_1) | instid1(VALU_DEP_2)
	v_lshl_or_b32 v0, v0, 7, v3
	s_mov_b32 s4, s26
	v_dual_add_nc_u32 v10, s36, v11 :: v_dual_ashrrev_i32 v3, 31, v2
	s_delay_alu instid0(VALU_DEP_3) | instskip(SKIP_2) | instid1(VALU_DEP_4)
	v_mul_u64_e32 v[12:13], s[4:5], v[20:21]
	v_dual_ashrrev_i32 v19, 31, v18 :: v_dual_lshlrev_b32 v44, 4, v11
	v_cmp_gt_i32_e64 s1, s18, v18
	v_mul_u64_e32 v[14:15], s[4:5], v[2:3]
	v_add_nc_u32_e32 v43, 0x1000, v0
	s_delay_alu instid0(VALU_DEP_4) | instskip(SKIP_4) | instid1(VALU_DEP_4)
	v_lshlrev_b64_e32 v[18:19], 4, v[18:19]
	v_dual_add_nc_u32 v16, 16, v10 :: v_dual_ashrrev_i32 v11, 31, v10
	v_lshlrev_b32_e32 v0, 4, v42
	v_lshl_add_u32 v45, v17, 7, 0x1000
	v_cmp_le_i32_e64 s4, v10, v2
	v_ashrrev_i32_e32 v17, 31, v16
	v_cmp_le_i32_e64 s5, v16, v2
	s_or_b32 s37, s37, s38
	s_cmp_gt_i32 s19, 0
	v_cmp_gt_i32_e32 vcc_lo, s18, v20
	s_cselect_b32 s38, -1, 0
	s_xor_b32 s3, s33, -1
	v_cmp_le_i32_e64 s2, v10, v20
	v_lshl_or_b32 v9, v42, 9, v9
	s_or_b32 s26, s39, s3
	v_lshl_add_u64 v[0:1], v[4:5], 4, v[0:1]
	v_lshl_add_u64 v[4:5], v[6:7], 4, v[18:19]
	v_cmp_gt_i32_e64 s3, s18, v2
	s_and_b32 s33, vcc_lo, s2
	v_cmp_le_i32_e64 s2, v16, v20
	v_add_nc_u64_e32 v[0:1], s[6:7], v[0:1]
	v_add_nc_u64_e32 v[2:3], s[22:23], v[4:5]
	s_and_b32 s22, s3, s4
	s_and_b32 s23, s3, s5
	s_and_b32 s18, vcc_lo, s2
	s_and_b32 s36, s37, s38
	s_lshl_b64 s[2:3], s[20:21], 4
	v_add_nc_u64_e32 v[18:19], 8, v[0:1]
	v_add_nc_u64_e32 v[20:21], 8, v[2:3]
	s_lshl_b64 s[4:5], s[16:17], 4
	s_lshl_b64 s[6:7], s[34:35], 7
	s_branch .LBB116_7
.LBB116_6:                              ;   in Loop: Header=BB116_7 Depth=1
	s_wait_xcnt 0x0
	s_or_b32 exec_lo, exec_lo, s16
	s_add_co_i32 s28, s28, 0x10000
	s_delay_alu instid0(SALU_CYCLE_1)
	s_cmp_lt_u32 s28, s27
	s_cbranch_scc0 .LBB116_35
.LBB116_7:                              ; =>This Loop Header: Depth=1
                                        ;     Child Loop BB116_10 Depth 2
	v_mov_b64_e32 v[38:39], 0
	v_mov_b64_e32 v[40:41], 0
	;; [unrolled: 1-line block ×8, first 2 shown]
	s_and_not1_b32 vcc_lo, exec_lo, s36
	s_cbranch_vccnz .LBB116_14
; %bb.8:                                ;   in Loop: Header=BB116_7 Depth=1
	v_mad_nc_u64_u32 v[26:27], s2, s28, v[18:19]
	v_mad_nc_u64_u32 v[28:29], s4, s28, v[20:21]
	v_mov_b64_e32 v[22:23], 0
	v_mov_b64_e32 v[24:25], 0
	;; [unrolled: 1-line block ×8, first 2 shown]
	s_mov_b32 s16, 0
	v_mad_u32 v27, s3, s28, v27
	v_mad_u32 v29, s5, s28, v29
	s_branch .LBB116_10
.LBB116_9:                              ;   in Loop: Header=BB116_10 Depth=2
	s_wait_xcnt 0x0
	s_or_b32 exec_lo, exec_lo, s17
	ds_store_b128 v43, v[4:7]
	s_wait_dscnt 0x0
	s_barrier_signal -1
	s_barrier_wait -1
	ds_load_b128 v[0:3], v45
	ds_load_b128 v[4:7], v44
	ds_load_b128 v[46:49], v44 offset:256
	ds_load_b128 v[50:53], v45 offset:2048
	;; [unrolled: 1-line block ×10, first 2 shown]
	v_add_nc_u64_e32 v[26:27], 0x80, v[26:27]
	v_add_nc_u64_e32 v[28:29], s[6:7], v[28:29]
	s_add_co_i32 s16, s16, 8
	s_delay_alu instid0(SALU_CYCLE_1)
	s_cmp_lt_i32 s16, s19
	s_wait_dscnt 0xa
	v_mul_f64_e32 v[86:87], v[2:3], v[6:7]
	v_mul_f64_e32 v[88:89], v[0:1], v[6:7]
	s_wait_dscnt 0x9
	v_mul_f64_e32 v[90:91], v[2:3], v[48:49]
	v_mul_f64_e32 v[92:93], v[0:1], v[48:49]
	s_wait_dscnt 0x8
	v_mul_f64_e32 v[94:95], v[52:53], v[6:7]
	v_mul_f64_e32 v[96:97], v[50:51], v[6:7]
	v_mul_f64_e32 v[6:7], v[52:53], v[48:49]
	v_mul_f64_e32 v[98:99], v[50:51], v[48:49]
	s_wait_dscnt 0x6
	v_mul_f64_e32 v[100:101], v[56:57], v[60:61]
	v_mul_f64_e32 v[102:103], v[54:55], v[60:61]
	s_wait_dscnt 0x5
	v_mul_f64_e32 v[104:105], v[56:57], v[64:65]
	v_mul_f64_e32 v[106:107], v[54:55], v[64:65]
	s_wait_dscnt 0x4
	v_mul_f64_e32 v[108:109], v[68:69], v[60:61]
	v_mul_f64_e32 v[60:61], v[66:67], v[60:61]
	v_mul_f64_e32 v[110:111], v[68:69], v[64:65]
	v_mul_f64_e32 v[64:65], v[66:67], v[64:65]
	;; [unrolled: 11-line block ×3, first 2 shown]
	v_fma_f64 v[86:87], v[0:1], v[4:5], -v[86:87]
	v_fmac_f64_e32 v[88:89], v[2:3], v[4:5]
	v_fma_f64 v[90:91], v[0:1], v[46:47], -v[90:91]
	v_fmac_f64_e32 v[92:93], v[2:3], v[46:47]
	;; [unrolled: 2-line block ×8, first 2 shown]
	ds_load_b128 v[0:3], v45 offset:48
	ds_load_b128 v[4:7], v45 offset:2096
	;; [unrolled: 1-line block ×4, first 2 shown]
	v_fma_f64 v[114:115], v[70:71], v[74:75], -v[114:115]
	v_fmac_f64_e32 v[116:117], v[72:73], v[74:75]
	v_fma_f64 v[70:71], v[70:71], v[78:79], -v[118:119]
	v_fmac_f64_e32 v[120:121], v[72:73], v[78:79]
	v_fma_f64 v[72:73], v[82:83], v[74:75], -v[122:123]
	v_fmac_f64_e32 v[76:77], v[84:85], v[74:75]
	v_fma_f64 v[74:75], v[82:83], v[78:79], -v[124:125]
	v_fmac_f64_e32 v[80:81], v[84:85], v[78:79]
	v_add_f64_e32 v[62:63], v[38:39], v[86:87]
	v_add_f64_e32 v[66:67], v[88:89], v[40:41]
	;; [unrolled: 1-line block ×8, first 2 shown]
	s_wait_dscnt 0x1
	v_mul_f64_e32 v[96:97], v[2:3], v[48:49]
	v_mul_f64_e32 v[98:99], v[0:1], v[48:49]
	s_wait_dscnt 0x0
	v_mul_f64_e32 v[104:105], v[2:3], v[52:53]
	v_mul_f64_e32 v[108:109], v[0:1], v[52:53]
	;; [unrolled: 1-line block ×6, first 2 shown]
	ds_load_b128 v[22:25], v45 offset:64
	ds_load_b128 v[30:33], v44 offset:2048
	ds_load_b128 v[34:37], v44 offset:2304
	ds_load_b128 v[38:41], v45 offset:2112
	v_add_f64_e32 v[78:79], v[62:63], v[100:101]
	v_add_f64_e32 v[82:83], v[102:103], v[66:67]
	;; [unrolled: 1-line block ×8, first 2 shown]
	s_wait_dscnt 0x2
	v_mul_f64_e32 v[94:95], v[24:25], v[32:33]
	v_mul_f64_e32 v[100:101], v[22:23], v[32:33]
	s_wait_dscnt 0x1
	v_mul_f64_e32 v[102:103], v[24:25], v[36:37]
	v_mul_f64_e32 v[106:107], v[22:23], v[36:37]
	;; [unrolled: 3-line block ×3, first 2 shown]
	v_mul_f64_e32 v[32:33], v[40:41], v[36:37]
	v_mul_f64_e32 v[124:125], v[38:39], v[36:37]
	v_fma_f64 v[36:37], v[0:1], v[46:47], -v[96:97]
	v_fmac_f64_e32 v[98:99], v[2:3], v[46:47]
	v_fma_f64 v[96:97], v[0:1], v[50:51], -v[104:105]
	v_fmac_f64_e32 v[108:109], v[2:3], v[50:51]
	v_fma_f64 v[104:105], v[4:5], v[46:47], -v[110:111]
	v_fmac_f64_e32 v[112:113], v[6:7], v[46:47]
	v_fma_f64 v[110:111], v[4:5], v[50:51], -v[48:49]
	v_fmac_f64_e32 v[126:127], v[6:7], v[50:51]
	ds_load_b128 v[52:55], v45 offset:80
	ds_load_b128 v[56:59], v45 offset:2128
	;; [unrolled: 1-line block ×4, first 2 shown]
	v_add_f64_e32 v[50:51], v[78:79], v[114:115]
	v_add_f64_e32 v[78:79], v[116:117], v[82:83]
	;; [unrolled: 1-line block ×8, first 2 shown]
	v_fma_f64 v[94:95], v[22:23], v[30:31], -v[94:95]
	v_fmac_f64_e32 v[100:101], v[24:25], v[30:31]
	v_fma_f64 v[102:103], v[22:23], v[34:35], -v[102:103]
	s_wait_dscnt 0x1
	v_mul_f64_e32 v[86:87], v[54:55], v[62:63]
	v_mul_f64_e32 v[88:89], v[52:53], v[62:63]
	s_wait_dscnt 0x0
	v_mul_f64_e32 v[90:91], v[54:55], v[66:67]
	v_mul_f64_e32 v[92:93], v[52:53], v[66:67]
	;; [unrolled: 1-line block ×6, first 2 shown]
	v_fmac_f64_e32 v[106:107], v[24:25], v[34:35]
	v_fma_f64 v[118:119], v[38:39], v[30:31], -v[118:119]
	v_fmac_f64_e32 v[122:123], v[40:41], v[30:31]
	v_fma_f64 v[120:121], v[38:39], v[34:35], -v[32:33]
	v_fmac_f64_e32 v[124:125], v[40:41], v[34:35]
	ds_load_b128 v[0:3], v45 offset:96
	ds_load_b128 v[4:7], v44 offset:3072
	;; [unrolled: 1-line block ×4, first 2 shown]
	v_add_f64_e32 v[50:51], v[50:51], v[36:37]
	v_add_f64_e32 v[78:79], v[98:99], v[78:79]
	;; [unrolled: 1-line block ×8, first 2 shown]
	ds_load_b128 v[22:25], v45 offset:112
	ds_load_b128 v[30:33], v45 offset:2160
	;; [unrolled: 1-line block ×4, first 2 shown]
	s_wait_dscnt 0x0
	v_mul_f64_e32 v[96:97], v[2:3], v[6:7]
	v_mul_f64_e32 v[98:99], v[0:1], v[6:7]
	;; [unrolled: 1-line block ×8, first 2 shown]
	v_fma_f64 v[86:87], v[52:53], v[60:61], -v[86:87]
	v_fmac_f64_e32 v[88:89], v[54:55], v[60:61]
	v_fma_f64 v[52:53], v[52:53], v[64:65], -v[90:91]
	v_fmac_f64_e32 v[92:93], v[54:55], v[64:65]
	;; [unrolled: 2-line block ×4, first 2 shown]
	s_barrier_signal -1
	s_barrier_wait -1
	v_mul_f64_e32 v[90:91], v[22:23], v[40:41]
	v_add_f64_e32 v[50:51], v[50:51], v[94:95]
	v_add_f64_e32 v[58:59], v[100:101], v[78:79]
	;; [unrolled: 1-line block ×8, first 2 shown]
	v_mul_f64_e32 v[80:81], v[24:25], v[36:37]
	v_mul_f64_e32 v[82:83], v[22:23], v[36:37]
	v_mul_f64_e32 v[84:85], v[24:25], v[40:41]
	v_mul_f64_e32 v[94:95], v[32:33], v[36:37]
	v_mul_f64_e32 v[100:101], v[30:31], v[36:37]
	v_mul_f64_e32 v[36:37], v[32:33], v[40:41]
	v_mul_f64_e32 v[102:103], v[30:31], v[40:41]
	v_fma_f64 v[40:41], v[0:1], v[4:5], -v[96:97]
	v_fmac_f64_e32 v[98:99], v[2:3], v[4:5]
	v_fma_f64 v[0:1], v[0:1], v[46:47], -v[104:105]
	v_fmac_f64_e32 v[108:109], v[2:3], v[46:47]
	;; [unrolled: 2-line block ×4, first 2 shown]
	v_fmac_f64_e32 v[90:91], v[24:25], v[38:39]
	v_add_f64_e32 v[46:47], v[50:51], v[86:87]
	v_add_f64_e32 v[50:51], v[88:89], v[58:59]
	;; [unrolled: 1-line block ×8, first 2 shown]
	v_fma_f64 v[64:65], v[22:23], v[34:35], -v[80:81]
	v_fmac_f64_e32 v[82:83], v[24:25], v[34:35]
	v_fma_f64 v[22:23], v[22:23], v[38:39], -v[84:85]
	v_fma_f64 v[24:25], v[30:31], v[34:35], -v[94:95]
	v_fmac_f64_e32 v[100:101], v[32:33], v[34:35]
	v_fma_f64 v[66:67], v[30:31], v[38:39], -v[36:37]
	v_fmac_f64_e32 v[102:103], v[32:33], v[38:39]
	v_add_f64_e32 v[30:31], v[46:47], v[40:41]
	v_add_f64_e32 v[32:33], v[98:99], v[50:51]
	;; [unrolled: 1-line block ×16, first 2 shown]
	s_cbranch_scc0 .LBB116_14
.LBB116_10:                             ;   Parent Loop BB116_7 Depth=1
                                        ; =>  This Inner Loop Header: Depth=2
	v_add_nc_u32_e32 v2, s16, v42
	v_mov_b64_e32 v[0:1], 0
	s_delay_alu instid0(VALU_DEP_2) | instskip(SKIP_2) | instid1(SALU_CYCLE_1)
	v_cmp_gt_i32_e32 vcc_lo, s19, v2
	v_mov_b64_e32 v[2:3], 0
	s_and_b32 s20, s0, vcc_lo
	s_and_saveexec_b32 s17, s20
	s_cbranch_execz .LBB116_12
; %bb.11:                               ;   in Loop: Header=BB116_10 Depth=2
	global_load_b128 v[0:3], v[26:27], off offset:-8
	s_wait_loadcnt 0x0
	v_xor_b32_e32 v3, 0x80000000, v3
.LBB116_12:                             ;   in Loop: Header=BB116_10 Depth=2
	s_wait_xcnt 0x0
	s_or_b32 exec_lo, exec_lo, s17
	v_add_nc_u32_e32 v6, s16, v8
	v_mov_b64_e32 v[4:5], 0
	ds_store_b128 v9, v[0:3]
	v_cmp_gt_i32_e32 vcc_lo, s19, v6
	v_mov_b64_e32 v[6:7], 0
	s_and_b32 s20, vcc_lo, s1
	s_delay_alu instid0(SALU_CYCLE_1)
	s_and_saveexec_b32 s17, s20
	s_cbranch_execz .LBB116_9
; %bb.13:                               ;   in Loop: Header=BB116_10 Depth=2
	global_load_b128 v[4:7], v[28:29], off offset:-8
	s_wait_loadcnt 0x0
	v_xor_b32_e32 v7, 0x80000000, v7
	s_branch .LBB116_9
.LBB116_14:                             ;   in Loop: Header=BB116_7 Depth=1
	s_mul_u64 s[16:17], s[30:31], s[28:29]
	s_delay_alu instid0(SALU_CYCLE_1) | instskip(NEXT) | instid1(SALU_CYCLE_1)
	s_lshl_b64 s[16:17], s[16:17], 4
	s_add_nc_u64 s[16:17], s[24:25], s[16:17]
	s_delay_alu instid0(SALU_CYCLE_1)
	v_lshl_add_u64 v[4:5], v[12:13], 4, s[16:17]
	s_and_saveexec_b32 s20, s33
	s_cbranch_execz .LBB116_19
; %bb.15:                               ;   in Loop: Header=BB116_7 Depth=1
	v_mul_f64_e32 v[0:1], s[14:15], v[40:41]
	v_mul_f64_e32 v[2:3], s[12:13], v[40:41]
	v_lshl_add_u64 v[6:7], v[10:11], 4, v[4:5]
	s_and_b32 vcc_lo, exec_lo, s26
	s_mov_b32 s21, -1
	s_delay_alu instid0(VALU_DEP_3) | instskip(NEXT) | instid1(VALU_DEP_3)
	v_fma_f64 v[0:1], s[12:13], v[38:39], -v[0:1]
	v_fmac_f64_e32 v[2:3], s[14:15], v[38:39]
	s_cbranch_vccz .LBB116_17
; %bb.16:                               ;   in Loop: Header=BB116_7 Depth=1
	global_load_b128 v[26:29], v[6:7], off
	s_mov_b32 s21, 0
	s_wait_loadcnt 0x0
	v_mul_f64_e32 v[38:39], s[10:11], v[28:29]
	v_mul_f64_e32 v[28:29], s[8:9], v[28:29]
	s_delay_alu instid0(VALU_DEP_2) | instskip(NEXT) | instid1(VALU_DEP_2)
	v_fma_f64 v[38:39], s[8:9], v[26:27], -v[38:39]
	v_fmac_f64_e32 v[28:29], s[10:11], v[26:27]
	s_delay_alu instid0(VALU_DEP_2) | instskip(NEXT) | instid1(VALU_DEP_2)
	v_add_f64_e32 v[26:27], v[0:1], v[38:39]
	v_add_f64_e32 v[28:29], v[2:3], v[28:29]
	global_store_b128 v[6:7], v[26:29], off
.LBB116_17:                             ;   in Loop: Header=BB116_7 Depth=1
	s_and_not1_b32 vcc_lo, exec_lo, s21
	s_cbranch_vccnz .LBB116_19
; %bb.18:                               ;   in Loop: Header=BB116_7 Depth=1
	global_store_b128 v[6:7], v[0:3], off
.LBB116_19:                             ;   in Loop: Header=BB116_7 Depth=1
	s_wait_xcnt 0x0
	s_or_b32 exec_lo, exec_lo, s20
	s_and_saveexec_b32 s20, s18
	s_cbranch_execz .LBB116_24
; %bb.20:                               ;   in Loop: Header=BB116_7 Depth=1
	v_mul_f64_e32 v[0:1], s[14:15], v[36:37]
	v_mul_f64_e32 v[2:3], s[12:13], v[36:37]
	v_lshl_add_u64 v[4:5], v[16:17], 4, v[4:5]
	s_and_not1_b32 vcc_lo, exec_lo, s26
	s_mov_b32 s21, -1
	s_delay_alu instid0(VALU_DEP_3) | instskip(NEXT) | instid1(VALU_DEP_3)
	v_fma_f64 v[0:1], s[12:13], v[34:35], -v[0:1]
	v_fmac_f64_e32 v[2:3], s[14:15], v[34:35]
	s_cbranch_vccnz .LBB116_22
; %bb.21:                               ;   in Loop: Header=BB116_7 Depth=1
	global_load_b128 v[26:29], v[4:5], off
	s_mov_b32 s21, 0
	s_wait_loadcnt 0x0
	v_mul_f64_e32 v[6:7], s[10:11], v[28:29]
	v_mul_f64_e32 v[28:29], s[8:9], v[28:29]
	s_delay_alu instid0(VALU_DEP_2) | instskip(NEXT) | instid1(VALU_DEP_2)
	v_fma_f64 v[6:7], s[8:9], v[26:27], -v[6:7]
	v_fmac_f64_e32 v[28:29], s[10:11], v[26:27]
	s_delay_alu instid0(VALU_DEP_2) | instskip(NEXT) | instid1(VALU_DEP_2)
	v_add_f64_e32 v[26:27], v[0:1], v[6:7]
	v_add_f64_e32 v[28:29], v[2:3], v[28:29]
	global_store_b128 v[4:5], v[26:29], off
.LBB116_22:                             ;   in Loop: Header=BB116_7 Depth=1
	s_and_not1_b32 vcc_lo, exec_lo, s21
	s_cbranch_vccnz .LBB116_24
; %bb.23:                               ;   in Loop: Header=BB116_7 Depth=1
	global_store_b128 v[4:5], v[0:3], off
.LBB116_24:                             ;   in Loop: Header=BB116_7 Depth=1
	s_wait_xcnt 0x0
	s_or_b32 exec_lo, exec_lo, s20
	v_lshl_add_u64 v[4:5], v[14:15], 4, s[16:17]
	s_and_saveexec_b32 s16, s22
	s_cbranch_execz .LBB116_29
; %bb.25:                               ;   in Loop: Header=BB116_7 Depth=1
	v_mul_f64_e32 v[0:1], s[14:15], v[32:33]
	v_mul_f64_e32 v[2:3], s[12:13], v[32:33]
	v_lshl_add_u64 v[6:7], v[10:11], 4, v[4:5]
	s_and_not1_b32 vcc_lo, exec_lo, s26
	s_mov_b32 s17, -1
	s_delay_alu instid0(VALU_DEP_3) | instskip(NEXT) | instid1(VALU_DEP_3)
	v_fma_f64 v[0:1], s[12:13], v[30:31], -v[0:1]
	v_fmac_f64_e32 v[2:3], s[14:15], v[30:31]
	s_cbranch_vccnz .LBB116_27
; %bb.26:                               ;   in Loop: Header=BB116_7 Depth=1
	global_load_b128 v[26:29], v[6:7], off
	s_mov_b32 s17, 0
	s_wait_loadcnt 0x0
	v_mul_f64_e32 v[30:31], s[10:11], v[28:29]
	v_mul_f64_e32 v[28:29], s[8:9], v[28:29]
	s_delay_alu instid0(VALU_DEP_2) | instskip(NEXT) | instid1(VALU_DEP_2)
	v_fma_f64 v[30:31], s[8:9], v[26:27], -v[30:31]
	v_fmac_f64_e32 v[28:29], s[10:11], v[26:27]
	s_delay_alu instid0(VALU_DEP_2) | instskip(NEXT) | instid1(VALU_DEP_2)
	v_add_f64_e32 v[26:27], v[0:1], v[30:31]
	v_add_f64_e32 v[28:29], v[2:3], v[28:29]
	global_store_b128 v[6:7], v[26:29], off
.LBB116_27:                             ;   in Loop: Header=BB116_7 Depth=1
	s_and_not1_b32 vcc_lo, exec_lo, s17
	s_cbranch_vccnz .LBB116_29
; %bb.28:                               ;   in Loop: Header=BB116_7 Depth=1
	global_store_b128 v[6:7], v[0:3], off
.LBB116_29:                             ;   in Loop: Header=BB116_7 Depth=1
	s_wait_xcnt 0x0
	s_or_b32 exec_lo, exec_lo, s16
	s_and_saveexec_b32 s16, s23
	s_cbranch_execz .LBB116_6
; %bb.30:                               ;   in Loop: Header=BB116_7 Depth=1
	s_delay_alu instid0(VALU_DEP_3) | instskip(SKIP_4) | instid1(VALU_DEP_3)
	v_mul_f64_e32 v[0:1], s[14:15], v[22:23]
	v_mul_f64_e32 v[2:3], s[12:13], v[22:23]
	v_lshl_add_u64 v[4:5], v[16:17], 4, v[4:5]
	s_and_not1_b32 vcc_lo, exec_lo, s26
	s_mov_b32 s17, -1
	v_fma_f64 v[0:1], s[12:13], v[24:25], -v[0:1]
	s_delay_alu instid0(VALU_DEP_3)
	v_fmac_f64_e32 v[2:3], s[14:15], v[24:25]
	s_cbranch_vccnz .LBB116_32
; %bb.31:                               ;   in Loop: Header=BB116_7 Depth=1
	global_load_b128 v[22:25], v[4:5], off
	s_mov_b32 s17, 0
	s_wait_loadcnt 0x0
	v_mul_f64_e32 v[6:7], s[10:11], v[24:25]
	v_mul_f64_e32 v[24:25], s[8:9], v[24:25]
	s_delay_alu instid0(VALU_DEP_2) | instskip(NEXT) | instid1(VALU_DEP_2)
	v_fma_f64 v[6:7], s[8:9], v[22:23], -v[6:7]
	v_fmac_f64_e32 v[24:25], s[10:11], v[22:23]
	s_delay_alu instid0(VALU_DEP_2) | instskip(NEXT) | instid1(VALU_DEP_2)
	v_add_f64_e32 v[22:23], v[0:1], v[6:7]
	v_add_f64_e32 v[24:25], v[2:3], v[24:25]
	global_store_b128 v[4:5], v[22:25], off
.LBB116_32:                             ;   in Loop: Header=BB116_7 Depth=1
	s_and_not1_b32 vcc_lo, exec_lo, s17
	s_cbranch_vccnz .LBB116_6
; %bb.33:                               ;   in Loop: Header=BB116_7 Depth=1
	global_store_b128 v[4:5], v[0:3], off
	s_branch .LBB116_6
.LBB116_34:
.LBB116_35:
	s_sendmsg sendmsg(MSG_DEALLOC_VGPRS)
	s_endpgm
	.section	.rodata,"a",@progbits
	.p2align	6, 0x0
	.amdhsa_kernel _ZL29rocblas_internal_gemmt_kernelIiLi16ELi32ELi8ELc67ELc67ELc85ELb1ELb1E19rocblas_complex_numIdEPKS1_S3_PS1_EviT_T9_T10_S5_lS7_S5_lS6_T11_S5_li
		.amdhsa_group_segment_fixed_size 8192
		.amdhsa_private_segment_fixed_size 0
		.amdhsa_kernarg_size 100
		.amdhsa_user_sgpr_count 2
		.amdhsa_user_sgpr_dispatch_ptr 0
		.amdhsa_user_sgpr_queue_ptr 0
		.amdhsa_user_sgpr_kernarg_segment_ptr 1
		.amdhsa_user_sgpr_dispatch_id 0
		.amdhsa_user_sgpr_kernarg_preload_length 0
		.amdhsa_user_sgpr_kernarg_preload_offset 0
		.amdhsa_user_sgpr_private_segment_size 0
		.amdhsa_wavefront_size32 1
		.amdhsa_uses_dynamic_stack 0
		.amdhsa_enable_private_segment 0
		.amdhsa_system_sgpr_workgroup_id_x 1
		.amdhsa_system_sgpr_workgroup_id_y 1
		.amdhsa_system_sgpr_workgroup_id_z 1
		.amdhsa_system_sgpr_workgroup_info 0
		.amdhsa_system_vgpr_workitem_id 1
		.amdhsa_next_free_vgpr 128
		.amdhsa_next_free_sgpr 41
		.amdhsa_named_barrier_count 0
		.amdhsa_reserve_vcc 1
		.amdhsa_float_round_mode_32 0
		.amdhsa_float_round_mode_16_64 0
		.amdhsa_float_denorm_mode_32 3
		.amdhsa_float_denorm_mode_16_64 3
		.amdhsa_fp16_overflow 0
		.amdhsa_memory_ordered 1
		.amdhsa_forward_progress 1
		.amdhsa_inst_pref_size 23
		.amdhsa_round_robin_scheduling 0
		.amdhsa_exception_fp_ieee_invalid_op 0
		.amdhsa_exception_fp_denorm_src 0
		.amdhsa_exception_fp_ieee_div_zero 0
		.amdhsa_exception_fp_ieee_overflow 0
		.amdhsa_exception_fp_ieee_underflow 0
		.amdhsa_exception_fp_ieee_inexact 0
		.amdhsa_exception_int_div_zero 0
	.end_amdhsa_kernel
	.section	.text._ZL29rocblas_internal_gemmt_kernelIiLi16ELi32ELi8ELc67ELc67ELc85ELb1ELb1E19rocblas_complex_numIdEPKS1_S3_PS1_EviT_T9_T10_S5_lS7_S5_lS6_T11_S5_li,"axG",@progbits,_ZL29rocblas_internal_gemmt_kernelIiLi16ELi32ELi8ELc67ELc67ELc85ELb1ELb1E19rocblas_complex_numIdEPKS1_S3_PS1_EviT_T9_T10_S5_lS7_S5_lS6_T11_S5_li,comdat
.Lfunc_end116:
	.size	_ZL29rocblas_internal_gemmt_kernelIiLi16ELi32ELi8ELc67ELc67ELc85ELb1ELb1E19rocblas_complex_numIdEPKS1_S3_PS1_EviT_T9_T10_S5_lS7_S5_lS6_T11_S5_li, .Lfunc_end116-_ZL29rocblas_internal_gemmt_kernelIiLi16ELi32ELi8ELc67ELc67ELc85ELb1ELb1E19rocblas_complex_numIdEPKS1_S3_PS1_EviT_T9_T10_S5_lS7_S5_lS6_T11_S5_li
                                        ; -- End function
	.set _ZL29rocblas_internal_gemmt_kernelIiLi16ELi32ELi8ELc67ELc67ELc85ELb1ELb1E19rocblas_complex_numIdEPKS1_S3_PS1_EviT_T9_T10_S5_lS7_S5_lS6_T11_S5_li.num_vgpr, 128
	.set _ZL29rocblas_internal_gemmt_kernelIiLi16ELi32ELi8ELc67ELc67ELc85ELb1ELb1E19rocblas_complex_numIdEPKS1_S3_PS1_EviT_T9_T10_S5_lS7_S5_lS6_T11_S5_li.num_agpr, 0
	.set _ZL29rocblas_internal_gemmt_kernelIiLi16ELi32ELi8ELc67ELc67ELc85ELb1ELb1E19rocblas_complex_numIdEPKS1_S3_PS1_EviT_T9_T10_S5_lS7_S5_lS6_T11_S5_li.numbered_sgpr, 41
	.set _ZL29rocblas_internal_gemmt_kernelIiLi16ELi32ELi8ELc67ELc67ELc85ELb1ELb1E19rocblas_complex_numIdEPKS1_S3_PS1_EviT_T9_T10_S5_lS7_S5_lS6_T11_S5_li.num_named_barrier, 0
	.set _ZL29rocblas_internal_gemmt_kernelIiLi16ELi32ELi8ELc67ELc67ELc85ELb1ELb1E19rocblas_complex_numIdEPKS1_S3_PS1_EviT_T9_T10_S5_lS7_S5_lS6_T11_S5_li.private_seg_size, 0
	.set _ZL29rocblas_internal_gemmt_kernelIiLi16ELi32ELi8ELc67ELc67ELc85ELb1ELb1E19rocblas_complex_numIdEPKS1_S3_PS1_EviT_T9_T10_S5_lS7_S5_lS6_T11_S5_li.uses_vcc, 1
	.set _ZL29rocblas_internal_gemmt_kernelIiLi16ELi32ELi8ELc67ELc67ELc85ELb1ELb1E19rocblas_complex_numIdEPKS1_S3_PS1_EviT_T9_T10_S5_lS7_S5_lS6_T11_S5_li.uses_flat_scratch, 0
	.set _ZL29rocblas_internal_gemmt_kernelIiLi16ELi32ELi8ELc67ELc67ELc85ELb1ELb1E19rocblas_complex_numIdEPKS1_S3_PS1_EviT_T9_T10_S5_lS7_S5_lS6_T11_S5_li.has_dyn_sized_stack, 0
	.set _ZL29rocblas_internal_gemmt_kernelIiLi16ELi32ELi8ELc67ELc67ELc85ELb1ELb1E19rocblas_complex_numIdEPKS1_S3_PS1_EviT_T9_T10_S5_lS7_S5_lS6_T11_S5_li.has_recursion, 0
	.set _ZL29rocblas_internal_gemmt_kernelIiLi16ELi32ELi8ELc67ELc67ELc85ELb1ELb1E19rocblas_complex_numIdEPKS1_S3_PS1_EviT_T9_T10_S5_lS7_S5_lS6_T11_S5_li.has_indirect_call, 0
	.section	.AMDGPU.csdata,"",@progbits
; Kernel info:
; codeLenInByte = 2940
; TotalNumSgprs: 43
; NumVgprs: 128
; ScratchSize: 0
; MemoryBound: 1
; FloatMode: 240
; IeeeMode: 1
; LDSByteSize: 8192 bytes/workgroup (compile time only)
; SGPRBlocks: 0
; VGPRBlocks: 7
; NumSGPRsForWavesPerEU: 43
; NumVGPRsForWavesPerEU: 128
; NamedBarCnt: 0
; Occupancy: 8
; WaveLimiterHint : 0
; COMPUTE_PGM_RSRC2:SCRATCH_EN: 0
; COMPUTE_PGM_RSRC2:USER_SGPR: 2
; COMPUTE_PGM_RSRC2:TRAP_HANDLER: 0
; COMPUTE_PGM_RSRC2:TGID_X_EN: 1
; COMPUTE_PGM_RSRC2:TGID_Y_EN: 1
; COMPUTE_PGM_RSRC2:TGID_Z_EN: 1
; COMPUTE_PGM_RSRC2:TIDIG_COMP_CNT: 1
	.section	.text._ZL29rocblas_internal_gemmt_kernelIiLi16ELi32ELi8ELc78ELc78ELc76ELb0ELb0E19rocblas_complex_numIdEPKS1_S3_PS1_EviT_T9_T10_S5_lS7_S5_lS6_T11_S5_li,"axG",@progbits,_ZL29rocblas_internal_gemmt_kernelIiLi16ELi32ELi8ELc78ELc78ELc76ELb0ELb0E19rocblas_complex_numIdEPKS1_S3_PS1_EviT_T9_T10_S5_lS7_S5_lS6_T11_S5_li,comdat
	.globl	_ZL29rocblas_internal_gemmt_kernelIiLi16ELi32ELi8ELc78ELc78ELc76ELb0ELb0E19rocblas_complex_numIdEPKS1_S3_PS1_EviT_T9_T10_S5_lS7_S5_lS6_T11_S5_li ; -- Begin function _ZL29rocblas_internal_gemmt_kernelIiLi16ELi32ELi8ELc78ELc78ELc76ELb0ELb0E19rocblas_complex_numIdEPKS1_S3_PS1_EviT_T9_T10_S5_lS7_S5_lS6_T11_S5_li
	.p2align	8
	.type	_ZL29rocblas_internal_gemmt_kernelIiLi16ELi32ELi8ELc78ELc78ELc76ELb0ELb0E19rocblas_complex_numIdEPKS1_S3_PS1_EviT_T9_T10_S5_lS7_S5_lS6_T11_S5_li,@function
_ZL29rocblas_internal_gemmt_kernelIiLi16ELi32ELi8ELc78ELc78ELc76ELb0ELb0E19rocblas_complex_numIdEPKS1_S3_PS1_EviT_T9_T10_S5_lS7_S5_lS6_T11_S5_li: ; @_ZL29rocblas_internal_gemmt_kernelIiLi16ELi32ELi8ELc78ELc78ELc76ELb0ELb0E19rocblas_complex_numIdEPKS1_S3_PS1_EviT_T9_T10_S5_lS7_S5_lS6_T11_S5_li
; %bb.0:
	s_load_b128 s[16:19], s[0:1], 0x38
	s_wait_kmcnt 0x0
	s_load_b128 s[8:11], s[18:19], 0x0
	s_load_b128 s[4:7], s[0:1], 0x8
	s_wait_xcnt 0x0
	s_load_b64 s[18:19], s[0:1], 0x0
	s_wait_kmcnt 0x0
	v_cmp_eq_f64_e64 s2, s[8:9], 1.0
	v_cmp_eq_f64_e64 s33, s[10:11], 0
	s_load_b128 s[12:15], s[4:5], 0x0
	s_and_b32 s2, s2, s33
	s_delay_alu instid0(SALU_CYCLE_1)
	s_and_not1_b32 vcc_lo, exec_lo, s2
	s_mov_b32 s2, -1
	s_cbranch_vccnz .LBB117_3
; %bb.1:
	s_cmp_lg_u32 s19, 0
	s_cbranch_scc0 .LBB117_38
; %bb.2:
	s_wait_kmcnt 0x0
	v_cmp_neq_f64_e64 s2, s[12:13], 0
	v_cmp_neq_f64_e64 s3, s[14:15], 0
	s_or_b32 s2, s2, s3
.LBB117_3:
	s_delay_alu instid0(SALU_CYCLE_1)
	s_and_b32 vcc_lo, exec_lo, s2
	s_cbranch_vccz .LBB117_39
; %bb.4:
	s_load_b32 s27, s[0:1], 0x60
	s_bfe_u32 s2, ttmp6, 0x40014
	s_lshr_b32 s3, ttmp7, 16
	s_add_co_i32 s2, s2, 1
	s_wait_xcnt 0x0
	s_bfe_u32 s5, ttmp6, 0x40008
	s_mul_i32 s2, s3, s2
	s_getreg_b32 s4, hwreg(HW_REG_IB_STS2, 6, 4)
	s_add_co_i32 s5, s5, s2
	s_cmp_eq_u32 s4, 0
	s_mov_b32 s29, 0
	s_cselect_b32 s28, s3, s5
	s_wait_kmcnt 0x0
	s_cmp_ge_u32 s28, s27
	s_cbranch_scc1 .LBB117_39
; %bb.5:
	s_clause 0x2
	s_load_b32 s34, s[0:1], 0x18
	s_load_b32 s2, s[0:1], 0x30
	s_load_b96 s[24:26], s[0:1], 0x48
	v_and_b32_e32 v1, 0x3ff, v0
	v_bfe_u32 v5, v0, 10, 10
	s_clause 0x1
	s_load_b128 s[20:23], s[0:1], 0x20
	s_load_b64 s[30:31], s[0:1], 0x58
	s_wait_xcnt 0x0
	s_bfe_u32 s1, ttmp6, 0x4000c
	s_bfe_u32 s39, ttmp6, 0x40010
	s_add_co_i32 s1, s1, 1
	s_add_co_i32 s39, s39, 1
	v_and_b32_e32 v38, 7, v0
	v_lshl_add_u32 v0, v5, 4, v1
	s_and_b32 s0, ttmp6, 15
	s_mul_i32 s1, ttmp9, s1
	s_bfe_u32 s40, ttmp6, 0x40004
	s_add_co_i32 s0, s0, s1
	v_dual_lshrrev_b32 v8, 3, v0 :: v_dual_bitop2_b32 v9, 31, v0 bitop3:0x40
	v_lshrrev_b32_e32 v6, 5, v0
	s_wait_kmcnt 0x0
	s_ashr_i32 s35, s34, 31
	s_ashr_i32 s3, s2, 31
	;; [unrolled: 1-line block ×3, first 2 shown]
	s_mov_b32 s36, s26
	s_and_b32 s26, ttmp7, 0xffff
	v_cmp_neq_f64_e64 s5, s[12:13], 0
	s_mul_i32 s39, s26, s39
	v_cmp_neq_f64_e64 s38, s[14:15], 0
	s_add_co_i32 s40, s40, s39
	s_cmp_eq_u32 s4, 0
	v_lshlrev_b32_e32 v20, 4, v38
	s_cselect_b32 s0, ttmp9, s0
	s_cselect_b32 s1, s26, s40
	s_lshl_b32 s4, s0, 5
	s_lshl_b32 s0, s1, 5
	s_delay_alu instid0(SALU_CYCLE_1) | instskip(SKIP_3) | instid1(VALU_DEP_4)
	v_dual_mov_b32 v0, 0 :: v_dual_add_nc_u32 v2, s0, v8
	v_or_b32_e32 v4, s4, v9
	v_add_nc_u32_e32 v16, s0, v5
	v_cmp_neq_f64_e64 s26, s[8:9], 0
	v_dual_mov_b32 v7, v0 :: v_dual_ashrrev_i32 v3, 31, v2
	v_lshl_add_u32 v41, v5, 7, 0x1000
	s_delay_alu instid0(VALU_DEP_4) | instskip(NEXT) | instid1(VALU_DEP_3)
	v_dual_add_nc_u32 v24, 16, v16 :: v_dual_ashrrev_i32 v17, 31, v16
	v_mul_u64_e32 v[18:19], s[34:35], v[6:7]
	s_delay_alu instid0(VALU_DEP_4) | instskip(NEXT) | instid1(VALU_DEP_3)
	v_mul_u64_e32 v[22:23], s[2:3], v[2:3]
	v_dual_lshlrev_b32 v7, 4, v9 :: v_dual_ashrrev_i32 v25, 31, v24
	v_lshl_or_b32 v3, v8, 7, v20
	v_add_nc_u32_e32 v8, s4, v1
	v_mul_u64_e32 v[10:11], s[36:37], v[16:17]
	v_dual_ashrrev_i32 v5, 31, v4 :: v_dual_mov_b32 v21, v0
	v_mul_u64_e32 v[12:13], s[36:37], v[24:25]
	v_cmp_gt_i32_e64 s0, s18, v2
	v_add_nc_u32_e32 v39, 0x1000, v3
	s_delay_alu instid0(VALU_DEP_4)
	v_lshlrev_b64_e32 v[2:3], 4, v[4:5]
	v_dual_lshlrev_b32 v40, 4, v1 :: v_dual_add_nc_u32 v14, 16, v8
	s_or_b32 s38, s5, s38
	v_cmp_gt_i32_e32 vcc_lo, s18, v4
	v_cmp_le_i32_e64 s1, v16, v8
	v_cmp_gt_i32_e64 s2, s18, v8
	v_cmp_le_i32_e64 s3, v16, v14
	v_cmp_gt_i32_e64 s4, s18, v14
	s_cmp_gt_i32 s19, 0
	v_lshl_or_b32 v7, v6, 9, v7
	s_cselect_b32 s39, -1, 0
	s_xor_b32 s5, s33, -1
	s_and_b32 s33, s3, s4
	s_or_b32 s18, s26, s5
	s_and_b32 s26, s1, s2
	v_cmp_le_i32_e64 s1, v24, v8
	v_cmp_le_i32_e64 s3, v24, v14
	v_dual_ashrrev_i32 v9, 31, v8 :: v_dual_ashrrev_i32 v15, 31, v14
	v_lshl_add_u64 v[2:3], v[18:19], 4, v[2:3]
	v_lshl_add_u64 v[4:5], v[22:23], 4, v[20:21]
	s_and_b32 s36, s1, s2
	s_and_b32 s37, s3, s4
	s_lshl_b64 s[2:3], s[20:21], 4
	v_add_nc_u64_e32 v[16:17], s[6:7], v[2:3]
	v_add_nc_u64_e32 v[18:19], s[22:23], v[4:5]
	s_lshl_b64 s[4:5], s[34:35], 7
	s_and_b32 s20, s38, s39
	s_lshl_b64 s[6:7], s[16:17], 4
	s_xor_b32 s16, vcc_lo, -1
	s_xor_b32 s17, s0, -1
	s_branch .LBB117_7
.LBB117_6:                              ;   in Loop: Header=BB117_7 Depth=1
	s_wait_xcnt 0x0
	s_or_b32 exec_lo, exec_lo, s0
	s_add_co_i32 s28, s28, 0x10000
	s_delay_alu instid0(SALU_CYCLE_1)
	s_cmp_lt_u32 s28, s27
	s_cbranch_scc0 .LBB117_39
.LBB117_7:                              ; =>This Loop Header: Depth=1
                                        ;     Child Loop BB117_10 Depth 2
	v_mov_b64_e32 v[30:31], 0
	v_mov_b64_e32 v[32:33], 0
	;; [unrolled: 1-line block ×8, first 2 shown]
	s_and_not1_b32 vcc_lo, exec_lo, s20
	s_cbranch_vccnz .LBB117_18
; %bb.8:                                ;   in Loop: Header=BB117_7 Depth=1
	v_mad_nc_u64_u32 v[4:5], s2, s28, v[16:17]
	v_mad_nc_u64_u32 v[20:21], s6, s28, v[18:19]
	v_mov_b64_e32 v[34:35], 0
	v_mov_b64_e32 v[36:37], 0
	;; [unrolled: 1-line block ×8, first 2 shown]
	s_mov_b32 s0, 0
	v_mad_u32 v5, s3, s28, v5
	v_mad_u32 v21, s7, s28, v21
	s_branch .LBB117_10
.LBB117_9:                              ;   in Loop: Header=BB117_10 Depth=2
	s_wait_xcnt 0x0
	s_or_b32 exec_lo, exec_lo, s1
	s_wait_dscnt 0x0
	s_barrier_signal -1
	s_barrier_wait -1
	ds_load_b128 v[42:45], v41
	ds_load_b128 v[46:49], v41 offset:16
	ds_load_b128 v[50:53], v41 offset:32
	;; [unrolled: 1-line block ×3, first 2 shown]
	ds_load_b128 v[58:61], v40
	v_add_nc_u64_e32 v[4:5], s[4:5], v[4:5]
	v_add_nc_u64_e32 v[20:21], 0x80, v[20:21]
	s_add_co_i32 s0, s0, 8
	s_delay_alu instid0(SALU_CYCLE_1) | instskip(SKIP_3) | instid1(VALU_DEP_2)
	s_cmp_lt_i32 s0, s19
	s_wait_dscnt 0x0
	v_mul_f64_e32 v[2:3], v[44:45], v[60:61]
	v_mul_f64_e32 v[62:63], v[42:43], v[60:61]
	v_fma_f64 v[2:3], v[42:43], v[58:59], -v[2:3]
	s_delay_alu instid0(VALU_DEP_2) | instskip(NEXT) | instid1(VALU_DEP_2)
	v_fmac_f64_e32 v[62:63], v[44:45], v[58:59]
	v_add_f64_e32 v[2:3], v[30:31], v[2:3]
	s_delay_alu instid0(VALU_DEP_2) | instskip(SKIP_3) | instid1(VALU_DEP_1)
	v_add_f64_e32 v[62:63], v[62:63], v[32:33]
	ds_load_b128 v[30:33], v40 offset:256
	s_wait_dscnt 0x0
	v_mul_f64_e32 v[64:65], v[44:45], v[32:33]
	v_fma_f64 v[64:65], v[42:43], v[30:31], -v[64:65]
	v_mul_f64_e32 v[42:43], v[42:43], v[32:33]
	s_delay_alu instid0(VALU_DEP_1) | instskip(NEXT) | instid1(VALU_DEP_3)
	v_fmac_f64_e32 v[42:43], v[44:45], v[30:31]
	v_add_f64_e32 v[44:45], v[22:23], v[64:65]
	s_delay_alu instid0(VALU_DEP_2) | instskip(SKIP_4) | instid1(VALU_DEP_2)
	v_add_f64_e32 v[42:43], v[42:43], v[24:25]
	ds_load_b128 v[22:25], v41 offset:2048
	s_wait_dscnt 0x0
	v_mul_f64_e32 v[64:65], v[24:25], v[60:61]
	v_mul_f64_e32 v[60:61], v[22:23], v[60:61]
	v_fma_f64 v[64:65], v[22:23], v[58:59], -v[64:65]
	s_delay_alu instid0(VALU_DEP_2) | instskip(NEXT) | instid1(VALU_DEP_2)
	v_fmac_f64_e32 v[60:61], v[24:25], v[58:59]
	v_add_f64_e32 v[58:59], v[26:27], v[64:65]
	v_mul_f64_e32 v[26:27], v[24:25], v[32:33]
	s_delay_alu instid0(VALU_DEP_3) | instskip(NEXT) | instid1(VALU_DEP_2)
	v_add_f64_e32 v[60:61], v[60:61], v[28:29]
	v_fma_f64 v[26:27], v[22:23], v[30:31], -v[26:27]
	v_mul_f64_e32 v[22:23], v[22:23], v[32:33]
	s_delay_alu instid0(VALU_DEP_2) | instskip(NEXT) | instid1(VALU_DEP_2)
	v_add_f64_e32 v[36:37], v[36:37], v[26:27]
	v_fmac_f64_e32 v[22:23], v[24:25], v[30:31]
	s_delay_alu instid0(VALU_DEP_1) | instskip(SKIP_4) | instid1(VALU_DEP_2)
	v_add_f64_e32 v[34:35], v[22:23], v[34:35]
	ds_load_b128 v[22:25], v40 offset:512
	s_wait_dscnt 0x0
	v_mul_f64_e32 v[26:27], v[48:49], v[24:25]
	v_mul_f64_e32 v[28:29], v[46:47], v[24:25]
	v_fma_f64 v[26:27], v[46:47], v[22:23], -v[26:27]
	s_delay_alu instid0(VALU_DEP_2) | instskip(NEXT) | instid1(VALU_DEP_2)
	v_fmac_f64_e32 v[28:29], v[48:49], v[22:23]
	v_add_f64_e32 v[2:3], v[2:3], v[26:27]
	s_delay_alu instid0(VALU_DEP_2) | instskip(SKIP_4) | instid1(VALU_DEP_2)
	v_add_f64_e32 v[62:63], v[28:29], v[62:63]
	ds_load_b128 v[26:29], v40 offset:768
	s_wait_dscnt 0x0
	v_mul_f64_e32 v[30:31], v[48:49], v[28:29]
	v_mul_f64_e32 v[32:33], v[46:47], v[28:29]
	v_fma_f64 v[30:31], v[46:47], v[26:27], -v[30:31]
	s_delay_alu instid0(VALU_DEP_2) | instskip(NEXT) | instid1(VALU_DEP_2)
	v_fmac_f64_e32 v[32:33], v[48:49], v[26:27]
	v_add_f64_e32 v[44:45], v[44:45], v[30:31]
	s_delay_alu instid0(VALU_DEP_2) | instskip(SKIP_4) | instid1(VALU_DEP_2)
	v_add_f64_e32 v[42:43], v[32:33], v[42:43]
	ds_load_b128 v[30:33], v41 offset:2064
	s_wait_dscnt 0x0
	v_mul_f64_e32 v[46:47], v[32:33], v[24:25]
	v_mul_f64_e32 v[24:25], v[30:31], v[24:25]
	v_fma_f64 v[46:47], v[30:31], v[22:23], -v[46:47]
	s_delay_alu instid0(VALU_DEP_2) | instskip(SKIP_1) | instid1(VALU_DEP_3)
	v_fmac_f64_e32 v[24:25], v[32:33], v[22:23]
	v_mul_f64_e32 v[22:23], v[32:33], v[28:29]
	v_add_f64_e32 v[46:47], v[58:59], v[46:47]
	s_delay_alu instid0(VALU_DEP_3) | instskip(SKIP_1) | instid1(VALU_DEP_4)
	v_add_f64_e32 v[48:49], v[24:25], v[60:61]
	v_mul_f64_e32 v[24:25], v[30:31], v[28:29]
	v_fma_f64 v[22:23], v[30:31], v[26:27], -v[22:23]
	s_delay_alu instid0(VALU_DEP_2) | instskip(NEXT) | instid1(VALU_DEP_2)
	v_fmac_f64_e32 v[24:25], v[32:33], v[26:27]
	v_add_f64_e32 v[36:37], v[36:37], v[22:23]
	s_delay_alu instid0(VALU_DEP_2) | instskip(SKIP_4) | instid1(VALU_DEP_2)
	v_add_f64_e32 v[34:35], v[24:25], v[34:35]
	ds_load_b128 v[22:25], v40 offset:1024
	s_wait_dscnt 0x0
	v_mul_f64_e32 v[26:27], v[52:53], v[24:25]
	v_mul_f64_e32 v[28:29], v[50:51], v[24:25]
	v_fma_f64 v[26:27], v[50:51], v[22:23], -v[26:27]
	s_delay_alu instid0(VALU_DEP_2) | instskip(NEXT) | instid1(VALU_DEP_2)
	v_fmac_f64_e32 v[28:29], v[52:53], v[22:23]
	v_add_f64_e32 v[2:3], v[2:3], v[26:27]
	s_delay_alu instid0(VALU_DEP_2) | instskip(SKIP_4) | instid1(VALU_DEP_2)
	v_add_f64_e32 v[58:59], v[28:29], v[62:63]
	ds_load_b128 v[26:29], v40 offset:1280
	s_wait_dscnt 0x0
	v_mul_f64_e32 v[30:31], v[52:53], v[28:29]
	;; [unrolled: 10-line block ×3, first 2 shown]
	v_mul_f64_e32 v[24:25], v[30:31], v[24:25]
	v_fma_f64 v[50:51], v[30:31], v[22:23], -v[50:51]
	s_delay_alu instid0(VALU_DEP_2) | instskip(SKIP_1) | instid1(VALU_DEP_3)
	v_fmac_f64_e32 v[24:25], v[32:33], v[22:23]
	v_mul_f64_e32 v[22:23], v[32:33], v[28:29]
	v_add_f64_e32 v[46:47], v[46:47], v[50:51]
	s_delay_alu instid0(VALU_DEP_3) | instskip(SKIP_1) | instid1(VALU_DEP_4)
	v_add_f64_e32 v[48:49], v[24:25], v[48:49]
	v_mul_f64_e32 v[24:25], v[30:31], v[28:29]
	v_fma_f64 v[22:23], v[30:31], v[26:27], -v[22:23]
	s_delay_alu instid0(VALU_DEP_2) | instskip(NEXT) | instid1(VALU_DEP_2)
	v_fmac_f64_e32 v[24:25], v[32:33], v[26:27]
	v_add_f64_e32 v[36:37], v[36:37], v[22:23]
	s_delay_alu instid0(VALU_DEP_2) | instskip(SKIP_4) | instid1(VALU_DEP_2)
	v_add_f64_e32 v[34:35], v[24:25], v[34:35]
	ds_load_b128 v[22:25], v40 offset:1536
	s_wait_dscnt 0x0
	v_mul_f64_e32 v[26:27], v[56:57], v[24:25]
	v_mul_f64_e32 v[28:29], v[54:55], v[24:25]
	v_fma_f64 v[26:27], v[54:55], v[22:23], -v[26:27]
	s_delay_alu instid0(VALU_DEP_2) | instskip(NEXT) | instid1(VALU_DEP_2)
	v_fmac_f64_e32 v[28:29], v[56:57], v[22:23]
	v_add_f64_e32 v[2:3], v[2:3], v[26:27]
	s_delay_alu instid0(VALU_DEP_2) | instskip(SKIP_4) | instid1(VALU_DEP_2)
	v_add_f64_e32 v[50:51], v[28:29], v[58:59]
	ds_load_b128 v[26:29], v40 offset:1792
	s_wait_dscnt 0x0
	v_mul_f64_e32 v[30:31], v[56:57], v[28:29]
	;; [unrolled: 10-line block ×3, first 2 shown]
	v_mul_f64_e32 v[24:25], v[30:31], v[24:25]
	v_fma_f64 v[52:53], v[30:31], v[22:23], -v[52:53]
	s_delay_alu instid0(VALU_DEP_2) | instskip(SKIP_1) | instid1(VALU_DEP_3)
	v_fmac_f64_e32 v[24:25], v[32:33], v[22:23]
	v_mul_f64_e32 v[22:23], v[32:33], v[28:29]
	v_add_f64_e32 v[46:47], v[46:47], v[52:53]
	s_delay_alu instid0(VALU_DEP_3) | instskip(SKIP_1) | instid1(VALU_DEP_4)
	v_add_f64_e32 v[48:49], v[24:25], v[48:49]
	v_mul_f64_e32 v[24:25], v[30:31], v[28:29]
	v_fma_f64 v[22:23], v[30:31], v[26:27], -v[22:23]
	s_delay_alu instid0(VALU_DEP_2) | instskip(NEXT) | instid1(VALU_DEP_2)
	v_fmac_f64_e32 v[24:25], v[32:33], v[26:27]
	v_add_f64_e32 v[36:37], v[36:37], v[22:23]
	s_delay_alu instid0(VALU_DEP_2)
	v_add_f64_e32 v[34:35], v[24:25], v[34:35]
	ds_load_b128 v[22:25], v41 offset:64
	ds_load_b128 v[26:29], v40 offset:2048
	s_wait_dscnt 0x0
	v_mul_f64_e32 v[30:31], v[24:25], v[28:29]
	v_mul_f64_e32 v[32:33], v[22:23], v[28:29]
	s_delay_alu instid0(VALU_DEP_2) | instskip(NEXT) | instid1(VALU_DEP_2)
	v_fma_f64 v[30:31], v[22:23], v[26:27], -v[30:31]
	v_fmac_f64_e32 v[32:33], v[24:25], v[26:27]
	s_delay_alu instid0(VALU_DEP_2) | instskip(NEXT) | instid1(VALU_DEP_2)
	v_add_f64_e32 v[2:3], v[2:3], v[30:31]
	v_add_f64_e32 v[50:51], v[32:33], v[50:51]
	ds_load_b128 v[30:33], v40 offset:2304
	s_wait_dscnt 0x0
	v_mul_f64_e32 v[52:53], v[24:25], v[32:33]
	s_delay_alu instid0(VALU_DEP_1) | instskip(SKIP_1) | instid1(VALU_DEP_2)
	v_fma_f64 v[52:53], v[22:23], v[30:31], -v[52:53]
	v_mul_f64_e32 v[22:23], v[22:23], v[32:33]
	v_add_f64_e32 v[44:45], v[44:45], v[52:53]
	s_delay_alu instid0(VALU_DEP_2) | instskip(NEXT) | instid1(VALU_DEP_1)
	v_fmac_f64_e32 v[22:23], v[24:25], v[30:31]
	v_add_f64_e32 v[42:43], v[22:23], v[42:43]
	ds_load_b128 v[22:25], v41 offset:2112
	s_wait_dscnt 0x0
	v_mul_f64_e32 v[52:53], v[24:25], v[28:29]
	v_mul_f64_e32 v[28:29], v[22:23], v[28:29]
	s_delay_alu instid0(VALU_DEP_2) | instskip(NEXT) | instid1(VALU_DEP_2)
	v_fma_f64 v[52:53], v[22:23], v[26:27], -v[52:53]
	v_fmac_f64_e32 v[28:29], v[24:25], v[26:27]
	v_mul_f64_e32 v[26:27], v[24:25], v[32:33]
	s_delay_alu instid0(VALU_DEP_3) | instskip(NEXT) | instid1(VALU_DEP_3)
	v_add_f64_e32 v[46:47], v[46:47], v[52:53]
	v_add_f64_e32 v[48:49], v[28:29], v[48:49]
	s_delay_alu instid0(VALU_DEP_3) | instskip(SKIP_1) | instid1(VALU_DEP_2)
	v_fma_f64 v[26:27], v[22:23], v[30:31], -v[26:27]
	v_mul_f64_e32 v[22:23], v[22:23], v[32:33]
	v_add_f64_e32 v[36:37], v[36:37], v[26:27]
	s_delay_alu instid0(VALU_DEP_2) | instskip(NEXT) | instid1(VALU_DEP_1)
	v_fmac_f64_e32 v[22:23], v[24:25], v[30:31]
	v_add_f64_e32 v[34:35], v[22:23], v[34:35]
	ds_load_b128 v[22:25], v41 offset:80
	ds_load_b128 v[26:29], v40 offset:2560
	s_wait_dscnt 0x0
	v_mul_f64_e32 v[30:31], v[24:25], v[28:29]
	v_mul_f64_e32 v[32:33], v[22:23], v[28:29]
	s_delay_alu instid0(VALU_DEP_2) | instskip(NEXT) | instid1(VALU_DEP_2)
	v_fma_f64 v[30:31], v[22:23], v[26:27], -v[30:31]
	v_fmac_f64_e32 v[32:33], v[24:25], v[26:27]
	s_delay_alu instid0(VALU_DEP_2) | instskip(NEXT) | instid1(VALU_DEP_2)
	v_add_f64_e32 v[2:3], v[2:3], v[30:31]
	v_add_f64_e32 v[50:51], v[32:33], v[50:51]
	ds_load_b128 v[30:33], v40 offset:2816
	s_wait_dscnt 0x0
	v_mul_f64_e32 v[52:53], v[24:25], v[32:33]
	s_delay_alu instid0(VALU_DEP_1) | instskip(SKIP_1) | instid1(VALU_DEP_2)
	v_fma_f64 v[52:53], v[22:23], v[30:31], -v[52:53]
	v_mul_f64_e32 v[22:23], v[22:23], v[32:33]
	v_add_f64_e32 v[44:45], v[44:45], v[52:53]
	s_delay_alu instid0(VALU_DEP_2) | instskip(NEXT) | instid1(VALU_DEP_1)
	v_fmac_f64_e32 v[22:23], v[24:25], v[30:31]
	v_add_f64_e32 v[42:43], v[22:23], v[42:43]
	ds_load_b128 v[22:25], v41 offset:2128
	s_wait_dscnt 0x0
	v_mul_f64_e32 v[52:53], v[24:25], v[28:29]
	v_mul_f64_e32 v[28:29], v[22:23], v[28:29]
	s_delay_alu instid0(VALU_DEP_2) | instskip(NEXT) | instid1(VALU_DEP_2)
	v_fma_f64 v[52:53], v[22:23], v[26:27], -v[52:53]
	v_fmac_f64_e32 v[28:29], v[24:25], v[26:27]
	v_mul_f64_e32 v[26:27], v[24:25], v[32:33]
	s_delay_alu instid0(VALU_DEP_3) | instskip(NEXT) | instid1(VALU_DEP_3)
	v_add_f64_e32 v[46:47], v[46:47], v[52:53]
	v_add_f64_e32 v[48:49], v[28:29], v[48:49]
	s_delay_alu instid0(VALU_DEP_3) | instskip(SKIP_1) | instid1(VALU_DEP_2)
	v_fma_f64 v[26:27], v[22:23], v[30:31], -v[26:27]
	v_mul_f64_e32 v[22:23], v[22:23], v[32:33]
	v_add_f64_e32 v[36:37], v[36:37], v[26:27]
	s_delay_alu instid0(VALU_DEP_2) | instskip(NEXT) | instid1(VALU_DEP_1)
	v_fmac_f64_e32 v[22:23], v[24:25], v[30:31]
	;; [unrolled: 39-line block ×3, first 2 shown]
	v_add_f64_e32 v[54:55], v[22:23], v[34:35]
	ds_load_b128 v[22:25], v41 offset:112
	ds_load_b128 v[26:29], v40 offset:3584
	;; [unrolled: 1-line block ×3, first 2 shown]
	s_wait_dscnt 0x1
	v_mul_f64_e32 v[30:31], v[24:25], v[28:29]
	v_mul_f64_e32 v[32:33], v[22:23], v[28:29]
	s_delay_alu instid0(VALU_DEP_2) | instskip(NEXT) | instid1(VALU_DEP_2)
	v_fma_f64 v[30:31], v[22:23], v[26:27], -v[30:31]
	v_fmac_f64_e32 v[32:33], v[24:25], v[26:27]
	s_delay_alu instid0(VALU_DEP_2) | instskip(NEXT) | instid1(VALU_DEP_2)
	v_add_f64_e32 v[30:31], v[2:3], v[30:31]
	v_add_f64_e32 v[32:33], v[32:33], v[50:51]
	s_wait_dscnt 0x0
	v_mul_f64_e32 v[2:3], v[24:25], v[36:37]
	v_mul_f64_e32 v[50:51], v[22:23], v[36:37]
	s_delay_alu instid0(VALU_DEP_2) | instskip(NEXT) | instid1(VALU_DEP_2)
	v_fma_f64 v[2:3], v[22:23], v[34:35], -v[2:3]
	v_fmac_f64_e32 v[50:51], v[24:25], v[34:35]
	s_delay_alu instid0(VALU_DEP_2) | instskip(NEXT) | instid1(VALU_DEP_2)
	v_add_f64_e32 v[22:23], v[44:45], v[2:3]
	v_add_f64_e32 v[24:25], v[50:51], v[42:43]
	ds_load_b128 v[42:45], v41 offset:2160
	s_wait_dscnt 0x0
	s_barrier_signal -1
	s_barrier_wait -1
	v_mul_f64_e32 v[2:3], v[44:45], v[28:29]
	v_mul_f64_e32 v[28:29], v[42:43], v[28:29]
	s_delay_alu instid0(VALU_DEP_2) | instskip(NEXT) | instid1(VALU_DEP_2)
	v_fma_f64 v[2:3], v[42:43], v[26:27], -v[2:3]
	v_fmac_f64_e32 v[28:29], v[44:45], v[26:27]
	s_delay_alu instid0(VALU_DEP_2) | instskip(SKIP_1) | instid1(VALU_DEP_3)
	v_add_f64_e32 v[26:27], v[46:47], v[2:3]
	v_mul_f64_e32 v[2:3], v[44:45], v[36:37]
	v_add_f64_e32 v[28:29], v[28:29], v[48:49]
	s_delay_alu instid0(VALU_DEP_2) | instskip(SKIP_1) | instid1(VALU_DEP_2)
	v_fma_f64 v[2:3], v[42:43], v[34:35], -v[2:3]
	v_mul_f64_e32 v[42:43], v[42:43], v[36:37]
	v_add_f64_e32 v[36:37], v[52:53], v[2:3]
	s_delay_alu instid0(VALU_DEP_2) | instskip(NEXT) | instid1(VALU_DEP_1)
	v_fmac_f64_e32 v[42:43], v[44:45], v[34:35]
	v_add_f64_e32 v[34:35], v[42:43], v[54:55]
	s_cbranch_scc0 .LBB117_18
.LBB117_10:                             ;   Parent Loop BB117_7 Depth=1
                                        ; =>  This Inner Loop Header: Depth=2
	v_add_nc_u32_e32 v1, s0, v6
	s_delay_alu instid0(VALU_DEP_1) | instskip(SKIP_1) | instid1(SALU_CYCLE_1)
	v_cmp_le_i32_e32 vcc_lo, s19, v1
	s_or_b32 s1, s16, vcc_lo
	s_and_saveexec_b32 s21, s1
	s_delay_alu instid0(SALU_CYCLE_1)
	s_xor_b32 s1, exec_lo, s21
; %bb.11:                               ;   in Loop: Header=BB117_10 Depth=2
	v_dual_mov_b32 v1, v0 :: v_dual_mov_b32 v2, v0
	v_mov_b32_e32 v3, v0
	ds_store_b128 v7, v[0:3]
; %bb.12:                               ;   in Loop: Header=BB117_10 Depth=2
	s_and_not1_saveexec_b32 s1, s1
	s_cbranch_execz .LBB117_14
; %bb.13:                               ;   in Loop: Header=BB117_10 Depth=2
	global_load_b128 v[42:45], v[4:5], off
	s_wait_loadcnt 0x0
	ds_store_2addr_b64 v7, v[42:43], v[44:45] offset1:1
.LBB117_14:                             ;   in Loop: Header=BB117_10 Depth=2
	s_wait_xcnt 0x0
	s_or_b32 exec_lo, exec_lo, s1
	v_add_nc_u32_e32 v1, s0, v38
	s_delay_alu instid0(VALU_DEP_1) | instskip(SKIP_1) | instid1(SALU_CYCLE_1)
	v_cmp_le_i32_e32 vcc_lo, s19, v1
	s_or_b32 s1, vcc_lo, s17
	s_and_saveexec_b32 s21, s1
	s_delay_alu instid0(SALU_CYCLE_1)
	s_xor_b32 s1, exec_lo, s21
; %bb.15:                               ;   in Loop: Header=BB117_10 Depth=2
	v_dual_mov_b32 v1, v0 :: v_dual_mov_b32 v2, v0
	v_mov_b32_e32 v3, v0
	ds_store_b128 v39, v[0:3]
; %bb.16:                               ;   in Loop: Header=BB117_10 Depth=2
	s_and_not1_saveexec_b32 s1, s1
	s_cbranch_execz .LBB117_9
; %bb.17:                               ;   in Loop: Header=BB117_10 Depth=2
	global_load_b128 v[42:45], v[20:21], off
	s_wait_loadcnt 0x0
	ds_store_2addr_b64 v39, v[42:43], v[44:45] offset1:1
	s_branch .LBB117_9
.LBB117_18:                             ;   in Loop: Header=BB117_7 Depth=1
	s_mul_u64 s[0:1], s[30:31], s[28:29]
	s_delay_alu instid0(SALU_CYCLE_1) | instskip(NEXT) | instid1(SALU_CYCLE_1)
	s_lshl_b64 s[0:1], s[0:1], 4
	s_add_nc_u64 s[0:1], s[24:25], s[0:1]
	s_delay_alu instid0(SALU_CYCLE_1)
	v_lshl_add_u64 v[20:21], v[10:11], 4, s[0:1]
	s_and_saveexec_b32 s21, s26
	s_cbranch_execz .LBB117_23
; %bb.19:                               ;   in Loop: Header=BB117_7 Depth=1
	v_mul_f64_e32 v[2:3], s[14:15], v[32:33]
	v_mul_f64_e32 v[4:5], s[12:13], v[32:33]
	s_and_b32 vcc_lo, exec_lo, s18
	s_mov_b32 s22, -1
	s_delay_alu instid0(VALU_DEP_2) | instskip(NEXT) | instid1(VALU_DEP_2)
	v_fma_f64 v[2:3], s[12:13], v[30:31], -v[2:3]
	v_fmac_f64_e32 v[4:5], s[14:15], v[30:31]
	v_lshl_add_u64 v[30:31], v[8:9], 4, v[20:21]
	s_cbranch_vccz .LBB117_21
; %bb.20:                               ;   in Loop: Header=BB117_7 Depth=1
	global_load_b128 v[42:45], v[30:31], off
	s_mov_b32 s22, 0
	s_wait_loadcnt 0x0
	v_mul_f64_e32 v[32:33], s[10:11], v[44:45]
	v_mul_f64_e32 v[44:45], s[8:9], v[44:45]
	s_delay_alu instid0(VALU_DEP_2) | instskip(NEXT) | instid1(VALU_DEP_2)
	v_fma_f64 v[32:33], s[8:9], v[42:43], -v[32:33]
	v_fmac_f64_e32 v[44:45], s[10:11], v[42:43]
	s_delay_alu instid0(VALU_DEP_2) | instskip(NEXT) | instid1(VALU_DEP_2)
	v_add_f64_e32 v[42:43], v[2:3], v[32:33]
	v_add_f64_e32 v[44:45], v[4:5], v[44:45]
	global_store_b128 v[30:31], v[42:45], off
.LBB117_21:                             ;   in Loop: Header=BB117_7 Depth=1
	s_and_not1_b32 vcc_lo, exec_lo, s22
	s_cbranch_vccnz .LBB117_23
; %bb.22:                               ;   in Loop: Header=BB117_7 Depth=1
	global_store_b128 v[30:31], v[2:5], off
.LBB117_23:                             ;   in Loop: Header=BB117_7 Depth=1
	s_wait_xcnt 0x0
	s_or_b32 exec_lo, exec_lo, s21
	s_and_saveexec_b32 s21, s33
	s_cbranch_execz .LBB117_28
; %bb.24:                               ;   in Loop: Header=BB117_7 Depth=1
	v_mul_f64_e32 v[2:3], s[14:15], v[24:25]
	v_mul_f64_e32 v[4:5], s[12:13], v[24:25]
	v_lshl_add_u64 v[20:21], v[14:15], 4, v[20:21]
	s_and_not1_b32 vcc_lo, exec_lo, s18
	s_mov_b32 s22, -1
	s_delay_alu instid0(VALU_DEP_3) | instskip(NEXT) | instid1(VALU_DEP_3)
	v_fma_f64 v[2:3], s[12:13], v[22:23], -v[2:3]
	v_fmac_f64_e32 v[4:5], s[14:15], v[22:23]
	s_cbranch_vccnz .LBB117_26
; %bb.25:                               ;   in Loop: Header=BB117_7 Depth=1
	global_load_b128 v[22:25], v[20:21], off
	s_mov_b32 s22, 0
	s_wait_loadcnt 0x0
	v_mul_f64_e32 v[30:31], s[10:11], v[24:25]
	v_mul_f64_e32 v[24:25], s[8:9], v[24:25]
	s_delay_alu instid0(VALU_DEP_2) | instskip(NEXT) | instid1(VALU_DEP_2)
	v_fma_f64 v[30:31], s[8:9], v[22:23], -v[30:31]
	v_fmac_f64_e32 v[24:25], s[10:11], v[22:23]
	s_delay_alu instid0(VALU_DEP_2) | instskip(NEXT) | instid1(VALU_DEP_2)
	v_add_f64_e32 v[22:23], v[2:3], v[30:31]
	v_add_f64_e32 v[24:25], v[4:5], v[24:25]
	global_store_b128 v[20:21], v[22:25], off
.LBB117_26:                             ;   in Loop: Header=BB117_7 Depth=1
	s_and_not1_b32 vcc_lo, exec_lo, s22
	s_cbranch_vccnz .LBB117_28
; %bb.27:                               ;   in Loop: Header=BB117_7 Depth=1
	global_store_b128 v[20:21], v[2:5], off
.LBB117_28:                             ;   in Loop: Header=BB117_7 Depth=1
	s_wait_xcnt 0x0
	s_or_b32 exec_lo, exec_lo, s21
	v_lshl_add_u64 v[20:21], v[12:13], 4, s[0:1]
	s_and_saveexec_b32 s0, s36
	s_cbranch_execz .LBB117_33
; %bb.29:                               ;   in Loop: Header=BB117_7 Depth=1
	v_mul_f64_e32 v[2:3], s[14:15], v[28:29]
	v_mul_f64_e32 v[4:5], s[12:13], v[28:29]
	v_lshl_add_u64 v[22:23], v[8:9], 4, v[20:21]
	s_and_not1_b32 vcc_lo, exec_lo, s18
	s_mov_b32 s1, -1
	s_delay_alu instid0(VALU_DEP_3) | instskip(NEXT) | instid1(VALU_DEP_3)
	v_fma_f64 v[2:3], s[12:13], v[26:27], -v[2:3]
	v_fmac_f64_e32 v[4:5], s[14:15], v[26:27]
	s_cbranch_vccnz .LBB117_31
; %bb.30:                               ;   in Loop: Header=BB117_7 Depth=1
	global_load_b128 v[24:27], v[22:23], off
	s_mov_b32 s1, 0
	s_wait_loadcnt 0x0
	v_mul_f64_e32 v[28:29], s[10:11], v[26:27]
	v_mul_f64_e32 v[26:27], s[8:9], v[26:27]
	s_delay_alu instid0(VALU_DEP_2) | instskip(NEXT) | instid1(VALU_DEP_2)
	v_fma_f64 v[28:29], s[8:9], v[24:25], -v[28:29]
	v_fmac_f64_e32 v[26:27], s[10:11], v[24:25]
	s_delay_alu instid0(VALU_DEP_2) | instskip(NEXT) | instid1(VALU_DEP_2)
	v_add_f64_e32 v[24:25], v[2:3], v[28:29]
	v_add_f64_e32 v[26:27], v[4:5], v[26:27]
	global_store_b128 v[22:23], v[24:27], off
.LBB117_31:                             ;   in Loop: Header=BB117_7 Depth=1
	s_and_not1_b32 vcc_lo, exec_lo, s1
	s_cbranch_vccnz .LBB117_33
; %bb.32:                               ;   in Loop: Header=BB117_7 Depth=1
	global_store_b128 v[22:23], v[2:5], off
.LBB117_33:                             ;   in Loop: Header=BB117_7 Depth=1
	s_wait_xcnt 0x0
	s_or_b32 exec_lo, exec_lo, s0
	s_and_saveexec_b32 s0, s37
	s_cbranch_execz .LBB117_6
; %bb.34:                               ;   in Loop: Header=BB117_7 Depth=1
	s_delay_alu instid0(VALU_DEP_3) | instskip(SKIP_4) | instid1(VALU_DEP_3)
	v_mul_f64_e32 v[2:3], s[14:15], v[34:35]
	v_mul_f64_e32 v[4:5], s[12:13], v[34:35]
	v_lshl_add_u64 v[20:21], v[14:15], 4, v[20:21]
	s_and_not1_b32 vcc_lo, exec_lo, s18
	s_mov_b32 s1, -1
	v_fma_f64 v[2:3], s[12:13], v[36:37], -v[2:3]
	s_delay_alu instid0(VALU_DEP_3)
	v_fmac_f64_e32 v[4:5], s[14:15], v[36:37]
	s_cbranch_vccnz .LBB117_36
; %bb.35:                               ;   in Loop: Header=BB117_7 Depth=1
	global_load_b128 v[22:25], v[20:21], off
	s_mov_b32 s1, 0
	s_wait_loadcnt 0x0
	v_mul_f64_e32 v[26:27], s[10:11], v[24:25]
	v_mul_f64_e32 v[24:25], s[8:9], v[24:25]
	s_delay_alu instid0(VALU_DEP_2) | instskip(NEXT) | instid1(VALU_DEP_2)
	v_fma_f64 v[26:27], s[8:9], v[22:23], -v[26:27]
	v_fmac_f64_e32 v[24:25], s[10:11], v[22:23]
	s_delay_alu instid0(VALU_DEP_2) | instskip(NEXT) | instid1(VALU_DEP_2)
	v_add_f64_e32 v[22:23], v[2:3], v[26:27]
	v_add_f64_e32 v[24:25], v[4:5], v[24:25]
	global_store_b128 v[20:21], v[22:25], off
.LBB117_36:                             ;   in Loop: Header=BB117_7 Depth=1
	s_and_not1_b32 vcc_lo, exec_lo, s1
	s_cbranch_vccnz .LBB117_6
; %bb.37:                               ;   in Loop: Header=BB117_7 Depth=1
	global_store_b128 v[20:21], v[2:5], off
	s_branch .LBB117_6
.LBB117_38:
.LBB117_39:
	s_sendmsg sendmsg(MSG_DEALLOC_VGPRS)
	s_endpgm
	.section	.rodata,"a",@progbits
	.p2align	6, 0x0
	.amdhsa_kernel _ZL29rocblas_internal_gemmt_kernelIiLi16ELi32ELi8ELc78ELc78ELc76ELb0ELb0E19rocblas_complex_numIdEPKS1_S3_PS1_EviT_T9_T10_S5_lS7_S5_lS6_T11_S5_li
		.amdhsa_group_segment_fixed_size 8192
		.amdhsa_private_segment_fixed_size 0
		.amdhsa_kernarg_size 100
		.amdhsa_user_sgpr_count 2
		.amdhsa_user_sgpr_dispatch_ptr 0
		.amdhsa_user_sgpr_queue_ptr 0
		.amdhsa_user_sgpr_kernarg_segment_ptr 1
		.amdhsa_user_sgpr_dispatch_id 0
		.amdhsa_user_sgpr_kernarg_preload_length 0
		.amdhsa_user_sgpr_kernarg_preload_offset 0
		.amdhsa_user_sgpr_private_segment_size 0
		.amdhsa_wavefront_size32 1
		.amdhsa_uses_dynamic_stack 0
		.amdhsa_enable_private_segment 0
		.amdhsa_system_sgpr_workgroup_id_x 1
		.amdhsa_system_sgpr_workgroup_id_y 1
		.amdhsa_system_sgpr_workgroup_id_z 1
		.amdhsa_system_sgpr_workgroup_info 0
		.amdhsa_system_vgpr_workitem_id 1
		.amdhsa_next_free_vgpr 66
		.amdhsa_next_free_sgpr 41
		.amdhsa_named_barrier_count 0
		.amdhsa_reserve_vcc 1
		.amdhsa_float_round_mode_32 0
		.amdhsa_float_round_mode_16_64 0
		.amdhsa_float_denorm_mode_32 3
		.amdhsa_float_denorm_mode_16_64 3
		.amdhsa_fp16_overflow 0
		.amdhsa_memory_ordered 1
		.amdhsa_forward_progress 1
		.amdhsa_inst_pref_size 26
		.amdhsa_round_robin_scheduling 0
		.amdhsa_exception_fp_ieee_invalid_op 0
		.amdhsa_exception_fp_denorm_src 0
		.amdhsa_exception_fp_ieee_div_zero 0
		.amdhsa_exception_fp_ieee_overflow 0
		.amdhsa_exception_fp_ieee_underflow 0
		.amdhsa_exception_fp_ieee_inexact 0
		.amdhsa_exception_int_div_zero 0
	.end_amdhsa_kernel
	.section	.text._ZL29rocblas_internal_gemmt_kernelIiLi16ELi32ELi8ELc78ELc78ELc76ELb0ELb0E19rocblas_complex_numIdEPKS1_S3_PS1_EviT_T9_T10_S5_lS7_S5_lS6_T11_S5_li,"axG",@progbits,_ZL29rocblas_internal_gemmt_kernelIiLi16ELi32ELi8ELc78ELc78ELc76ELb0ELb0E19rocblas_complex_numIdEPKS1_S3_PS1_EviT_T9_T10_S5_lS7_S5_lS6_T11_S5_li,comdat
.Lfunc_end117:
	.size	_ZL29rocblas_internal_gemmt_kernelIiLi16ELi32ELi8ELc78ELc78ELc76ELb0ELb0E19rocblas_complex_numIdEPKS1_S3_PS1_EviT_T9_T10_S5_lS7_S5_lS6_T11_S5_li, .Lfunc_end117-_ZL29rocblas_internal_gemmt_kernelIiLi16ELi32ELi8ELc78ELc78ELc76ELb0ELb0E19rocblas_complex_numIdEPKS1_S3_PS1_EviT_T9_T10_S5_lS7_S5_lS6_T11_S5_li
                                        ; -- End function
	.set _ZL29rocblas_internal_gemmt_kernelIiLi16ELi32ELi8ELc78ELc78ELc76ELb0ELb0E19rocblas_complex_numIdEPKS1_S3_PS1_EviT_T9_T10_S5_lS7_S5_lS6_T11_S5_li.num_vgpr, 66
	.set _ZL29rocblas_internal_gemmt_kernelIiLi16ELi32ELi8ELc78ELc78ELc76ELb0ELb0E19rocblas_complex_numIdEPKS1_S3_PS1_EviT_T9_T10_S5_lS7_S5_lS6_T11_S5_li.num_agpr, 0
	.set _ZL29rocblas_internal_gemmt_kernelIiLi16ELi32ELi8ELc78ELc78ELc76ELb0ELb0E19rocblas_complex_numIdEPKS1_S3_PS1_EviT_T9_T10_S5_lS7_S5_lS6_T11_S5_li.numbered_sgpr, 41
	.set _ZL29rocblas_internal_gemmt_kernelIiLi16ELi32ELi8ELc78ELc78ELc76ELb0ELb0E19rocblas_complex_numIdEPKS1_S3_PS1_EviT_T9_T10_S5_lS7_S5_lS6_T11_S5_li.num_named_barrier, 0
	.set _ZL29rocblas_internal_gemmt_kernelIiLi16ELi32ELi8ELc78ELc78ELc76ELb0ELb0E19rocblas_complex_numIdEPKS1_S3_PS1_EviT_T9_T10_S5_lS7_S5_lS6_T11_S5_li.private_seg_size, 0
	.set _ZL29rocblas_internal_gemmt_kernelIiLi16ELi32ELi8ELc78ELc78ELc76ELb0ELb0E19rocblas_complex_numIdEPKS1_S3_PS1_EviT_T9_T10_S5_lS7_S5_lS6_T11_S5_li.uses_vcc, 1
	.set _ZL29rocblas_internal_gemmt_kernelIiLi16ELi32ELi8ELc78ELc78ELc76ELb0ELb0E19rocblas_complex_numIdEPKS1_S3_PS1_EviT_T9_T10_S5_lS7_S5_lS6_T11_S5_li.uses_flat_scratch, 0
	.set _ZL29rocblas_internal_gemmt_kernelIiLi16ELi32ELi8ELc78ELc78ELc76ELb0ELb0E19rocblas_complex_numIdEPKS1_S3_PS1_EviT_T9_T10_S5_lS7_S5_lS6_T11_S5_li.has_dyn_sized_stack, 0
	.set _ZL29rocblas_internal_gemmt_kernelIiLi16ELi32ELi8ELc78ELc78ELc76ELb0ELb0E19rocblas_complex_numIdEPKS1_S3_PS1_EviT_T9_T10_S5_lS7_S5_lS6_T11_S5_li.has_recursion, 0
	.set _ZL29rocblas_internal_gemmt_kernelIiLi16ELi32ELi8ELc78ELc78ELc76ELb0ELb0E19rocblas_complex_numIdEPKS1_S3_PS1_EviT_T9_T10_S5_lS7_S5_lS6_T11_S5_li.has_indirect_call, 0
	.section	.AMDGPU.csdata,"",@progbits
; Kernel info:
; codeLenInByte = 3252
; TotalNumSgprs: 43
; NumVgprs: 66
; ScratchSize: 0
; MemoryBound: 0
; FloatMode: 240
; IeeeMode: 1
; LDSByteSize: 8192 bytes/workgroup (compile time only)
; SGPRBlocks: 0
; VGPRBlocks: 4
; NumSGPRsForWavesPerEU: 43
; NumVGPRsForWavesPerEU: 66
; NamedBarCnt: 0
; Occupancy: 12
; WaveLimiterHint : 0
; COMPUTE_PGM_RSRC2:SCRATCH_EN: 0
; COMPUTE_PGM_RSRC2:USER_SGPR: 2
; COMPUTE_PGM_RSRC2:TRAP_HANDLER: 0
; COMPUTE_PGM_RSRC2:TGID_X_EN: 1
; COMPUTE_PGM_RSRC2:TGID_Y_EN: 1
; COMPUTE_PGM_RSRC2:TGID_Z_EN: 1
; COMPUTE_PGM_RSRC2:TIDIG_COMP_CNT: 1
	.section	.text._ZL29rocblas_internal_gemmt_kernelIiLi16ELi32ELi8ELc78ELc84ELc76ELb0ELb0E19rocblas_complex_numIdEPKS1_S3_PS1_EviT_T9_T10_S5_lS7_S5_lS6_T11_S5_li,"axG",@progbits,_ZL29rocblas_internal_gemmt_kernelIiLi16ELi32ELi8ELc78ELc84ELc76ELb0ELb0E19rocblas_complex_numIdEPKS1_S3_PS1_EviT_T9_T10_S5_lS7_S5_lS6_T11_S5_li,comdat
	.globl	_ZL29rocblas_internal_gemmt_kernelIiLi16ELi32ELi8ELc78ELc84ELc76ELb0ELb0E19rocblas_complex_numIdEPKS1_S3_PS1_EviT_T9_T10_S5_lS7_S5_lS6_T11_S5_li ; -- Begin function _ZL29rocblas_internal_gemmt_kernelIiLi16ELi32ELi8ELc78ELc84ELc76ELb0ELb0E19rocblas_complex_numIdEPKS1_S3_PS1_EviT_T9_T10_S5_lS7_S5_lS6_T11_S5_li
	.p2align	8
	.type	_ZL29rocblas_internal_gemmt_kernelIiLi16ELi32ELi8ELc78ELc84ELc76ELb0ELb0E19rocblas_complex_numIdEPKS1_S3_PS1_EviT_T9_T10_S5_lS7_S5_lS6_T11_S5_li,@function
_ZL29rocblas_internal_gemmt_kernelIiLi16ELi32ELi8ELc78ELc84ELc76ELb0ELb0E19rocblas_complex_numIdEPKS1_S3_PS1_EviT_T9_T10_S5_lS7_S5_lS6_T11_S5_li: ; @_ZL29rocblas_internal_gemmt_kernelIiLi16ELi32ELi8ELc78ELc84ELc76ELb0ELb0E19rocblas_complex_numIdEPKS1_S3_PS1_EviT_T9_T10_S5_lS7_S5_lS6_T11_S5_li
; %bb.0:
	s_load_b128 s[16:19], s[0:1], 0x38
	s_wait_kmcnt 0x0
	s_load_b128 s[8:11], s[18:19], 0x0
	s_load_b128 s[4:7], s[0:1], 0x8
	s_wait_xcnt 0x0
	s_load_b64 s[18:19], s[0:1], 0x0
	s_wait_kmcnt 0x0
	v_cmp_eq_f64_e64 s3, s[8:9], 1.0
	v_cmp_eq_f64_e64 s2, s[10:11], 0
	s_load_b128 s[12:15], s[4:5], 0x0
	s_and_b32 s3, s3, s2
	s_delay_alu instid0(SALU_CYCLE_1)
	s_and_not1_b32 vcc_lo, exec_lo, s3
	s_mov_b32 s3, -1
	s_cbranch_vccnz .LBB118_3
; %bb.1:
	s_cmp_lg_u32 s19, 0
	s_cbranch_scc0 .LBB118_38
; %bb.2:
	s_wait_kmcnt 0x0
	v_cmp_neq_f64_e64 s3, s[12:13], 0
	v_cmp_neq_f64_e64 s4, s[14:15], 0
	s_or_b32 s3, s3, s4
.LBB118_3:
	s_delay_alu instid0(SALU_CYCLE_1)
	s_and_b32 vcc_lo, exec_lo, s3
	s_cbranch_vccz .LBB118_39
; %bb.4:
	s_load_b32 s27, s[0:1], 0x60
	s_bfe_u32 s3, ttmp6, 0x40014
	s_wait_xcnt 0x0
	s_lshr_b32 s4, ttmp7, 16
	s_add_co_i32 s3, s3, 1
	s_bfe_u32 s20, ttmp6, 0x40008
	s_mul_i32 s5, s4, s3
	s_getreg_b32 s3, hwreg(HW_REG_IB_STS2, 6, 4)
	s_add_co_i32 s20, s20, s5
	s_cmp_eq_u32 s3, 0
	s_mov_b32 s29, 0
	s_cselect_b32 s28, s4, s20
	s_wait_kmcnt 0x0
	s_cmp_ge_u32 s28, s27
	s_cbranch_scc1 .LBB118_39
; %bb.5:
	s_clause 0x4
	s_load_b32 s36, s[0:1], 0x18
	s_load_b32 s34, s[0:1], 0x30
	s_load_b96 s[24:26], s[0:1], 0x48
	s_load_b128 s[20:23], s[0:1], 0x20
	s_load_b64 s[30:31], s[0:1], 0x58
	s_wait_xcnt 0x0
	s_bfe_u32 s1, ttmp6, 0x4000c
	s_bfe_u32 s39, ttmp6, 0x40010
	v_and_b32_e32 v1, 0x3ff, v0
	v_bfe_u32 v3, v0, 10, 10
	s_add_co_i32 s1, s1, 1
	s_add_co_i32 s39, s39, 1
	s_and_b32 s0, ttmp6, 15
	s_mul_i32 s1, ttmp9, s1
	s_bfe_u32 s40, ttmp6, 0x40004
	v_and_b32_e32 v6, 7, v0
	v_lshl_add_u32 v0, v3, 4, v1
	s_add_co_i32 s0, s0, s1
	v_cmp_neq_f64_e64 s33, s[12:13], 0
	v_cmp_neq_f64_e64 s38, s[14:15], 0
	v_lshl_add_u32 v41, v3, 7, 0x1000
	s_wait_kmcnt 0x0
	s_ashr_i32 s37, s36, 31
	s_ashr_i32 s35, s34, 31
	;; [unrolled: 1-line block ×3, first 2 shown]
	s_mov_b32 s4, s26
	s_and_b32 s26, ttmp7, 0xffff
	v_lshrrev_b32_e32 v8, 5, v0
	s_mul_i32 s39, s26, s39
	v_dual_lshrrev_b32 v5, 3, v0 :: v_dual_bitop2_b32 v10, 31, v0 bitop3:0x40
	s_add_co_i32 s40, s40, s39
	s_cmp_eq_u32 s3, 0
	v_lshlrev_b32_e32 v40, 4, v1
	s_cselect_b32 s0, ttmp9, s0
	s_cselect_b32 s1, s26, s40
	s_lshl_b32 s3, s0, 5
	s_delay_alu instid0(SALU_CYCLE_1) | instskip(SKIP_1) | instid1(SALU_CYCLE_1)
	v_dual_mov_b32 v0, 0 :: v_dual_bitop2_b32 v2, s3, v10 bitop3:0x54
	s_lshl_b32 s0, s1, 5
	v_dual_lshlrev_b32 v11, 4, v6 :: v_dual_add_nc_u32 v4, s0, v5
	s_delay_alu instid0(VALU_DEP_2) | instskip(SKIP_2) | instid1(VALU_DEP_3)
	v_dual_mov_b32 v9, v0 :: v_dual_mov_b32 v7, v0
	v_dual_lshlrev_b32 v10, 4, v10 :: v_dual_add_nc_u32 v20, s0, v3
	v_cmp_neq_f64_e64 s26, s[8:9], 0
	v_mul_u64_e32 v[18:19], s[36:37], v[8:9]
	s_delay_alu instid0(VALU_DEP_4) | instskip(NEXT) | instid1(VALU_DEP_4)
	v_mul_u64_e32 v[22:23], s[34:35], v[6:7]
	v_lshl_or_b32 v7, v8, 9, v10
	v_dual_add_nc_u32 v24, 16, v20 :: v_dual_ashrrev_i32 v21, 31, v20
	v_add_nc_u32_e32 v10, s3, v1
	v_lshl_or_b32 v5, v5, 7, v11
	v_cmp_gt_i32_e32 vcc_lo, s18, v2
	s_delay_alu instid0(VALU_DEP_4) | instskip(SKIP_3) | instid1(VALU_DEP_4)
	v_ashrrev_i32_e32 v25, 31, v24
	v_mul_u64_e32 v[12:13], s[4:5], v[20:21]
	v_dual_add_nc_u32 v16, 16, v10 :: v_dual_ashrrev_i32 v11, 31, v10
	v_add_nc_u32_e32 v9, 0x1000, v5
	v_mul_u64_e32 v[14:15], s[4:5], v[24:25]
	v_dual_ashrrev_i32 v5, 31, v4 :: v_dual_ashrrev_i32 v3, 31, v2
	s_delay_alu instid0(VALU_DEP_4)
	v_ashrrev_i32_e32 v17, 31, v16
	v_cmp_gt_i32_e64 s0, s18, v4
	s_or_b32 s40, s33, s38
	v_lshlrev_b64_e32 v[4:5], 4, v[4:5]
	v_lshlrev_b64_e32 v[2:3], 4, v[2:3]
	s_cmp_gt_i32 s19, 0
	v_cmp_le_i32_e64 s1, v20, v10
	s_cselect_b32 s41, -1, 0
	s_xor_b32 s3, s2, -1
	v_cmp_gt_i32_e64 s2, s18, v10
	v_cmp_gt_i32_e64 s4, s18, v16
	s_and_b32 s18, s1, s2
	s_or_b32 s26, s26, s3
	v_cmp_le_i32_e64 s3, v20, v16
	v_lshl_add_u64 v[2:3], v[18:19], 4, v[2:3]
	v_lshl_add_u64 v[4:5], v[22:23], 4, v[4:5]
	v_cmp_le_i32_e64 s1, v24, v10
	s_and_b32 s33, s3, s4
	v_cmp_le_i32_e64 s3, v24, v16
	v_add_nc_u64_e32 v[18:19], s[6:7], v[2:3]
	v_add_nc_u64_e32 v[20:21], s[22:23], v[4:5]
	s_and_b32 s38, s1, s2
	s_lshl_b64 s[6:7], s[16:17], 4
	s_and_b32 s39, s3, s4
	s_lshl_b64 s[2:3], s[20:21], 4
	s_lshl_b64 s[4:5], s[36:37], 7
	s_and_b32 s20, s40, s41
	s_lshl_b64 s[16:17], s[34:35], 7
	s_xor_b32 s21, vcc_lo, -1
	s_xor_b32 s22, s0, -1
	s_branch .LBB118_7
.LBB118_6:                              ;   in Loop: Header=BB118_7 Depth=1
	s_wait_xcnt 0x0
	s_or_b32 exec_lo, exec_lo, s0
	s_add_co_i32 s28, s28, 0x10000
	s_delay_alu instid0(SALU_CYCLE_1)
	s_cmp_lt_u32 s28, s27
	s_cbranch_scc0 .LBB118_39
.LBB118_7:                              ; =>This Loop Header: Depth=1
                                        ;     Child Loop BB118_10 Depth 2
	v_mov_b64_e32 v[32:33], 0
	v_mov_b64_e32 v[34:35], 0
	;; [unrolled: 1-line block ×8, first 2 shown]
	s_and_not1_b32 vcc_lo, exec_lo, s20
	s_cbranch_vccnz .LBB118_18
; %bb.8:                                ;   in Loop: Header=BB118_7 Depth=1
	v_mad_nc_u64_u32 v[4:5], s2, s28, v[18:19]
	v_mad_nc_u64_u32 v[22:23], s6, s28, v[20:21]
	v_mov_b64_e32 v[36:37], 0
	v_mov_b64_e32 v[38:39], 0
	;; [unrolled: 1-line block ×8, first 2 shown]
	s_mov_b32 s0, 0
	v_mad_u32 v5, s3, s28, v5
	v_mad_u32 v23, s7, s28, v23
	s_branch .LBB118_10
.LBB118_9:                              ;   in Loop: Header=BB118_10 Depth=2
	s_wait_xcnt 0x0
	s_or_b32 exec_lo, exec_lo, s1
	s_wait_dscnt 0x0
	s_barrier_signal -1
	s_barrier_wait -1
	ds_load_b128 v[42:45], v41
	ds_load_b128 v[46:49], v41 offset:16
	ds_load_b128 v[50:53], v41 offset:32
	;; [unrolled: 1-line block ×3, first 2 shown]
	ds_load_b128 v[58:61], v40
	v_add_nc_u64_e32 v[4:5], s[4:5], v[4:5]
	v_add_nc_u64_e32 v[22:23], s[16:17], v[22:23]
	s_add_co_i32 s0, s0, 8
	s_delay_alu instid0(SALU_CYCLE_1) | instskip(SKIP_3) | instid1(VALU_DEP_2)
	s_cmp_lt_i32 s0, s19
	s_wait_dscnt 0x0
	v_mul_f64_e32 v[2:3], v[44:45], v[60:61]
	v_mul_f64_e32 v[62:63], v[42:43], v[60:61]
	v_fma_f64 v[2:3], v[42:43], v[58:59], -v[2:3]
	s_delay_alu instid0(VALU_DEP_2) | instskip(NEXT) | instid1(VALU_DEP_2)
	v_fmac_f64_e32 v[62:63], v[44:45], v[58:59]
	v_add_f64_e32 v[2:3], v[32:33], v[2:3]
	s_delay_alu instid0(VALU_DEP_2) | instskip(SKIP_3) | instid1(VALU_DEP_1)
	v_add_f64_e32 v[62:63], v[62:63], v[34:35]
	ds_load_b128 v[32:35], v40 offset:256
	s_wait_dscnt 0x0
	v_mul_f64_e32 v[64:65], v[44:45], v[34:35]
	v_fma_f64 v[64:65], v[42:43], v[32:33], -v[64:65]
	v_mul_f64_e32 v[42:43], v[42:43], v[34:35]
	s_delay_alu instid0(VALU_DEP_1) | instskip(NEXT) | instid1(VALU_DEP_3)
	v_fmac_f64_e32 v[42:43], v[44:45], v[32:33]
	v_add_f64_e32 v[44:45], v[24:25], v[64:65]
	s_delay_alu instid0(VALU_DEP_2) | instskip(SKIP_4) | instid1(VALU_DEP_2)
	v_add_f64_e32 v[42:43], v[42:43], v[26:27]
	ds_load_b128 v[24:27], v41 offset:2048
	s_wait_dscnt 0x0
	v_mul_f64_e32 v[64:65], v[26:27], v[60:61]
	v_mul_f64_e32 v[60:61], v[24:25], v[60:61]
	v_fma_f64 v[64:65], v[24:25], v[58:59], -v[64:65]
	s_delay_alu instid0(VALU_DEP_2) | instskip(NEXT) | instid1(VALU_DEP_2)
	v_fmac_f64_e32 v[60:61], v[26:27], v[58:59]
	v_add_f64_e32 v[58:59], v[28:29], v[64:65]
	v_mul_f64_e32 v[28:29], v[26:27], v[34:35]
	s_delay_alu instid0(VALU_DEP_3) | instskip(NEXT) | instid1(VALU_DEP_2)
	v_add_f64_e32 v[60:61], v[60:61], v[30:31]
	v_fma_f64 v[28:29], v[24:25], v[32:33], -v[28:29]
	v_mul_f64_e32 v[24:25], v[24:25], v[34:35]
	s_delay_alu instid0(VALU_DEP_2) | instskip(NEXT) | instid1(VALU_DEP_2)
	v_add_f64_e32 v[38:39], v[38:39], v[28:29]
	v_fmac_f64_e32 v[24:25], v[26:27], v[32:33]
	s_delay_alu instid0(VALU_DEP_1) | instskip(SKIP_4) | instid1(VALU_DEP_2)
	v_add_f64_e32 v[36:37], v[24:25], v[36:37]
	ds_load_b128 v[24:27], v40 offset:512
	s_wait_dscnt 0x0
	v_mul_f64_e32 v[28:29], v[48:49], v[26:27]
	v_mul_f64_e32 v[30:31], v[46:47], v[26:27]
	v_fma_f64 v[28:29], v[46:47], v[24:25], -v[28:29]
	s_delay_alu instid0(VALU_DEP_2) | instskip(NEXT) | instid1(VALU_DEP_2)
	v_fmac_f64_e32 v[30:31], v[48:49], v[24:25]
	v_add_f64_e32 v[2:3], v[2:3], v[28:29]
	s_delay_alu instid0(VALU_DEP_2) | instskip(SKIP_4) | instid1(VALU_DEP_2)
	v_add_f64_e32 v[62:63], v[30:31], v[62:63]
	ds_load_b128 v[28:31], v40 offset:768
	s_wait_dscnt 0x0
	v_mul_f64_e32 v[32:33], v[48:49], v[30:31]
	v_mul_f64_e32 v[34:35], v[46:47], v[30:31]
	v_fma_f64 v[32:33], v[46:47], v[28:29], -v[32:33]
	s_delay_alu instid0(VALU_DEP_2) | instskip(NEXT) | instid1(VALU_DEP_2)
	v_fmac_f64_e32 v[34:35], v[48:49], v[28:29]
	v_add_f64_e32 v[44:45], v[44:45], v[32:33]
	s_delay_alu instid0(VALU_DEP_2) | instskip(SKIP_4) | instid1(VALU_DEP_2)
	v_add_f64_e32 v[42:43], v[34:35], v[42:43]
	ds_load_b128 v[32:35], v41 offset:2064
	s_wait_dscnt 0x0
	v_mul_f64_e32 v[46:47], v[34:35], v[26:27]
	v_mul_f64_e32 v[26:27], v[32:33], v[26:27]
	v_fma_f64 v[46:47], v[32:33], v[24:25], -v[46:47]
	s_delay_alu instid0(VALU_DEP_2) | instskip(SKIP_1) | instid1(VALU_DEP_3)
	v_fmac_f64_e32 v[26:27], v[34:35], v[24:25]
	v_mul_f64_e32 v[24:25], v[34:35], v[30:31]
	v_add_f64_e32 v[46:47], v[58:59], v[46:47]
	s_delay_alu instid0(VALU_DEP_3) | instskip(SKIP_1) | instid1(VALU_DEP_4)
	v_add_f64_e32 v[48:49], v[26:27], v[60:61]
	v_mul_f64_e32 v[26:27], v[32:33], v[30:31]
	v_fma_f64 v[24:25], v[32:33], v[28:29], -v[24:25]
	s_delay_alu instid0(VALU_DEP_2) | instskip(NEXT) | instid1(VALU_DEP_2)
	v_fmac_f64_e32 v[26:27], v[34:35], v[28:29]
	v_add_f64_e32 v[38:39], v[38:39], v[24:25]
	s_delay_alu instid0(VALU_DEP_2) | instskip(SKIP_4) | instid1(VALU_DEP_2)
	v_add_f64_e32 v[36:37], v[26:27], v[36:37]
	ds_load_b128 v[24:27], v40 offset:1024
	s_wait_dscnt 0x0
	v_mul_f64_e32 v[28:29], v[52:53], v[26:27]
	v_mul_f64_e32 v[30:31], v[50:51], v[26:27]
	v_fma_f64 v[28:29], v[50:51], v[24:25], -v[28:29]
	s_delay_alu instid0(VALU_DEP_2) | instskip(NEXT) | instid1(VALU_DEP_2)
	v_fmac_f64_e32 v[30:31], v[52:53], v[24:25]
	v_add_f64_e32 v[2:3], v[2:3], v[28:29]
	s_delay_alu instid0(VALU_DEP_2) | instskip(SKIP_4) | instid1(VALU_DEP_2)
	v_add_f64_e32 v[58:59], v[30:31], v[62:63]
	ds_load_b128 v[28:31], v40 offset:1280
	s_wait_dscnt 0x0
	v_mul_f64_e32 v[32:33], v[52:53], v[30:31]
	;; [unrolled: 10-line block ×3, first 2 shown]
	v_mul_f64_e32 v[26:27], v[32:33], v[26:27]
	v_fma_f64 v[50:51], v[32:33], v[24:25], -v[50:51]
	s_delay_alu instid0(VALU_DEP_2) | instskip(SKIP_1) | instid1(VALU_DEP_3)
	v_fmac_f64_e32 v[26:27], v[34:35], v[24:25]
	v_mul_f64_e32 v[24:25], v[34:35], v[30:31]
	v_add_f64_e32 v[46:47], v[46:47], v[50:51]
	s_delay_alu instid0(VALU_DEP_3) | instskip(SKIP_1) | instid1(VALU_DEP_4)
	v_add_f64_e32 v[48:49], v[26:27], v[48:49]
	v_mul_f64_e32 v[26:27], v[32:33], v[30:31]
	v_fma_f64 v[24:25], v[32:33], v[28:29], -v[24:25]
	s_delay_alu instid0(VALU_DEP_2) | instskip(NEXT) | instid1(VALU_DEP_2)
	v_fmac_f64_e32 v[26:27], v[34:35], v[28:29]
	v_add_f64_e32 v[38:39], v[38:39], v[24:25]
	s_delay_alu instid0(VALU_DEP_2) | instskip(SKIP_4) | instid1(VALU_DEP_2)
	v_add_f64_e32 v[36:37], v[26:27], v[36:37]
	ds_load_b128 v[24:27], v40 offset:1536
	s_wait_dscnt 0x0
	v_mul_f64_e32 v[28:29], v[56:57], v[26:27]
	v_mul_f64_e32 v[30:31], v[54:55], v[26:27]
	v_fma_f64 v[28:29], v[54:55], v[24:25], -v[28:29]
	s_delay_alu instid0(VALU_DEP_2) | instskip(NEXT) | instid1(VALU_DEP_2)
	v_fmac_f64_e32 v[30:31], v[56:57], v[24:25]
	v_add_f64_e32 v[2:3], v[2:3], v[28:29]
	s_delay_alu instid0(VALU_DEP_2) | instskip(SKIP_4) | instid1(VALU_DEP_2)
	v_add_f64_e32 v[50:51], v[30:31], v[58:59]
	ds_load_b128 v[28:31], v40 offset:1792
	s_wait_dscnt 0x0
	v_mul_f64_e32 v[32:33], v[56:57], v[30:31]
	;; [unrolled: 10-line block ×3, first 2 shown]
	v_mul_f64_e32 v[26:27], v[32:33], v[26:27]
	v_fma_f64 v[52:53], v[32:33], v[24:25], -v[52:53]
	s_delay_alu instid0(VALU_DEP_2) | instskip(SKIP_1) | instid1(VALU_DEP_3)
	v_fmac_f64_e32 v[26:27], v[34:35], v[24:25]
	v_mul_f64_e32 v[24:25], v[34:35], v[30:31]
	v_add_f64_e32 v[46:47], v[46:47], v[52:53]
	s_delay_alu instid0(VALU_DEP_3) | instskip(SKIP_1) | instid1(VALU_DEP_4)
	v_add_f64_e32 v[48:49], v[26:27], v[48:49]
	v_mul_f64_e32 v[26:27], v[32:33], v[30:31]
	v_fma_f64 v[24:25], v[32:33], v[28:29], -v[24:25]
	s_delay_alu instid0(VALU_DEP_2) | instskip(NEXT) | instid1(VALU_DEP_2)
	v_fmac_f64_e32 v[26:27], v[34:35], v[28:29]
	v_add_f64_e32 v[38:39], v[38:39], v[24:25]
	s_delay_alu instid0(VALU_DEP_2)
	v_add_f64_e32 v[36:37], v[26:27], v[36:37]
	ds_load_b128 v[24:27], v41 offset:64
	ds_load_b128 v[28:31], v40 offset:2048
	s_wait_dscnt 0x0
	v_mul_f64_e32 v[32:33], v[26:27], v[30:31]
	v_mul_f64_e32 v[34:35], v[24:25], v[30:31]
	s_delay_alu instid0(VALU_DEP_2) | instskip(NEXT) | instid1(VALU_DEP_2)
	v_fma_f64 v[32:33], v[24:25], v[28:29], -v[32:33]
	v_fmac_f64_e32 v[34:35], v[26:27], v[28:29]
	s_delay_alu instid0(VALU_DEP_2) | instskip(NEXT) | instid1(VALU_DEP_2)
	v_add_f64_e32 v[2:3], v[2:3], v[32:33]
	v_add_f64_e32 v[50:51], v[34:35], v[50:51]
	ds_load_b128 v[32:35], v40 offset:2304
	s_wait_dscnt 0x0
	v_mul_f64_e32 v[52:53], v[26:27], v[34:35]
	s_delay_alu instid0(VALU_DEP_1) | instskip(SKIP_1) | instid1(VALU_DEP_2)
	v_fma_f64 v[52:53], v[24:25], v[32:33], -v[52:53]
	v_mul_f64_e32 v[24:25], v[24:25], v[34:35]
	v_add_f64_e32 v[44:45], v[44:45], v[52:53]
	s_delay_alu instid0(VALU_DEP_2) | instskip(NEXT) | instid1(VALU_DEP_1)
	v_fmac_f64_e32 v[24:25], v[26:27], v[32:33]
	v_add_f64_e32 v[42:43], v[24:25], v[42:43]
	ds_load_b128 v[24:27], v41 offset:2112
	s_wait_dscnt 0x0
	v_mul_f64_e32 v[52:53], v[26:27], v[30:31]
	v_mul_f64_e32 v[30:31], v[24:25], v[30:31]
	s_delay_alu instid0(VALU_DEP_2) | instskip(NEXT) | instid1(VALU_DEP_2)
	v_fma_f64 v[52:53], v[24:25], v[28:29], -v[52:53]
	v_fmac_f64_e32 v[30:31], v[26:27], v[28:29]
	v_mul_f64_e32 v[28:29], v[26:27], v[34:35]
	s_delay_alu instid0(VALU_DEP_3) | instskip(NEXT) | instid1(VALU_DEP_3)
	v_add_f64_e32 v[46:47], v[46:47], v[52:53]
	v_add_f64_e32 v[48:49], v[30:31], v[48:49]
	s_delay_alu instid0(VALU_DEP_3) | instskip(SKIP_1) | instid1(VALU_DEP_2)
	v_fma_f64 v[28:29], v[24:25], v[32:33], -v[28:29]
	v_mul_f64_e32 v[24:25], v[24:25], v[34:35]
	v_add_f64_e32 v[38:39], v[38:39], v[28:29]
	s_delay_alu instid0(VALU_DEP_2) | instskip(NEXT) | instid1(VALU_DEP_1)
	v_fmac_f64_e32 v[24:25], v[26:27], v[32:33]
	v_add_f64_e32 v[36:37], v[24:25], v[36:37]
	ds_load_b128 v[24:27], v41 offset:80
	ds_load_b128 v[28:31], v40 offset:2560
	s_wait_dscnt 0x0
	v_mul_f64_e32 v[32:33], v[26:27], v[30:31]
	v_mul_f64_e32 v[34:35], v[24:25], v[30:31]
	s_delay_alu instid0(VALU_DEP_2) | instskip(NEXT) | instid1(VALU_DEP_2)
	v_fma_f64 v[32:33], v[24:25], v[28:29], -v[32:33]
	v_fmac_f64_e32 v[34:35], v[26:27], v[28:29]
	s_delay_alu instid0(VALU_DEP_2) | instskip(NEXT) | instid1(VALU_DEP_2)
	v_add_f64_e32 v[2:3], v[2:3], v[32:33]
	v_add_f64_e32 v[50:51], v[34:35], v[50:51]
	ds_load_b128 v[32:35], v40 offset:2816
	s_wait_dscnt 0x0
	v_mul_f64_e32 v[52:53], v[26:27], v[34:35]
	s_delay_alu instid0(VALU_DEP_1) | instskip(SKIP_1) | instid1(VALU_DEP_2)
	v_fma_f64 v[52:53], v[24:25], v[32:33], -v[52:53]
	v_mul_f64_e32 v[24:25], v[24:25], v[34:35]
	v_add_f64_e32 v[44:45], v[44:45], v[52:53]
	s_delay_alu instid0(VALU_DEP_2) | instskip(NEXT) | instid1(VALU_DEP_1)
	v_fmac_f64_e32 v[24:25], v[26:27], v[32:33]
	v_add_f64_e32 v[42:43], v[24:25], v[42:43]
	ds_load_b128 v[24:27], v41 offset:2128
	s_wait_dscnt 0x0
	v_mul_f64_e32 v[52:53], v[26:27], v[30:31]
	v_mul_f64_e32 v[30:31], v[24:25], v[30:31]
	s_delay_alu instid0(VALU_DEP_2) | instskip(NEXT) | instid1(VALU_DEP_2)
	v_fma_f64 v[52:53], v[24:25], v[28:29], -v[52:53]
	v_fmac_f64_e32 v[30:31], v[26:27], v[28:29]
	v_mul_f64_e32 v[28:29], v[26:27], v[34:35]
	s_delay_alu instid0(VALU_DEP_3) | instskip(NEXT) | instid1(VALU_DEP_3)
	v_add_f64_e32 v[46:47], v[46:47], v[52:53]
	v_add_f64_e32 v[48:49], v[30:31], v[48:49]
	s_delay_alu instid0(VALU_DEP_3) | instskip(SKIP_1) | instid1(VALU_DEP_2)
	v_fma_f64 v[28:29], v[24:25], v[32:33], -v[28:29]
	v_mul_f64_e32 v[24:25], v[24:25], v[34:35]
	v_add_f64_e32 v[38:39], v[38:39], v[28:29]
	s_delay_alu instid0(VALU_DEP_2) | instskip(NEXT) | instid1(VALU_DEP_1)
	v_fmac_f64_e32 v[24:25], v[26:27], v[32:33]
	;; [unrolled: 39-line block ×3, first 2 shown]
	v_add_f64_e32 v[54:55], v[24:25], v[36:37]
	ds_load_b128 v[24:27], v41 offset:112
	ds_load_b128 v[28:31], v40 offset:3584
	;; [unrolled: 1-line block ×3, first 2 shown]
	s_wait_dscnt 0x1
	v_mul_f64_e32 v[32:33], v[26:27], v[30:31]
	v_mul_f64_e32 v[34:35], v[24:25], v[30:31]
	s_delay_alu instid0(VALU_DEP_2) | instskip(NEXT) | instid1(VALU_DEP_2)
	v_fma_f64 v[32:33], v[24:25], v[28:29], -v[32:33]
	v_fmac_f64_e32 v[34:35], v[26:27], v[28:29]
	s_delay_alu instid0(VALU_DEP_2) | instskip(NEXT) | instid1(VALU_DEP_2)
	v_add_f64_e32 v[32:33], v[2:3], v[32:33]
	v_add_f64_e32 v[34:35], v[34:35], v[50:51]
	s_wait_dscnt 0x0
	v_mul_f64_e32 v[2:3], v[26:27], v[38:39]
	v_mul_f64_e32 v[50:51], v[24:25], v[38:39]
	s_delay_alu instid0(VALU_DEP_2) | instskip(NEXT) | instid1(VALU_DEP_2)
	v_fma_f64 v[2:3], v[24:25], v[36:37], -v[2:3]
	v_fmac_f64_e32 v[50:51], v[26:27], v[36:37]
	s_delay_alu instid0(VALU_DEP_2) | instskip(NEXT) | instid1(VALU_DEP_2)
	v_add_f64_e32 v[24:25], v[44:45], v[2:3]
	v_add_f64_e32 v[26:27], v[50:51], v[42:43]
	ds_load_b128 v[42:45], v41 offset:2160
	s_wait_dscnt 0x0
	s_barrier_signal -1
	s_barrier_wait -1
	v_mul_f64_e32 v[2:3], v[44:45], v[30:31]
	v_mul_f64_e32 v[30:31], v[42:43], v[30:31]
	s_delay_alu instid0(VALU_DEP_2) | instskip(NEXT) | instid1(VALU_DEP_2)
	v_fma_f64 v[2:3], v[42:43], v[28:29], -v[2:3]
	v_fmac_f64_e32 v[30:31], v[44:45], v[28:29]
	s_delay_alu instid0(VALU_DEP_2) | instskip(SKIP_1) | instid1(VALU_DEP_3)
	v_add_f64_e32 v[28:29], v[46:47], v[2:3]
	v_mul_f64_e32 v[2:3], v[44:45], v[38:39]
	v_add_f64_e32 v[30:31], v[30:31], v[48:49]
	s_delay_alu instid0(VALU_DEP_2) | instskip(SKIP_1) | instid1(VALU_DEP_2)
	v_fma_f64 v[2:3], v[42:43], v[36:37], -v[2:3]
	v_mul_f64_e32 v[42:43], v[42:43], v[38:39]
	v_add_f64_e32 v[38:39], v[52:53], v[2:3]
	s_delay_alu instid0(VALU_DEP_2) | instskip(NEXT) | instid1(VALU_DEP_1)
	v_fmac_f64_e32 v[42:43], v[44:45], v[36:37]
	v_add_f64_e32 v[36:37], v[42:43], v[54:55]
	s_cbranch_scc0 .LBB118_18
.LBB118_10:                             ;   Parent Loop BB118_7 Depth=1
                                        ; =>  This Inner Loop Header: Depth=2
	v_add_nc_u32_e32 v1, s0, v8
	s_delay_alu instid0(VALU_DEP_1) | instskip(SKIP_1) | instid1(SALU_CYCLE_1)
	v_cmp_le_i32_e32 vcc_lo, s19, v1
	s_or_b32 s1, s21, vcc_lo
	s_and_saveexec_b32 s23, s1
	s_delay_alu instid0(SALU_CYCLE_1)
	s_xor_b32 s1, exec_lo, s23
; %bb.11:                               ;   in Loop: Header=BB118_10 Depth=2
	v_dual_mov_b32 v1, v0 :: v_dual_mov_b32 v2, v0
	v_mov_b32_e32 v3, v0
	ds_store_b128 v7, v[0:3]
; %bb.12:                               ;   in Loop: Header=BB118_10 Depth=2
	s_and_not1_saveexec_b32 s1, s1
	s_cbranch_execz .LBB118_14
; %bb.13:                               ;   in Loop: Header=BB118_10 Depth=2
	global_load_b128 v[42:45], v[4:5], off
	s_wait_loadcnt 0x0
	ds_store_2addr_b64 v7, v[42:43], v[44:45] offset1:1
.LBB118_14:                             ;   in Loop: Header=BB118_10 Depth=2
	s_wait_xcnt 0x0
	s_or_b32 exec_lo, exec_lo, s1
	v_add_nc_u32_e32 v1, s0, v6
	s_delay_alu instid0(VALU_DEP_1) | instskip(SKIP_1) | instid1(SALU_CYCLE_1)
	v_cmp_le_i32_e32 vcc_lo, s19, v1
	s_or_b32 s1, vcc_lo, s22
	s_and_saveexec_b32 s23, s1
	s_delay_alu instid0(SALU_CYCLE_1)
	s_xor_b32 s1, exec_lo, s23
; %bb.15:                               ;   in Loop: Header=BB118_10 Depth=2
	v_dual_mov_b32 v1, v0 :: v_dual_mov_b32 v2, v0
	v_mov_b32_e32 v3, v0
	ds_store_b128 v9, v[0:3]
; %bb.16:                               ;   in Loop: Header=BB118_10 Depth=2
	s_and_not1_saveexec_b32 s1, s1
	s_cbranch_execz .LBB118_9
; %bb.17:                               ;   in Loop: Header=BB118_10 Depth=2
	global_load_b128 v[42:45], v[22:23], off
	s_wait_loadcnt 0x0
	ds_store_2addr_b64 v9, v[42:43], v[44:45] offset1:1
	s_branch .LBB118_9
.LBB118_18:                             ;   in Loop: Header=BB118_7 Depth=1
	s_mul_u64 s[0:1], s[30:31], s[28:29]
	s_delay_alu instid0(SALU_CYCLE_1) | instskip(NEXT) | instid1(SALU_CYCLE_1)
	s_lshl_b64 s[0:1], s[0:1], 4
	s_add_nc_u64 s[0:1], s[24:25], s[0:1]
	s_delay_alu instid0(SALU_CYCLE_1)
	v_lshl_add_u64 v[22:23], v[12:13], 4, s[0:1]
	s_and_saveexec_b32 s23, s18
	s_cbranch_execz .LBB118_23
; %bb.19:                               ;   in Loop: Header=BB118_7 Depth=1
	v_mul_f64_e32 v[2:3], s[14:15], v[34:35]
	v_mul_f64_e32 v[4:5], s[12:13], v[34:35]
	s_and_b32 vcc_lo, exec_lo, s26
	s_mov_b32 s34, -1
	s_delay_alu instid0(VALU_DEP_2) | instskip(NEXT) | instid1(VALU_DEP_2)
	v_fma_f64 v[2:3], s[12:13], v[32:33], -v[2:3]
	v_fmac_f64_e32 v[4:5], s[14:15], v[32:33]
	v_lshl_add_u64 v[32:33], v[10:11], 4, v[22:23]
	s_cbranch_vccz .LBB118_21
; %bb.20:                               ;   in Loop: Header=BB118_7 Depth=1
	global_load_b128 v[42:45], v[32:33], off
	s_mov_b32 s34, 0
	s_wait_loadcnt 0x0
	v_mul_f64_e32 v[34:35], s[10:11], v[44:45]
	v_mul_f64_e32 v[44:45], s[8:9], v[44:45]
	s_delay_alu instid0(VALU_DEP_2) | instskip(NEXT) | instid1(VALU_DEP_2)
	v_fma_f64 v[34:35], s[8:9], v[42:43], -v[34:35]
	v_fmac_f64_e32 v[44:45], s[10:11], v[42:43]
	s_delay_alu instid0(VALU_DEP_2) | instskip(NEXT) | instid1(VALU_DEP_2)
	v_add_f64_e32 v[42:43], v[2:3], v[34:35]
	v_add_f64_e32 v[44:45], v[4:5], v[44:45]
	global_store_b128 v[32:33], v[42:45], off
.LBB118_21:                             ;   in Loop: Header=BB118_7 Depth=1
	s_and_not1_b32 vcc_lo, exec_lo, s34
	s_cbranch_vccnz .LBB118_23
; %bb.22:                               ;   in Loop: Header=BB118_7 Depth=1
	global_store_b128 v[32:33], v[2:5], off
.LBB118_23:                             ;   in Loop: Header=BB118_7 Depth=1
	s_wait_xcnt 0x0
	s_or_b32 exec_lo, exec_lo, s23
	s_and_saveexec_b32 s23, s33
	s_cbranch_execz .LBB118_28
; %bb.24:                               ;   in Loop: Header=BB118_7 Depth=1
	v_mul_f64_e32 v[2:3], s[14:15], v[26:27]
	v_mul_f64_e32 v[4:5], s[12:13], v[26:27]
	v_lshl_add_u64 v[22:23], v[16:17], 4, v[22:23]
	s_and_not1_b32 vcc_lo, exec_lo, s26
	s_mov_b32 s34, -1
	s_delay_alu instid0(VALU_DEP_3) | instskip(NEXT) | instid1(VALU_DEP_3)
	v_fma_f64 v[2:3], s[12:13], v[24:25], -v[2:3]
	v_fmac_f64_e32 v[4:5], s[14:15], v[24:25]
	s_cbranch_vccnz .LBB118_26
; %bb.25:                               ;   in Loop: Header=BB118_7 Depth=1
	global_load_b128 v[24:27], v[22:23], off
	s_mov_b32 s34, 0
	s_wait_loadcnt 0x0
	v_mul_f64_e32 v[32:33], s[10:11], v[26:27]
	v_mul_f64_e32 v[26:27], s[8:9], v[26:27]
	s_delay_alu instid0(VALU_DEP_2) | instskip(NEXT) | instid1(VALU_DEP_2)
	v_fma_f64 v[32:33], s[8:9], v[24:25], -v[32:33]
	v_fmac_f64_e32 v[26:27], s[10:11], v[24:25]
	s_delay_alu instid0(VALU_DEP_2) | instskip(NEXT) | instid1(VALU_DEP_2)
	v_add_f64_e32 v[24:25], v[2:3], v[32:33]
	v_add_f64_e32 v[26:27], v[4:5], v[26:27]
	global_store_b128 v[22:23], v[24:27], off
.LBB118_26:                             ;   in Loop: Header=BB118_7 Depth=1
	s_and_not1_b32 vcc_lo, exec_lo, s34
	s_cbranch_vccnz .LBB118_28
; %bb.27:                               ;   in Loop: Header=BB118_7 Depth=1
	global_store_b128 v[22:23], v[2:5], off
.LBB118_28:                             ;   in Loop: Header=BB118_7 Depth=1
	s_wait_xcnt 0x0
	s_or_b32 exec_lo, exec_lo, s23
	v_lshl_add_u64 v[22:23], v[14:15], 4, s[0:1]
	s_and_saveexec_b32 s0, s38
	s_cbranch_execz .LBB118_33
; %bb.29:                               ;   in Loop: Header=BB118_7 Depth=1
	v_mul_f64_e32 v[2:3], s[14:15], v[30:31]
	v_mul_f64_e32 v[4:5], s[12:13], v[30:31]
	v_lshl_add_u64 v[24:25], v[10:11], 4, v[22:23]
	s_and_not1_b32 vcc_lo, exec_lo, s26
	s_mov_b32 s1, -1
	s_delay_alu instid0(VALU_DEP_3) | instskip(NEXT) | instid1(VALU_DEP_3)
	v_fma_f64 v[2:3], s[12:13], v[28:29], -v[2:3]
	v_fmac_f64_e32 v[4:5], s[14:15], v[28:29]
	s_cbranch_vccnz .LBB118_31
; %bb.30:                               ;   in Loop: Header=BB118_7 Depth=1
	global_load_b128 v[26:29], v[24:25], off
	s_mov_b32 s1, 0
	s_wait_loadcnt 0x0
	v_mul_f64_e32 v[30:31], s[10:11], v[28:29]
	v_mul_f64_e32 v[28:29], s[8:9], v[28:29]
	s_delay_alu instid0(VALU_DEP_2) | instskip(NEXT) | instid1(VALU_DEP_2)
	v_fma_f64 v[30:31], s[8:9], v[26:27], -v[30:31]
	v_fmac_f64_e32 v[28:29], s[10:11], v[26:27]
	s_delay_alu instid0(VALU_DEP_2) | instskip(NEXT) | instid1(VALU_DEP_2)
	v_add_f64_e32 v[26:27], v[2:3], v[30:31]
	v_add_f64_e32 v[28:29], v[4:5], v[28:29]
	global_store_b128 v[24:25], v[26:29], off
.LBB118_31:                             ;   in Loop: Header=BB118_7 Depth=1
	s_and_not1_b32 vcc_lo, exec_lo, s1
	s_cbranch_vccnz .LBB118_33
; %bb.32:                               ;   in Loop: Header=BB118_7 Depth=1
	global_store_b128 v[24:25], v[2:5], off
.LBB118_33:                             ;   in Loop: Header=BB118_7 Depth=1
	s_wait_xcnt 0x0
	s_or_b32 exec_lo, exec_lo, s0
	s_and_saveexec_b32 s0, s39
	s_cbranch_execz .LBB118_6
; %bb.34:                               ;   in Loop: Header=BB118_7 Depth=1
	s_delay_alu instid0(VALU_DEP_3) | instskip(SKIP_4) | instid1(VALU_DEP_3)
	v_mul_f64_e32 v[2:3], s[14:15], v[36:37]
	v_mul_f64_e32 v[4:5], s[12:13], v[36:37]
	v_lshl_add_u64 v[22:23], v[16:17], 4, v[22:23]
	s_and_not1_b32 vcc_lo, exec_lo, s26
	s_mov_b32 s1, -1
	v_fma_f64 v[2:3], s[12:13], v[38:39], -v[2:3]
	s_delay_alu instid0(VALU_DEP_3)
	v_fmac_f64_e32 v[4:5], s[14:15], v[38:39]
	s_cbranch_vccnz .LBB118_36
; %bb.35:                               ;   in Loop: Header=BB118_7 Depth=1
	global_load_b128 v[24:27], v[22:23], off
	s_mov_b32 s1, 0
	s_wait_loadcnt 0x0
	v_mul_f64_e32 v[28:29], s[10:11], v[26:27]
	v_mul_f64_e32 v[26:27], s[8:9], v[26:27]
	s_delay_alu instid0(VALU_DEP_2) | instskip(NEXT) | instid1(VALU_DEP_2)
	v_fma_f64 v[28:29], s[8:9], v[24:25], -v[28:29]
	v_fmac_f64_e32 v[26:27], s[10:11], v[24:25]
	s_delay_alu instid0(VALU_DEP_2) | instskip(NEXT) | instid1(VALU_DEP_2)
	v_add_f64_e32 v[24:25], v[2:3], v[28:29]
	v_add_f64_e32 v[26:27], v[4:5], v[26:27]
	global_store_b128 v[22:23], v[24:27], off
.LBB118_36:                             ;   in Loop: Header=BB118_7 Depth=1
	s_and_not1_b32 vcc_lo, exec_lo, s1
	s_cbranch_vccnz .LBB118_6
; %bb.37:                               ;   in Loop: Header=BB118_7 Depth=1
	global_store_b128 v[22:23], v[2:5], off
	s_branch .LBB118_6
.LBB118_38:
.LBB118_39:
	s_sendmsg sendmsg(MSG_DEALLOC_VGPRS)
	s_endpgm
	.section	.rodata,"a",@progbits
	.p2align	6, 0x0
	.amdhsa_kernel _ZL29rocblas_internal_gemmt_kernelIiLi16ELi32ELi8ELc78ELc84ELc76ELb0ELb0E19rocblas_complex_numIdEPKS1_S3_PS1_EviT_T9_T10_S5_lS7_S5_lS6_T11_S5_li
		.amdhsa_group_segment_fixed_size 8192
		.amdhsa_private_segment_fixed_size 0
		.amdhsa_kernarg_size 100
		.amdhsa_user_sgpr_count 2
		.amdhsa_user_sgpr_dispatch_ptr 0
		.amdhsa_user_sgpr_queue_ptr 0
		.amdhsa_user_sgpr_kernarg_segment_ptr 1
		.amdhsa_user_sgpr_dispatch_id 0
		.amdhsa_user_sgpr_kernarg_preload_length 0
		.amdhsa_user_sgpr_kernarg_preload_offset 0
		.amdhsa_user_sgpr_private_segment_size 0
		.amdhsa_wavefront_size32 1
		.amdhsa_uses_dynamic_stack 0
		.amdhsa_enable_private_segment 0
		.amdhsa_system_sgpr_workgroup_id_x 1
		.amdhsa_system_sgpr_workgroup_id_y 1
		.amdhsa_system_sgpr_workgroup_id_z 1
		.amdhsa_system_sgpr_workgroup_info 0
		.amdhsa_system_vgpr_workitem_id 1
		.amdhsa_next_free_vgpr 66
		.amdhsa_next_free_sgpr 42
		.amdhsa_named_barrier_count 0
		.amdhsa_reserve_vcc 1
		.amdhsa_float_round_mode_32 0
		.amdhsa_float_round_mode_16_64 0
		.amdhsa_float_denorm_mode_32 3
		.amdhsa_float_denorm_mode_16_64 3
		.amdhsa_fp16_overflow 0
		.amdhsa_memory_ordered 1
		.amdhsa_forward_progress 1
		.amdhsa_inst_pref_size 26
		.amdhsa_round_robin_scheduling 0
		.amdhsa_exception_fp_ieee_invalid_op 0
		.amdhsa_exception_fp_denorm_src 0
		.amdhsa_exception_fp_ieee_div_zero 0
		.amdhsa_exception_fp_ieee_overflow 0
		.amdhsa_exception_fp_ieee_underflow 0
		.amdhsa_exception_fp_ieee_inexact 0
		.amdhsa_exception_int_div_zero 0
	.end_amdhsa_kernel
	.section	.text._ZL29rocblas_internal_gemmt_kernelIiLi16ELi32ELi8ELc78ELc84ELc76ELb0ELb0E19rocblas_complex_numIdEPKS1_S3_PS1_EviT_T9_T10_S5_lS7_S5_lS6_T11_S5_li,"axG",@progbits,_ZL29rocblas_internal_gemmt_kernelIiLi16ELi32ELi8ELc78ELc84ELc76ELb0ELb0E19rocblas_complex_numIdEPKS1_S3_PS1_EviT_T9_T10_S5_lS7_S5_lS6_T11_S5_li,comdat
.Lfunc_end118:
	.size	_ZL29rocblas_internal_gemmt_kernelIiLi16ELi32ELi8ELc78ELc84ELc76ELb0ELb0E19rocblas_complex_numIdEPKS1_S3_PS1_EviT_T9_T10_S5_lS7_S5_lS6_T11_S5_li, .Lfunc_end118-_ZL29rocblas_internal_gemmt_kernelIiLi16ELi32ELi8ELc78ELc84ELc76ELb0ELb0E19rocblas_complex_numIdEPKS1_S3_PS1_EviT_T9_T10_S5_lS7_S5_lS6_T11_S5_li
                                        ; -- End function
	.set _ZL29rocblas_internal_gemmt_kernelIiLi16ELi32ELi8ELc78ELc84ELc76ELb0ELb0E19rocblas_complex_numIdEPKS1_S3_PS1_EviT_T9_T10_S5_lS7_S5_lS6_T11_S5_li.num_vgpr, 66
	.set _ZL29rocblas_internal_gemmt_kernelIiLi16ELi32ELi8ELc78ELc84ELc76ELb0ELb0E19rocblas_complex_numIdEPKS1_S3_PS1_EviT_T9_T10_S5_lS7_S5_lS6_T11_S5_li.num_agpr, 0
	.set _ZL29rocblas_internal_gemmt_kernelIiLi16ELi32ELi8ELc78ELc84ELc76ELb0ELb0E19rocblas_complex_numIdEPKS1_S3_PS1_EviT_T9_T10_S5_lS7_S5_lS6_T11_S5_li.numbered_sgpr, 42
	.set _ZL29rocblas_internal_gemmt_kernelIiLi16ELi32ELi8ELc78ELc84ELc76ELb0ELb0E19rocblas_complex_numIdEPKS1_S3_PS1_EviT_T9_T10_S5_lS7_S5_lS6_T11_S5_li.num_named_barrier, 0
	.set _ZL29rocblas_internal_gemmt_kernelIiLi16ELi32ELi8ELc78ELc84ELc76ELb0ELb0E19rocblas_complex_numIdEPKS1_S3_PS1_EviT_T9_T10_S5_lS7_S5_lS6_T11_S5_li.private_seg_size, 0
	.set _ZL29rocblas_internal_gemmt_kernelIiLi16ELi32ELi8ELc78ELc84ELc76ELb0ELb0E19rocblas_complex_numIdEPKS1_S3_PS1_EviT_T9_T10_S5_lS7_S5_lS6_T11_S5_li.uses_vcc, 1
	.set _ZL29rocblas_internal_gemmt_kernelIiLi16ELi32ELi8ELc78ELc84ELc76ELb0ELb0E19rocblas_complex_numIdEPKS1_S3_PS1_EviT_T9_T10_S5_lS7_S5_lS6_T11_S5_li.uses_flat_scratch, 0
	.set _ZL29rocblas_internal_gemmt_kernelIiLi16ELi32ELi8ELc78ELc84ELc76ELb0ELb0E19rocblas_complex_numIdEPKS1_S3_PS1_EviT_T9_T10_S5_lS7_S5_lS6_T11_S5_li.has_dyn_sized_stack, 0
	.set _ZL29rocblas_internal_gemmt_kernelIiLi16ELi32ELi8ELc78ELc84ELc76ELb0ELb0E19rocblas_complex_numIdEPKS1_S3_PS1_EviT_T9_T10_S5_lS7_S5_lS6_T11_S5_li.has_recursion, 0
	.set _ZL29rocblas_internal_gemmt_kernelIiLi16ELi32ELi8ELc78ELc84ELc76ELb0ELb0E19rocblas_complex_numIdEPKS1_S3_PS1_EviT_T9_T10_S5_lS7_S5_lS6_T11_S5_li.has_indirect_call, 0
	.section	.AMDGPU.csdata,"",@progbits
; Kernel info:
; codeLenInByte = 3256
; TotalNumSgprs: 44
; NumVgprs: 66
; ScratchSize: 0
; MemoryBound: 0
; FloatMode: 240
; IeeeMode: 1
; LDSByteSize: 8192 bytes/workgroup (compile time only)
; SGPRBlocks: 0
; VGPRBlocks: 4
; NumSGPRsForWavesPerEU: 44
; NumVGPRsForWavesPerEU: 66
; NamedBarCnt: 0
; Occupancy: 12
; WaveLimiterHint : 0
; COMPUTE_PGM_RSRC2:SCRATCH_EN: 0
; COMPUTE_PGM_RSRC2:USER_SGPR: 2
; COMPUTE_PGM_RSRC2:TRAP_HANDLER: 0
; COMPUTE_PGM_RSRC2:TGID_X_EN: 1
; COMPUTE_PGM_RSRC2:TGID_Y_EN: 1
; COMPUTE_PGM_RSRC2:TGID_Z_EN: 1
; COMPUTE_PGM_RSRC2:TIDIG_COMP_CNT: 1
	.section	.text._ZL29rocblas_internal_gemmt_kernelIiLi16ELi32ELi8ELc78ELc67ELc76ELb0ELb1E19rocblas_complex_numIdEPKS1_S3_PS1_EviT_T9_T10_S5_lS7_S5_lS6_T11_S5_li,"axG",@progbits,_ZL29rocblas_internal_gemmt_kernelIiLi16ELi32ELi8ELc78ELc67ELc76ELb0ELb1E19rocblas_complex_numIdEPKS1_S3_PS1_EviT_T9_T10_S5_lS7_S5_lS6_T11_S5_li,comdat
	.globl	_ZL29rocblas_internal_gemmt_kernelIiLi16ELi32ELi8ELc78ELc67ELc76ELb0ELb1E19rocblas_complex_numIdEPKS1_S3_PS1_EviT_T9_T10_S5_lS7_S5_lS6_T11_S5_li ; -- Begin function _ZL29rocblas_internal_gemmt_kernelIiLi16ELi32ELi8ELc78ELc67ELc76ELb0ELb1E19rocblas_complex_numIdEPKS1_S3_PS1_EviT_T9_T10_S5_lS7_S5_lS6_T11_S5_li
	.p2align	8
	.type	_ZL29rocblas_internal_gemmt_kernelIiLi16ELi32ELi8ELc78ELc67ELc76ELb0ELb1E19rocblas_complex_numIdEPKS1_S3_PS1_EviT_T9_T10_S5_lS7_S5_lS6_T11_S5_li,@function
_ZL29rocblas_internal_gemmt_kernelIiLi16ELi32ELi8ELc78ELc67ELc76ELb0ELb1E19rocblas_complex_numIdEPKS1_S3_PS1_EviT_T9_T10_S5_lS7_S5_lS6_T11_S5_li: ; @_ZL29rocblas_internal_gemmt_kernelIiLi16ELi32ELi8ELc78ELc67ELc76ELb0ELb1E19rocblas_complex_numIdEPKS1_S3_PS1_EviT_T9_T10_S5_lS7_S5_lS6_T11_S5_li
; %bb.0:
	s_load_b128 s[16:19], s[0:1], 0x38
	s_wait_kmcnt 0x0
	s_load_b128 s[8:11], s[18:19], 0x0
	s_load_b128 s[4:7], s[0:1], 0x8
	s_wait_xcnt 0x0
	s_load_b64 s[18:19], s[0:1], 0x0
	s_wait_kmcnt 0x0
	v_cmp_eq_f64_e64 s3, s[8:9], 1.0
	v_cmp_eq_f64_e64 s2, s[10:11], 0
	s_load_b128 s[12:15], s[4:5], 0x0
	s_and_b32 s3, s3, s2
	s_delay_alu instid0(SALU_CYCLE_1)
	s_and_not1_b32 vcc_lo, exec_lo, s3
	s_mov_b32 s3, -1
	s_cbranch_vccnz .LBB119_3
; %bb.1:
	s_cmp_lg_u32 s19, 0
	s_cbranch_scc0 .LBB119_36
; %bb.2:
	s_wait_kmcnt 0x0
	v_cmp_neq_f64_e64 s3, s[12:13], 0
	v_cmp_neq_f64_e64 s4, s[14:15], 0
	s_or_b32 s3, s3, s4
.LBB119_3:
	s_delay_alu instid0(SALU_CYCLE_1)
	s_and_b32 vcc_lo, exec_lo, s3
	s_cbranch_vccz .LBB119_37
; %bb.4:
	s_load_b32 s27, s[0:1], 0x60
	s_bfe_u32 s3, ttmp6, 0x40014
	s_wait_xcnt 0x0
	s_lshr_b32 s4, ttmp7, 16
	s_add_co_i32 s3, s3, 1
	s_bfe_u32 s20, ttmp6, 0x40008
	s_mul_i32 s5, s4, s3
	s_getreg_b32 s3, hwreg(HW_REG_IB_STS2, 6, 4)
	s_add_co_i32 s20, s20, s5
	s_cmp_eq_u32 s3, 0
	s_mov_b32 s29, 0
	s_cselect_b32 s28, s4, s20
	s_wait_kmcnt 0x0
	s_cmp_ge_u32 s28, s27
	s_cbranch_scc1 .LBB119_37
; %bb.5:
	s_clause 0x3
	s_load_b32 s36, s[0:1], 0x18
	s_load_b32 s34, s[0:1], 0x30
	s_load_b96 s[24:26], s[0:1], 0x48
	s_load_b128 s[20:23], s[0:1], 0x20
	v_and_b32_e32 v1, 0x3ff, v0
	v_bfe_u32 v3, v0, 10, 10
	s_load_b64 s[30:31], s[0:1], 0x58
	s_wait_xcnt 0x0
	s_bfe_u32 s1, ttmp6, 0x4000c
	s_bfe_u32 s40, ttmp6, 0x40010
	s_and_b32 s39, ttmp7, 0xffff
	s_add_co_i32 s1, s1, 1
	s_add_co_i32 s40, s40, 1
	v_lshl_add_u32 v2, v3, 4, v1
	s_and_b32 s0, ttmp6, 15
	s_mul_i32 s1, ttmp9, s1
	v_and_b32_e32 v6, 7, v0
	s_add_co_i32 s0, s0, s1
	v_dual_mov_b32 v0, 0 :: v_dual_bitop2_b32 v5, 31, v2 bitop3:0x40
	v_lshrrev_b32_e32 v8, 5, v2
	s_wait_kmcnt 0x0
	s_ashr_i32 s37, s36, 31
	s_ashr_i32 s35, s34, 31
	;; [unrolled: 1-line block ×3, first 2 shown]
	s_mov_b32 s4, s26
	s_mul_i32 s26, s39, s40
	s_bfe_u32 s40, ttmp6, 0x40004
	v_cmp_neq_f64_e64 s33, s[12:13], 0
	s_add_co_i32 s40, s40, s26
	s_cmp_eq_u32 s3, 0
	v_cmp_neq_f64_e64 s38, s[14:15], 0
	s_cselect_b32 s0, ttmp9, s0
	s_cselect_b32 s1, s39, s40
	s_lshl_b32 s3, s0, 5
	s_delay_alu instid0(SALU_CYCLE_1) | instskip(SKIP_2) | instid1(VALU_DEP_2)
	v_dual_lshrrev_b32 v10, 3, v2 :: v_dual_bitop2_b32 v2, s3, v5 bitop3:0x54
	s_lshl_b32 s0, s1, 5
	v_dual_mov_b32 v7, v0 :: v_dual_mov_b32 v9, v0
	v_dual_add_nc_u32 v4, s0, v10 :: v_dual_lshlrev_b32 v5, 4, v5
	v_add_nc_u32_e32 v20, s0, v3
	s_delay_alu instid0(VALU_DEP_3)
	v_mul_u64_e32 v[18:19], s[34:35], v[6:7]
	v_cmp_neq_f64_e64 s26, s[8:9], 0
	v_lshlrev_b32_e32 v7, 4, v6
	v_mul_u64_e32 v[22:23], s[36:37], v[8:9]
	v_dual_add_nc_u32 v24, 16, v20 :: v_dual_ashrrev_i32 v21, 31, v20
	v_cmp_gt_i32_e64 s0, s18, v4
	s_delay_alu instid0(VALU_DEP_4) | instskip(NEXT) | instid1(VALU_DEP_3)
	v_lshl_or_b32 v9, v10, 7, v7
	v_dual_add_nc_u32 v10, s3, v1 :: v_dual_ashrrev_i32 v25, 31, v24
	s_delay_alu instid0(VALU_DEP_4) | instskip(SKIP_2) | instid1(VALU_DEP_4)
	v_mul_u64_e32 v[12:13], s[4:5], v[20:21]
	v_lshl_or_b32 v7, v8, 9, v5
	v_dual_ashrrev_i32 v5, 31, v4 :: v_dual_lshlrev_b32 v42, 4, v1
	v_mul_u64_e32 v[14:15], s[4:5], v[24:25]
	v_lshl_add_u32 v43, v3, 7, 0x1000
	v_dual_add_nc_u32 v16, 16, v10 :: v_dual_ashrrev_i32 v11, 31, v10
	s_delay_alu instid0(VALU_DEP_4) | instskip(SKIP_2) | instid1(VALU_DEP_4)
	v_lshlrev_b64_e32 v[4:5], 4, v[4:5]
	v_ashrrev_i32_e32 v3, 31, v2
	v_cmp_gt_i32_e32 vcc_lo, s18, v2
	v_ashrrev_i32_e32 v17, 31, v16
	s_or_b32 s38, s33, s38
	s_cmp_gt_i32 s19, 0
	v_lshlrev_b64_e32 v[2:3], 4, v[2:3]
	s_cselect_b32 s39, -1, 0
	s_xor_b32 s3, s2, -1
	v_cmp_le_i32_e64 s1, v20, v10
	v_cmp_gt_i32_e64 s2, s18, v10
	v_cmp_gt_i32_e64 s4, s18, v16
	v_add_nc_u32_e32 v9, 0x1000, v9
	v_lshl_add_u64 v[4:5], v[18:19], 4, v[4:5]
	s_or_b32 s26, s26, s3
	v_cmp_le_i32_e64 s3, v20, v16
	v_lshl_add_u64 v[2:3], v[22:23], 4, v[2:3]
	s_and_b32 s18, s1, s2
	v_add_nc_u64_e32 v[4:5], s[22:23], v[4:5]
	v_cmp_le_i32_e64 s1, v24, v10
	s_and_b32 s33, s3, s4
	v_cmp_le_i32_e64 s3, v24, v16
	v_add_nc_u64_e32 v[18:19], s[6:7], v[2:3]
	s_and_b32 s23, s38, s39
	s_and_b32 s1, s1, s2
	v_add_nc_u64_e32 v[20:21], 8, v[4:5]
	s_and_b32 s22, s3, s4
	s_lshl_b64 s[2:3], s[20:21], 4
	s_lshl_b64 s[4:5], s[36:37], 7
	;; [unrolled: 1-line block ×4, first 2 shown]
	s_xor_b32 s34, vcc_lo, -1
	s_branch .LBB119_7
.LBB119_6:                              ;   in Loop: Header=BB119_7 Depth=1
	s_wait_xcnt 0x0
	s_or_b32 exec_lo, exec_lo, s20
	s_add_co_i32 s28, s28, 0x10000
	s_delay_alu instid0(SALU_CYCLE_1)
	s_cmp_lt_u32 s28, s27
	s_cbranch_scc0 .LBB119_37
.LBB119_7:                              ; =>This Loop Header: Depth=1
                                        ;     Child Loop BB119_10 Depth 2
	v_mov_b64_e32 v[38:39], 0
	v_mov_b64_e32 v[40:41], 0
	;; [unrolled: 1-line block ×8, first 2 shown]
	s_and_not1_b32 vcc_lo, exec_lo, s23
	s_cbranch_vccnz .LBB119_16
; %bb.8:                                ;   in Loop: Header=BB119_7 Depth=1
	v_mad_nc_u64_u32 v[26:27], s2, s28, v[18:19]
	v_mad_nc_u64_u32 v[28:29], s6, s28, v[20:21]
	v_mov_b64_e32 v[22:23], 0
	v_mov_b64_e32 v[24:25], 0
	;; [unrolled: 1-line block ×8, first 2 shown]
	s_mov_b32 s20, 0
	v_mad_u32 v27, s3, s28, v27
	v_mad_u32 v29, s7, s28, v29
	s_branch .LBB119_10
.LBB119_9:                              ;   in Loop: Header=BB119_10 Depth=2
	s_wait_xcnt 0x0
	s_or_b32 exec_lo, exec_lo, s21
	ds_store_b128 v9, v[2:5]
	s_wait_dscnt 0x0
	s_barrier_signal -1
	s_barrier_wait -1
	ds_load_b128 v[2:5], v43
	ds_load_b128 v[44:47], v42
	ds_load_b128 v[48:51], v42 offset:256
	ds_load_b128 v[52:55], v43 offset:2048
	;; [unrolled: 1-line block ×10, first 2 shown]
	v_add_nc_u64_e32 v[26:27], s[4:5], v[26:27]
	v_add_nc_u64_e32 v[28:29], s[16:17], v[28:29]
	s_add_co_i32 s20, s20, 8
	s_delay_alu instid0(SALU_CYCLE_1)
	s_cmp_lt_i32 s20, s19
	s_wait_dscnt 0xa
	v_mul_f64_e32 v[88:89], v[4:5], v[46:47]
	v_mul_f64_e32 v[90:91], v[2:3], v[46:47]
	s_wait_dscnt 0x9
	v_mul_f64_e32 v[92:93], v[4:5], v[50:51]
	v_mul_f64_e32 v[94:95], v[2:3], v[50:51]
	s_wait_dscnt 0x8
	v_mul_f64_e32 v[96:97], v[54:55], v[46:47]
	v_mul_f64_e32 v[98:99], v[52:53], v[46:47]
	v_mul_f64_e32 v[46:47], v[54:55], v[50:51]
	v_mul_f64_e32 v[100:101], v[52:53], v[50:51]
	s_wait_dscnt 0x6
	v_mul_f64_e32 v[102:103], v[58:59], v[62:63]
	v_mul_f64_e32 v[104:105], v[56:57], v[62:63]
	s_wait_dscnt 0x5
	v_mul_f64_e32 v[106:107], v[58:59], v[66:67]
	v_mul_f64_e32 v[108:109], v[56:57], v[66:67]
	s_wait_dscnt 0x4
	v_mul_f64_e32 v[110:111], v[70:71], v[62:63]
	v_mul_f64_e32 v[62:63], v[68:69], v[62:63]
	v_mul_f64_e32 v[112:113], v[70:71], v[66:67]
	v_mul_f64_e32 v[66:67], v[68:69], v[66:67]
	;; [unrolled: 11-line block ×3, first 2 shown]
	v_fma_f64 v[88:89], v[2:3], v[44:45], -v[88:89]
	v_fmac_f64_e32 v[90:91], v[4:5], v[44:45]
	v_fma_f64 v[92:93], v[2:3], v[48:49], -v[92:93]
	v_fmac_f64_e32 v[94:95], v[4:5], v[48:49]
	;; [unrolled: 2-line block ×8, first 2 shown]
	ds_load_b128 v[2:5], v43 offset:48
	ds_load_b128 v[44:47], v43 offset:2096
	;; [unrolled: 1-line block ×4, first 2 shown]
	v_fma_f64 v[116:117], v[72:73], v[76:77], -v[116:117]
	v_fmac_f64_e32 v[118:119], v[74:75], v[76:77]
	v_fma_f64 v[72:73], v[72:73], v[80:81], -v[120:121]
	v_fmac_f64_e32 v[122:123], v[74:75], v[80:81]
	;; [unrolled: 2-line block ×4, first 2 shown]
	v_add_f64_e32 v[64:65], v[38:39], v[88:89]
	v_add_f64_e32 v[68:69], v[90:91], v[40:41]
	;; [unrolled: 1-line block ×8, first 2 shown]
	s_wait_dscnt 0x1
	v_mul_f64_e32 v[98:99], v[4:5], v[50:51]
	v_mul_f64_e32 v[100:101], v[2:3], v[50:51]
	s_wait_dscnt 0x0
	v_mul_f64_e32 v[106:107], v[4:5], v[54:55]
	v_mul_f64_e32 v[110:111], v[2:3], v[54:55]
	;; [unrolled: 1-line block ×6, first 2 shown]
	ds_load_b128 v[22:25], v43 offset:64
	ds_load_b128 v[30:33], v42 offset:2048
	;; [unrolled: 1-line block ×4, first 2 shown]
	v_add_f64_e32 v[80:81], v[64:65], v[102:103]
	v_add_f64_e32 v[84:85], v[104:105], v[68:69]
	;; [unrolled: 1-line block ×8, first 2 shown]
	s_wait_dscnt 0x2
	v_mul_f64_e32 v[96:97], v[24:25], v[32:33]
	v_mul_f64_e32 v[102:103], v[22:23], v[32:33]
	s_wait_dscnt 0x1
	v_mul_f64_e32 v[104:105], v[24:25], v[36:37]
	v_mul_f64_e32 v[108:109], v[22:23], v[36:37]
	;; [unrolled: 3-line block ×3, first 2 shown]
	v_mul_f64_e32 v[32:33], v[40:41], v[36:37]
	v_mul_f64_e32 v[126:127], v[38:39], v[36:37]
	v_fma_f64 v[36:37], v[2:3], v[48:49], -v[98:99]
	v_fmac_f64_e32 v[100:101], v[4:5], v[48:49]
	v_fma_f64 v[98:99], v[2:3], v[52:53], -v[106:107]
	v_fmac_f64_e32 v[110:111], v[4:5], v[52:53]
	;; [unrolled: 2-line block ×4, first 2 shown]
	ds_load_b128 v[54:57], v43 offset:80
	ds_load_b128 v[58:61], v43 offset:2128
	;; [unrolled: 1-line block ×4, first 2 shown]
	v_add_f64_e32 v[52:53], v[80:81], v[116:117]
	v_add_f64_e32 v[80:81], v[118:119], v[84:85]
	;; [unrolled: 1-line block ×8, first 2 shown]
	v_fma_f64 v[96:97], v[22:23], v[30:31], -v[96:97]
	v_fmac_f64_e32 v[102:103], v[24:25], v[30:31]
	v_fma_f64 v[104:105], v[22:23], v[34:35], -v[104:105]
	s_wait_dscnt 0x1
	v_mul_f64_e32 v[88:89], v[56:57], v[64:65]
	v_mul_f64_e32 v[90:91], v[54:55], v[64:65]
	s_wait_dscnt 0x0
	v_mul_f64_e32 v[92:93], v[56:57], v[68:69]
	v_mul_f64_e32 v[94:95], v[54:55], v[68:69]
	;; [unrolled: 1-line block ×6, first 2 shown]
	v_fmac_f64_e32 v[108:109], v[24:25], v[34:35]
	v_fma_f64 v[120:121], v[38:39], v[30:31], -v[120:121]
	v_fmac_f64_e32 v[124:125], v[40:41], v[30:31]
	v_fma_f64 v[122:123], v[38:39], v[34:35], -v[32:33]
	v_fmac_f64_e32 v[126:127], v[40:41], v[34:35]
	ds_load_b128 v[2:5], v43 offset:96
	ds_load_b128 v[44:47], v42 offset:3072
	;; [unrolled: 1-line block ×4, first 2 shown]
	v_add_f64_e32 v[52:53], v[52:53], v[36:37]
	v_add_f64_e32 v[80:81], v[100:101], v[80:81]
	;; [unrolled: 1-line block ×8, first 2 shown]
	ds_load_b128 v[22:25], v43 offset:112
	ds_load_b128 v[30:33], v43 offset:2160
	;; [unrolled: 1-line block ×4, first 2 shown]
	s_wait_dscnt 0x0
	v_mul_f64_e32 v[98:99], v[4:5], v[46:47]
	v_mul_f64_e32 v[100:101], v[2:3], v[46:47]
	;; [unrolled: 1-line block ×8, first 2 shown]
	v_fma_f64 v[88:89], v[54:55], v[62:63], -v[88:89]
	v_fmac_f64_e32 v[90:91], v[56:57], v[62:63]
	v_fma_f64 v[54:55], v[54:55], v[66:67], -v[92:93]
	v_fmac_f64_e32 v[94:95], v[56:57], v[66:67]
	;; [unrolled: 2-line block ×4, first 2 shown]
	s_barrier_signal -1
	s_barrier_wait -1
	v_mul_f64_e32 v[92:93], v[22:23], v[40:41]
	v_add_f64_e32 v[52:53], v[52:53], v[96:97]
	v_add_f64_e32 v[60:61], v[102:103], v[80:81]
	;; [unrolled: 1-line block ×8, first 2 shown]
	v_mul_f64_e32 v[82:83], v[24:25], v[36:37]
	v_mul_f64_e32 v[84:85], v[22:23], v[36:37]
	;; [unrolled: 1-line block ×7, first 2 shown]
	v_fma_f64 v[40:41], v[2:3], v[44:45], -v[98:99]
	v_fmac_f64_e32 v[100:101], v[4:5], v[44:45]
	v_fma_f64 v[2:3], v[2:3], v[48:49], -v[106:107]
	v_fmac_f64_e32 v[110:111], v[4:5], v[48:49]
	;; [unrolled: 2-line block ×4, first 2 shown]
	v_fmac_f64_e32 v[92:93], v[24:25], v[38:39]
	v_add_f64_e32 v[48:49], v[52:53], v[88:89]
	v_add_f64_e32 v[52:53], v[90:91], v[60:61]
	;; [unrolled: 1-line block ×8, first 2 shown]
	v_fma_f64 v[66:67], v[22:23], v[34:35], -v[82:83]
	v_fmac_f64_e32 v[84:85], v[24:25], v[34:35]
	v_fma_f64 v[22:23], v[22:23], v[38:39], -v[86:87]
	v_fma_f64 v[24:25], v[30:31], v[34:35], -v[96:97]
	v_fmac_f64_e32 v[102:103], v[32:33], v[34:35]
	v_fma_f64 v[68:69], v[30:31], v[38:39], -v[36:37]
	v_fmac_f64_e32 v[104:105], v[32:33], v[38:39]
	v_add_f64_e32 v[30:31], v[48:49], v[40:41]
	v_add_f64_e32 v[32:33], v[100:101], v[52:53]
	;; [unrolled: 1-line block ×16, first 2 shown]
	s_cbranch_scc0 .LBB119_16
.LBB119_10:                             ;   Parent Loop BB119_7 Depth=1
                                        ; =>  This Inner Loop Header: Depth=2
	v_add_nc_u32_e32 v1, s20, v8
	s_delay_alu instid0(VALU_DEP_1) | instskip(SKIP_1) | instid1(SALU_CYCLE_1)
	v_cmp_le_i32_e32 vcc_lo, s19, v1
	s_or_b32 s21, s34, vcc_lo
	s_and_saveexec_b32 s35, s21
	s_delay_alu instid0(SALU_CYCLE_1)
	s_xor_b32 s21, exec_lo, s35
; %bb.11:                               ;   in Loop: Header=BB119_10 Depth=2
	v_dual_mov_b32 v1, v0 :: v_dual_mov_b32 v2, v0
	v_mov_b32_e32 v3, v0
	ds_store_b128 v7, v[0:3]
; %bb.12:                               ;   in Loop: Header=BB119_10 Depth=2
	s_and_not1_saveexec_b32 s21, s21
	s_cbranch_execz .LBB119_14
; %bb.13:                               ;   in Loop: Header=BB119_10 Depth=2
	global_load_b128 v[2:5], v[26:27], off
	s_wait_loadcnt 0x0
	ds_store_2addr_b64 v7, v[2:3], v[4:5] offset1:1
.LBB119_14:                             ;   in Loop: Header=BB119_10 Depth=2
	s_wait_xcnt 0x0
	s_or_b32 exec_lo, exec_lo, s21
	v_add_nc_u32_e32 v1, s20, v6
	v_mov_b64_e32 v[2:3], 0
	v_mov_b64_e32 v[4:5], 0
	s_delay_alu instid0(VALU_DEP_3) | instskip(SKIP_1) | instid1(SALU_CYCLE_1)
	v_cmp_gt_i32_e32 vcc_lo, s19, v1
	s_and_b32 s35, vcc_lo, s0
	s_and_saveexec_b32 s21, s35
	s_cbranch_execz .LBB119_9
; %bb.15:                               ;   in Loop: Header=BB119_10 Depth=2
	global_load_b128 v[2:5], v[28:29], off offset:-8
	s_wait_loadcnt 0x0
	v_xor_b32_e32 v5, 0x80000000, v5
	s_branch .LBB119_9
.LBB119_16:                             ;   in Loop: Header=BB119_7 Depth=1
	s_mul_u64 s[20:21], s[30:31], s[28:29]
	s_delay_alu instid0(SALU_CYCLE_1) | instskip(NEXT) | instid1(SALU_CYCLE_1)
	s_lshl_b64 s[20:21], s[20:21], 4
	s_add_nc_u64 s[20:21], s[24:25], s[20:21]
	s_delay_alu instid0(SALU_CYCLE_1)
	v_lshl_add_u64 v[26:27], v[12:13], 4, s[20:21]
	s_and_saveexec_b32 s35, s18
	s_cbranch_execz .LBB119_21
; %bb.17:                               ;   in Loop: Header=BB119_7 Depth=1
	v_mul_f64_e32 v[2:3], s[14:15], v[40:41]
	v_mul_f64_e32 v[4:5], s[12:13], v[40:41]
	v_lshl_add_u64 v[28:29], v[10:11], 4, v[26:27]
	s_and_b32 vcc_lo, exec_lo, s26
	s_mov_b32 s36, -1
	s_delay_alu instid0(VALU_DEP_3) | instskip(NEXT) | instid1(VALU_DEP_3)
	v_fma_f64 v[2:3], s[12:13], v[38:39], -v[2:3]
	v_fmac_f64_e32 v[4:5], s[14:15], v[38:39]
	s_cbranch_vccz .LBB119_19
; %bb.18:                               ;   in Loop: Header=BB119_7 Depth=1
	global_load_b128 v[38:41], v[28:29], off
	s_mov_b32 s36, 0
	s_wait_loadcnt 0x0
	v_mul_f64_e32 v[44:45], s[10:11], v[40:41]
	v_mul_f64_e32 v[40:41], s[8:9], v[40:41]
	s_delay_alu instid0(VALU_DEP_2) | instskip(NEXT) | instid1(VALU_DEP_2)
	v_fma_f64 v[44:45], s[8:9], v[38:39], -v[44:45]
	v_fmac_f64_e32 v[40:41], s[10:11], v[38:39]
	s_delay_alu instid0(VALU_DEP_2) | instskip(NEXT) | instid1(VALU_DEP_2)
	v_add_f64_e32 v[38:39], v[2:3], v[44:45]
	v_add_f64_e32 v[40:41], v[4:5], v[40:41]
	global_store_b128 v[28:29], v[38:41], off
.LBB119_19:                             ;   in Loop: Header=BB119_7 Depth=1
	s_and_not1_b32 vcc_lo, exec_lo, s36
	s_cbranch_vccnz .LBB119_21
; %bb.20:                               ;   in Loop: Header=BB119_7 Depth=1
	global_store_b128 v[28:29], v[2:5], off
.LBB119_21:                             ;   in Loop: Header=BB119_7 Depth=1
	s_wait_xcnt 0x0
	s_or_b32 exec_lo, exec_lo, s35
	s_and_saveexec_b32 s35, s33
	s_cbranch_execz .LBB119_26
; %bb.22:                               ;   in Loop: Header=BB119_7 Depth=1
	v_mul_f64_e32 v[2:3], s[14:15], v[36:37]
	v_mul_f64_e32 v[4:5], s[12:13], v[36:37]
	v_lshl_add_u64 v[26:27], v[16:17], 4, v[26:27]
	s_and_not1_b32 vcc_lo, exec_lo, s26
	s_mov_b32 s36, -1
	s_delay_alu instid0(VALU_DEP_3) | instskip(NEXT) | instid1(VALU_DEP_3)
	v_fma_f64 v[2:3], s[12:13], v[34:35], -v[2:3]
	v_fmac_f64_e32 v[4:5], s[14:15], v[34:35]
	s_cbranch_vccnz .LBB119_24
; %bb.23:                               ;   in Loop: Header=BB119_7 Depth=1
	global_load_b128 v[34:37], v[26:27], off
	s_mov_b32 s36, 0
	s_wait_loadcnt 0x0
	v_mul_f64_e32 v[28:29], s[10:11], v[36:37]
	v_mul_f64_e32 v[36:37], s[8:9], v[36:37]
	s_delay_alu instid0(VALU_DEP_2) | instskip(NEXT) | instid1(VALU_DEP_2)
	v_fma_f64 v[28:29], s[8:9], v[34:35], -v[28:29]
	v_fmac_f64_e32 v[36:37], s[10:11], v[34:35]
	s_delay_alu instid0(VALU_DEP_2) | instskip(NEXT) | instid1(VALU_DEP_2)
	v_add_f64_e32 v[34:35], v[2:3], v[28:29]
	v_add_f64_e32 v[36:37], v[4:5], v[36:37]
	global_store_b128 v[26:27], v[34:37], off
.LBB119_24:                             ;   in Loop: Header=BB119_7 Depth=1
	s_and_not1_b32 vcc_lo, exec_lo, s36
	s_cbranch_vccnz .LBB119_26
; %bb.25:                               ;   in Loop: Header=BB119_7 Depth=1
	global_store_b128 v[26:27], v[2:5], off
.LBB119_26:                             ;   in Loop: Header=BB119_7 Depth=1
	s_wait_xcnt 0x0
	s_or_b32 exec_lo, exec_lo, s35
	v_lshl_add_u64 v[26:27], v[14:15], 4, s[20:21]
	s_and_saveexec_b32 s20, s1
	s_cbranch_execz .LBB119_31
; %bb.27:                               ;   in Loop: Header=BB119_7 Depth=1
	v_mul_f64_e32 v[2:3], s[14:15], v[32:33]
	v_mul_f64_e32 v[4:5], s[12:13], v[32:33]
	v_lshl_add_u64 v[28:29], v[10:11], 4, v[26:27]
	s_and_not1_b32 vcc_lo, exec_lo, s26
	s_mov_b32 s21, -1
	s_delay_alu instid0(VALU_DEP_3) | instskip(NEXT) | instid1(VALU_DEP_3)
	v_fma_f64 v[2:3], s[12:13], v[30:31], -v[2:3]
	v_fmac_f64_e32 v[4:5], s[14:15], v[30:31]
	s_cbranch_vccnz .LBB119_29
; %bb.28:                               ;   in Loop: Header=BB119_7 Depth=1
	global_load_b128 v[30:33], v[28:29], off
	s_mov_b32 s21, 0
	s_wait_loadcnt 0x0
	v_mul_f64_e32 v[34:35], s[10:11], v[32:33]
	v_mul_f64_e32 v[32:33], s[8:9], v[32:33]
	s_delay_alu instid0(VALU_DEP_2) | instskip(NEXT) | instid1(VALU_DEP_2)
	v_fma_f64 v[34:35], s[8:9], v[30:31], -v[34:35]
	v_fmac_f64_e32 v[32:33], s[10:11], v[30:31]
	s_delay_alu instid0(VALU_DEP_2) | instskip(NEXT) | instid1(VALU_DEP_2)
	v_add_f64_e32 v[30:31], v[2:3], v[34:35]
	v_add_f64_e32 v[32:33], v[4:5], v[32:33]
	global_store_b128 v[28:29], v[30:33], off
.LBB119_29:                             ;   in Loop: Header=BB119_7 Depth=1
	s_and_not1_b32 vcc_lo, exec_lo, s21
	s_cbranch_vccnz .LBB119_31
; %bb.30:                               ;   in Loop: Header=BB119_7 Depth=1
	global_store_b128 v[28:29], v[2:5], off
.LBB119_31:                             ;   in Loop: Header=BB119_7 Depth=1
	s_wait_xcnt 0x0
	s_or_b32 exec_lo, exec_lo, s20
	s_and_saveexec_b32 s20, s22
	s_cbranch_execz .LBB119_6
; %bb.32:                               ;   in Loop: Header=BB119_7 Depth=1
	s_delay_alu instid0(VALU_DEP_3) | instskip(SKIP_4) | instid1(VALU_DEP_3)
	v_mul_f64_e32 v[2:3], s[14:15], v[22:23]
	v_mul_f64_e32 v[4:5], s[12:13], v[22:23]
	v_lshl_add_u64 v[22:23], v[16:17], 4, v[26:27]
	s_and_not1_b32 vcc_lo, exec_lo, s26
	s_mov_b32 s21, -1
	v_fma_f64 v[2:3], s[12:13], v[24:25], -v[2:3]
	s_delay_alu instid0(VALU_DEP_3)
	v_fmac_f64_e32 v[4:5], s[14:15], v[24:25]
	s_cbranch_vccnz .LBB119_34
; %bb.33:                               ;   in Loop: Header=BB119_7 Depth=1
	global_load_b128 v[24:27], v[22:23], off
	s_mov_b32 s21, 0
	s_wait_loadcnt 0x0
	v_mul_f64_e32 v[28:29], s[10:11], v[26:27]
	v_mul_f64_e32 v[26:27], s[8:9], v[26:27]
	s_delay_alu instid0(VALU_DEP_2) | instskip(NEXT) | instid1(VALU_DEP_2)
	v_fma_f64 v[28:29], s[8:9], v[24:25], -v[28:29]
	v_fmac_f64_e32 v[26:27], s[10:11], v[24:25]
	s_delay_alu instid0(VALU_DEP_2) | instskip(NEXT) | instid1(VALU_DEP_2)
	v_add_f64_e32 v[24:25], v[2:3], v[28:29]
	v_add_f64_e32 v[26:27], v[4:5], v[26:27]
	global_store_b128 v[22:23], v[24:27], off
.LBB119_34:                             ;   in Loop: Header=BB119_7 Depth=1
	s_and_not1_b32 vcc_lo, exec_lo, s21
	s_cbranch_vccnz .LBB119_6
; %bb.35:                               ;   in Loop: Header=BB119_7 Depth=1
	global_store_b128 v[22:23], v[2:5], off
	s_branch .LBB119_6
.LBB119_36:
.LBB119_37:
	s_sendmsg sendmsg(MSG_DEALLOC_VGPRS)
	s_endpgm
	.section	.rodata,"a",@progbits
	.p2align	6, 0x0
	.amdhsa_kernel _ZL29rocblas_internal_gemmt_kernelIiLi16ELi32ELi8ELc78ELc67ELc76ELb0ELb1E19rocblas_complex_numIdEPKS1_S3_PS1_EviT_T9_T10_S5_lS7_S5_lS6_T11_S5_li
		.amdhsa_group_segment_fixed_size 8192
		.amdhsa_private_segment_fixed_size 0
		.amdhsa_kernarg_size 100
		.amdhsa_user_sgpr_count 2
		.amdhsa_user_sgpr_dispatch_ptr 0
		.amdhsa_user_sgpr_queue_ptr 0
		.amdhsa_user_sgpr_kernarg_segment_ptr 1
		.amdhsa_user_sgpr_dispatch_id 0
		.amdhsa_user_sgpr_kernarg_preload_length 0
		.amdhsa_user_sgpr_kernarg_preload_offset 0
		.amdhsa_user_sgpr_private_segment_size 0
		.amdhsa_wavefront_size32 1
		.amdhsa_uses_dynamic_stack 0
		.amdhsa_enable_private_segment 0
		.amdhsa_system_sgpr_workgroup_id_x 1
		.amdhsa_system_sgpr_workgroup_id_y 1
		.amdhsa_system_sgpr_workgroup_id_z 1
		.amdhsa_system_sgpr_workgroup_info 0
		.amdhsa_system_vgpr_workitem_id 1
		.amdhsa_next_free_vgpr 130
		.amdhsa_next_free_sgpr 41
		.amdhsa_named_barrier_count 0
		.amdhsa_reserve_vcc 1
		.amdhsa_float_round_mode_32 0
		.amdhsa_float_round_mode_16_64 0
		.amdhsa_float_denorm_mode_32 3
		.amdhsa_float_denorm_mode_16_64 3
		.amdhsa_fp16_overflow 0
		.amdhsa_memory_ordered 1
		.amdhsa_forward_progress 1
		.amdhsa_inst_pref_size 24
		.amdhsa_round_robin_scheduling 0
		.amdhsa_exception_fp_ieee_invalid_op 0
		.amdhsa_exception_fp_denorm_src 0
		.amdhsa_exception_fp_ieee_div_zero 0
		.amdhsa_exception_fp_ieee_overflow 0
		.amdhsa_exception_fp_ieee_underflow 0
		.amdhsa_exception_fp_ieee_inexact 0
		.amdhsa_exception_int_div_zero 0
	.end_amdhsa_kernel
	.section	.text._ZL29rocblas_internal_gemmt_kernelIiLi16ELi32ELi8ELc78ELc67ELc76ELb0ELb1E19rocblas_complex_numIdEPKS1_S3_PS1_EviT_T9_T10_S5_lS7_S5_lS6_T11_S5_li,"axG",@progbits,_ZL29rocblas_internal_gemmt_kernelIiLi16ELi32ELi8ELc78ELc67ELc76ELb0ELb1E19rocblas_complex_numIdEPKS1_S3_PS1_EviT_T9_T10_S5_lS7_S5_lS6_T11_S5_li,comdat
.Lfunc_end119:
	.size	_ZL29rocblas_internal_gemmt_kernelIiLi16ELi32ELi8ELc78ELc67ELc76ELb0ELb1E19rocblas_complex_numIdEPKS1_S3_PS1_EviT_T9_T10_S5_lS7_S5_lS6_T11_S5_li, .Lfunc_end119-_ZL29rocblas_internal_gemmt_kernelIiLi16ELi32ELi8ELc78ELc67ELc76ELb0ELb1E19rocblas_complex_numIdEPKS1_S3_PS1_EviT_T9_T10_S5_lS7_S5_lS6_T11_S5_li
                                        ; -- End function
	.set _ZL29rocblas_internal_gemmt_kernelIiLi16ELi32ELi8ELc78ELc67ELc76ELb0ELb1E19rocblas_complex_numIdEPKS1_S3_PS1_EviT_T9_T10_S5_lS7_S5_lS6_T11_S5_li.num_vgpr, 130
	.set _ZL29rocblas_internal_gemmt_kernelIiLi16ELi32ELi8ELc78ELc67ELc76ELb0ELb1E19rocblas_complex_numIdEPKS1_S3_PS1_EviT_T9_T10_S5_lS7_S5_lS6_T11_S5_li.num_agpr, 0
	.set _ZL29rocblas_internal_gemmt_kernelIiLi16ELi32ELi8ELc78ELc67ELc76ELb0ELb1E19rocblas_complex_numIdEPKS1_S3_PS1_EviT_T9_T10_S5_lS7_S5_lS6_T11_S5_li.numbered_sgpr, 41
	.set _ZL29rocblas_internal_gemmt_kernelIiLi16ELi32ELi8ELc78ELc67ELc76ELb0ELb1E19rocblas_complex_numIdEPKS1_S3_PS1_EviT_T9_T10_S5_lS7_S5_lS6_T11_S5_li.num_named_barrier, 0
	.set _ZL29rocblas_internal_gemmt_kernelIiLi16ELi32ELi8ELc78ELc67ELc76ELb0ELb1E19rocblas_complex_numIdEPKS1_S3_PS1_EviT_T9_T10_S5_lS7_S5_lS6_T11_S5_li.private_seg_size, 0
	.set _ZL29rocblas_internal_gemmt_kernelIiLi16ELi32ELi8ELc78ELc67ELc76ELb0ELb1E19rocblas_complex_numIdEPKS1_S3_PS1_EviT_T9_T10_S5_lS7_S5_lS6_T11_S5_li.uses_vcc, 1
	.set _ZL29rocblas_internal_gemmt_kernelIiLi16ELi32ELi8ELc78ELc67ELc76ELb0ELb1E19rocblas_complex_numIdEPKS1_S3_PS1_EviT_T9_T10_S5_lS7_S5_lS6_T11_S5_li.uses_flat_scratch, 0
	.set _ZL29rocblas_internal_gemmt_kernelIiLi16ELi32ELi8ELc78ELc67ELc76ELb0ELb1E19rocblas_complex_numIdEPKS1_S3_PS1_EviT_T9_T10_S5_lS7_S5_lS6_T11_S5_li.has_dyn_sized_stack, 0
	.set _ZL29rocblas_internal_gemmt_kernelIiLi16ELi32ELi8ELc78ELc67ELc76ELb0ELb1E19rocblas_complex_numIdEPKS1_S3_PS1_EviT_T9_T10_S5_lS7_S5_lS6_T11_S5_li.has_recursion, 0
	.set _ZL29rocblas_internal_gemmt_kernelIiLi16ELi32ELi8ELc78ELc67ELc76ELb0ELb1E19rocblas_complex_numIdEPKS1_S3_PS1_EviT_T9_T10_S5_lS7_S5_lS6_T11_S5_li.has_indirect_call, 0
	.section	.AMDGPU.csdata,"",@progbits
; Kernel info:
; codeLenInByte = 2956
; TotalNumSgprs: 43
; NumVgprs: 130
; ScratchSize: 0
; MemoryBound: 1
; FloatMode: 240
; IeeeMode: 1
; LDSByteSize: 8192 bytes/workgroup (compile time only)
; SGPRBlocks: 0
; VGPRBlocks: 8
; NumSGPRsForWavesPerEU: 43
; NumVGPRsForWavesPerEU: 130
; NamedBarCnt: 0
; Occupancy: 7
; WaveLimiterHint : 0
; COMPUTE_PGM_RSRC2:SCRATCH_EN: 0
; COMPUTE_PGM_RSRC2:USER_SGPR: 2
; COMPUTE_PGM_RSRC2:TRAP_HANDLER: 0
; COMPUTE_PGM_RSRC2:TGID_X_EN: 1
; COMPUTE_PGM_RSRC2:TGID_Y_EN: 1
; COMPUTE_PGM_RSRC2:TGID_Z_EN: 1
; COMPUTE_PGM_RSRC2:TIDIG_COMP_CNT: 1
	.section	.text._ZL29rocblas_internal_gemmt_kernelIiLi16ELi32ELi8ELc84ELc78ELc76ELb0ELb0E19rocblas_complex_numIdEPKS1_S3_PS1_EviT_T9_T10_S5_lS7_S5_lS6_T11_S5_li,"axG",@progbits,_ZL29rocblas_internal_gemmt_kernelIiLi16ELi32ELi8ELc84ELc78ELc76ELb0ELb0E19rocblas_complex_numIdEPKS1_S3_PS1_EviT_T9_T10_S5_lS7_S5_lS6_T11_S5_li,comdat
	.globl	_ZL29rocblas_internal_gemmt_kernelIiLi16ELi32ELi8ELc84ELc78ELc76ELb0ELb0E19rocblas_complex_numIdEPKS1_S3_PS1_EviT_T9_T10_S5_lS7_S5_lS6_T11_S5_li ; -- Begin function _ZL29rocblas_internal_gemmt_kernelIiLi16ELi32ELi8ELc84ELc78ELc76ELb0ELb0E19rocblas_complex_numIdEPKS1_S3_PS1_EviT_T9_T10_S5_lS7_S5_lS6_T11_S5_li
	.p2align	8
	.type	_ZL29rocblas_internal_gemmt_kernelIiLi16ELi32ELi8ELc84ELc78ELc76ELb0ELb0E19rocblas_complex_numIdEPKS1_S3_PS1_EviT_T9_T10_S5_lS7_S5_lS6_T11_S5_li,@function
_ZL29rocblas_internal_gemmt_kernelIiLi16ELi32ELi8ELc84ELc78ELc76ELb0ELb0E19rocblas_complex_numIdEPKS1_S3_PS1_EviT_T9_T10_S5_lS7_S5_lS6_T11_S5_li: ; @_ZL29rocblas_internal_gemmt_kernelIiLi16ELi32ELi8ELc84ELc78ELc76ELb0ELb0E19rocblas_complex_numIdEPKS1_S3_PS1_EviT_T9_T10_S5_lS7_S5_lS6_T11_S5_li
; %bb.0:
	s_load_b128 s[16:19], s[0:1], 0x38
	s_wait_kmcnt 0x0
	s_load_b128 s[8:11], s[18:19], 0x0
	s_load_b128 s[4:7], s[0:1], 0x8
	s_wait_xcnt 0x0
	s_load_b64 s[18:19], s[0:1], 0x0
	s_wait_kmcnt 0x0
	v_cmp_eq_f64_e64 s2, s[8:9], 1.0
	v_cmp_eq_f64_e64 s33, s[10:11], 0
	s_load_b128 s[12:15], s[4:5], 0x0
	s_and_b32 s2, s2, s33
	s_delay_alu instid0(SALU_CYCLE_1)
	s_and_not1_b32 vcc_lo, exec_lo, s2
	s_mov_b32 s2, -1
	s_cbranch_vccnz .LBB120_3
; %bb.1:
	s_cmp_lg_u32 s19, 0
	s_cbranch_scc0 .LBB120_38
; %bb.2:
	s_wait_kmcnt 0x0
	v_cmp_neq_f64_e64 s2, s[12:13], 0
	v_cmp_neq_f64_e64 s3, s[14:15], 0
	s_or_b32 s2, s2, s3
.LBB120_3:
	s_delay_alu instid0(SALU_CYCLE_1)
	s_and_b32 vcc_lo, exec_lo, s2
	s_cbranch_vccz .LBB120_39
; %bb.4:
	s_load_b32 s27, s[0:1], 0x60
	s_bfe_u32 s2, ttmp6, 0x40014
	s_lshr_b32 s3, ttmp7, 16
	s_add_co_i32 s2, s2, 1
	s_wait_xcnt 0x0
	s_bfe_u32 s4, ttmp6, 0x40008
	s_mul_i32 s2, s3, s2
	s_getreg_b32 s34, hwreg(HW_REG_IB_STS2, 6, 4)
	s_add_co_i32 s4, s4, s2
	s_cmp_eq_u32 s34, 0
	s_mov_b32 s29, 0
	s_cselect_b32 s28, s3, s4
	s_wait_kmcnt 0x0
	s_cmp_ge_u32 s28, s27
	s_cbranch_scc1 .LBB120_39
; %bb.5:
	s_clause 0x2
	s_load_b32 s4, s[0:1], 0x18
	s_load_b32 s2, s[0:1], 0x30
	s_load_b96 s[24:26], s[0:1], 0x48
	v_and_b32_e32 v5, 0x3ff, v0
	v_bfe_u32 v7, v0, 10, 10
	s_clause 0x1
	s_load_b128 s[20:23], s[0:1], 0x20
	s_load_b64 s[30:31], s[0:1], 0x58
	s_wait_xcnt 0x0
	s_bfe_u32 s1, ttmp6, 0x4000c
	s_bfe_u32 s39, ttmp6, 0x40010
	s_and_b32 s38, ttmp7, 0xffff
	s_add_co_i32 s1, s1, 1
	s_add_co_i32 s39, s39, 1
	v_and_b32_e32 v36, 7, v0
	v_lshl_add_u32 v0, v7, 4, v5
	s_and_b32 s0, ttmp6, 15
	s_mul_i32 s1, ttmp9, s1
	s_mul_i32 s39, s38, s39
	s_bfe_u32 s40, ttmp6, 0x40004
	s_add_co_i32 s0, s0, s1
	s_add_co_i32 s40, s40, s39
	s_wait_kmcnt 0x0
	s_ashr_i32 s5, s4, 31
	s_ashr_i32 s3, s2, 31
	;; [unrolled: 1-line block ×3, first 2 shown]
	s_cmp_eq_u32 s34, 0
	v_dual_lshrrev_b32 v6, 3, v0 :: v_dual_bitop2_b32 v8, 31, v0 bitop3:0x40
	s_cselect_b32 s0, ttmp9, s0
	s_cselect_b32 s1, s38, s40
	s_lshl_b32 s38, s0, 5
	s_lshl_b32 s0, s1, 5
	v_lshrrev_b32_e32 v37, 5, v0
	v_dual_add_nc_u32 v2, s0, v6 :: v_dual_bitop2_b32 v0, s38, v8 bitop3:0x54
	v_cmp_neq_f64_e64 s36, s[12:13], 0
	v_cmp_neq_f64_e64 s37, s[14:15], 0
	v_dual_lshlrev_b32 v4, 4, v36 :: v_dual_add_nc_u32 v14, s0, v7
	s_delay_alu instid0(VALU_DEP_4)
	v_dual_ashrrev_i32 v1, 31, v0 :: v_dual_ashrrev_i32 v3, 31, v2
	v_cmp_neq_f64_e64 s39, s[8:9], 0
	s_mov_b32 s34, s26
	v_add_nc_u32_e32 v20, 16, v14
	v_mul_u64_e32 v[16:17], s[4:5], v[0:1]
	v_mul_u64_e32 v[18:19], s[2:3], v[2:3]
	v_dual_lshlrev_b32 v1, 4, v8 :: v_dual_ashrrev_i32 v15, 31, v14
	s_delay_alu instid0(VALU_DEP_4)
	v_ashrrev_i32_e32 v21, 31, v20
	v_cmp_gt_i32_e32 vcc_lo, s18, v0
	v_lshl_or_b32 v0, v6, 7, v4
	v_dual_add_nc_u32 v6, s38, v5 :: v_dual_lshlrev_b32 v40, 4, v5
	v_mul_u64_e32 v[8:9], s[34:35], v[14:15]
	v_mul_u64_e32 v[10:11], s[34:35], v[20:21]
	s_delay_alu instid0(VALU_DEP_4) | instskip(SKIP_3) | instid1(VALU_DEP_4)
	v_dual_mov_b32 v0, 0 :: v_dual_add_nc_u32 v39, 0x1000, v0
	v_cmp_gt_i32_e64 s0, s18, v2
	v_lshl_add_u32 v41, v7, 7, 0x1000
	v_dual_add_nc_u32 v12, 16, v6 :: v_dual_ashrrev_i32 v7, 31, v6
	v_dual_mov_b32 v3, v0 :: v_dual_lshlrev_b32 v2, 4, v37
	s_delay_alu instid0(VALU_DEP_2)
	v_dual_mov_b32 v5, v0 :: v_dual_ashrrev_i32 v13, 31, v12
	v_cmp_le_i32_e64 s1, v14, v6
	v_cmp_gt_i32_e64 s2, s18, v6
	v_cmp_gt_i32_e64 s4, s18, v12
	s_or_b32 s36, s36, s37
	s_cmp_gt_i32 s19, 0
	v_lshl_or_b32 v38, v37, 9, v1
	s_cselect_b32 s37, -1, 0
	s_xor_b32 s3, s33, -1
	s_and_b32 s18, s1, s2
	s_or_b32 s26, s39, s3
	v_cmp_le_i32_e64 s3, v14, v12
	v_lshl_add_u64 v[2:3], v[16:17], 4, v[2:3]
	v_lshl_add_u64 v[4:5], v[18:19], 4, v[4:5]
	v_cmp_le_i32_e64 s1, v20, v6
	s_and_b32 s33, s3, s4
	v_cmp_le_i32_e64 s3, v20, v12
	v_add_nc_u64_e32 v[14:15], s[6:7], v[2:3]
	v_add_nc_u64_e32 v[16:17], s[22:23], v[4:5]
	s_and_b32 s34, s1, s2
	s_and_b32 s6, s36, s37
	;; [unrolled: 1-line block ×3, first 2 shown]
	s_lshl_b64 s[2:3], s[20:21], 4
	s_lshl_b64 s[4:5], s[16:17], 4
	s_xor_b32 s7, vcc_lo, -1
	s_xor_b32 s16, s0, -1
	s_branch .LBB120_7
.LBB120_6:                              ;   in Loop: Header=BB120_7 Depth=1
	s_wait_xcnt 0x0
	s_or_b32 exec_lo, exec_lo, s0
	s_add_co_i32 s28, s28, 0x10000
	s_delay_alu instid0(SALU_CYCLE_1)
	s_cmp_lt_u32 s28, s27
	s_cbranch_scc0 .LBB120_39
.LBB120_7:                              ; =>This Loop Header: Depth=1
                                        ;     Child Loop BB120_10 Depth 2
	v_mov_b64_e32 v[28:29], 0
	v_mov_b64_e32 v[30:31], 0
	;; [unrolled: 1-line block ×8, first 2 shown]
	s_and_not1_b32 vcc_lo, exec_lo, s6
	s_cbranch_vccnz .LBB120_18
; %bb.8:                                ;   in Loop: Header=BB120_7 Depth=1
	v_mad_nc_u64_u32 v[4:5], s2, s28, v[14:15]
	v_mad_nc_u64_u32 v[18:19], s4, s28, v[16:17]
	v_mov_b64_e32 v[32:33], 0
	v_mov_b64_e32 v[34:35], 0
	v_mov_b64_e32 v[26:27], 0
	v_mov_b64_e32 v[24:25], 0
	v_mov_b64_e32 v[22:23], 0
	v_mov_b64_e32 v[20:21], 0
	v_mov_b64_e32 v[30:31], 0
	v_mov_b64_e32 v[28:29], 0
	s_mov_b32 s0, 0
	v_mad_u32 v5, s3, s28, v5
	v_mad_u32 v19, s5, s28, v19
	s_branch .LBB120_10
.LBB120_9:                              ;   in Loop: Header=BB120_10 Depth=2
	s_wait_xcnt 0x0
	s_or_b32 exec_lo, exec_lo, s1
	s_wait_dscnt 0x0
	s_barrier_signal -1
	s_barrier_wait -1
	ds_load_b128 v[42:45], v41
	ds_load_b128 v[46:49], v41 offset:16
	ds_load_b128 v[50:53], v41 offset:32
	;; [unrolled: 1-line block ×3, first 2 shown]
	ds_load_b128 v[58:61], v40
	v_add_nc_u64_e32 v[4:5], 0x80, v[4:5]
	v_add_nc_u64_e32 v[18:19], 0x80, v[18:19]
	s_add_co_i32 s0, s0, 8
	s_delay_alu instid0(SALU_CYCLE_1) | instskip(SKIP_3) | instid1(VALU_DEP_2)
	s_cmp_lt_i32 s0, s19
	s_wait_dscnt 0x0
	v_mul_f64_e32 v[2:3], v[44:45], v[60:61]
	v_mul_f64_e32 v[62:63], v[42:43], v[60:61]
	v_fma_f64 v[2:3], v[42:43], v[58:59], -v[2:3]
	s_delay_alu instid0(VALU_DEP_2) | instskip(NEXT) | instid1(VALU_DEP_2)
	v_fmac_f64_e32 v[62:63], v[44:45], v[58:59]
	v_add_f64_e32 v[2:3], v[28:29], v[2:3]
	s_delay_alu instid0(VALU_DEP_2) | instskip(SKIP_3) | instid1(VALU_DEP_1)
	v_add_f64_e32 v[62:63], v[62:63], v[30:31]
	ds_load_b128 v[28:31], v40 offset:256
	s_wait_dscnt 0x0
	v_mul_f64_e32 v[64:65], v[44:45], v[30:31]
	v_fma_f64 v[64:65], v[42:43], v[28:29], -v[64:65]
	v_mul_f64_e32 v[42:43], v[42:43], v[30:31]
	s_delay_alu instid0(VALU_DEP_1) | instskip(NEXT) | instid1(VALU_DEP_3)
	v_fmac_f64_e32 v[42:43], v[44:45], v[28:29]
	v_add_f64_e32 v[44:45], v[20:21], v[64:65]
	s_delay_alu instid0(VALU_DEP_2) | instskip(SKIP_4) | instid1(VALU_DEP_2)
	v_add_f64_e32 v[42:43], v[42:43], v[22:23]
	ds_load_b128 v[20:23], v41 offset:2048
	s_wait_dscnt 0x0
	v_mul_f64_e32 v[64:65], v[22:23], v[60:61]
	v_mul_f64_e32 v[60:61], v[20:21], v[60:61]
	v_fma_f64 v[64:65], v[20:21], v[58:59], -v[64:65]
	s_delay_alu instid0(VALU_DEP_2) | instskip(NEXT) | instid1(VALU_DEP_2)
	v_fmac_f64_e32 v[60:61], v[22:23], v[58:59]
	v_add_f64_e32 v[58:59], v[24:25], v[64:65]
	v_mul_f64_e32 v[24:25], v[22:23], v[30:31]
	s_delay_alu instid0(VALU_DEP_3) | instskip(NEXT) | instid1(VALU_DEP_2)
	v_add_f64_e32 v[60:61], v[60:61], v[26:27]
	v_fma_f64 v[24:25], v[20:21], v[28:29], -v[24:25]
	v_mul_f64_e32 v[20:21], v[20:21], v[30:31]
	s_delay_alu instid0(VALU_DEP_2) | instskip(NEXT) | instid1(VALU_DEP_2)
	v_add_f64_e32 v[34:35], v[34:35], v[24:25]
	v_fmac_f64_e32 v[20:21], v[22:23], v[28:29]
	s_delay_alu instid0(VALU_DEP_1) | instskip(SKIP_4) | instid1(VALU_DEP_2)
	v_add_f64_e32 v[32:33], v[20:21], v[32:33]
	ds_load_b128 v[20:23], v40 offset:512
	s_wait_dscnt 0x0
	v_mul_f64_e32 v[24:25], v[48:49], v[22:23]
	v_mul_f64_e32 v[26:27], v[46:47], v[22:23]
	v_fma_f64 v[24:25], v[46:47], v[20:21], -v[24:25]
	s_delay_alu instid0(VALU_DEP_2) | instskip(NEXT) | instid1(VALU_DEP_2)
	v_fmac_f64_e32 v[26:27], v[48:49], v[20:21]
	v_add_f64_e32 v[2:3], v[2:3], v[24:25]
	s_delay_alu instid0(VALU_DEP_2) | instskip(SKIP_4) | instid1(VALU_DEP_2)
	v_add_f64_e32 v[62:63], v[26:27], v[62:63]
	ds_load_b128 v[24:27], v40 offset:768
	s_wait_dscnt 0x0
	v_mul_f64_e32 v[28:29], v[48:49], v[26:27]
	v_mul_f64_e32 v[30:31], v[46:47], v[26:27]
	v_fma_f64 v[28:29], v[46:47], v[24:25], -v[28:29]
	s_delay_alu instid0(VALU_DEP_2) | instskip(NEXT) | instid1(VALU_DEP_2)
	v_fmac_f64_e32 v[30:31], v[48:49], v[24:25]
	v_add_f64_e32 v[44:45], v[44:45], v[28:29]
	s_delay_alu instid0(VALU_DEP_2) | instskip(SKIP_4) | instid1(VALU_DEP_2)
	v_add_f64_e32 v[42:43], v[30:31], v[42:43]
	ds_load_b128 v[28:31], v41 offset:2064
	s_wait_dscnt 0x0
	v_mul_f64_e32 v[46:47], v[30:31], v[22:23]
	v_mul_f64_e32 v[22:23], v[28:29], v[22:23]
	v_fma_f64 v[46:47], v[28:29], v[20:21], -v[46:47]
	s_delay_alu instid0(VALU_DEP_2) | instskip(SKIP_1) | instid1(VALU_DEP_3)
	v_fmac_f64_e32 v[22:23], v[30:31], v[20:21]
	v_mul_f64_e32 v[20:21], v[30:31], v[26:27]
	v_add_f64_e32 v[46:47], v[58:59], v[46:47]
	s_delay_alu instid0(VALU_DEP_3) | instskip(SKIP_1) | instid1(VALU_DEP_4)
	v_add_f64_e32 v[48:49], v[22:23], v[60:61]
	v_mul_f64_e32 v[22:23], v[28:29], v[26:27]
	v_fma_f64 v[20:21], v[28:29], v[24:25], -v[20:21]
	s_delay_alu instid0(VALU_DEP_2) | instskip(NEXT) | instid1(VALU_DEP_2)
	v_fmac_f64_e32 v[22:23], v[30:31], v[24:25]
	v_add_f64_e32 v[34:35], v[34:35], v[20:21]
	s_delay_alu instid0(VALU_DEP_2) | instskip(SKIP_4) | instid1(VALU_DEP_2)
	v_add_f64_e32 v[32:33], v[22:23], v[32:33]
	ds_load_b128 v[20:23], v40 offset:1024
	s_wait_dscnt 0x0
	v_mul_f64_e32 v[24:25], v[52:53], v[22:23]
	v_mul_f64_e32 v[26:27], v[50:51], v[22:23]
	v_fma_f64 v[24:25], v[50:51], v[20:21], -v[24:25]
	s_delay_alu instid0(VALU_DEP_2) | instskip(NEXT) | instid1(VALU_DEP_2)
	v_fmac_f64_e32 v[26:27], v[52:53], v[20:21]
	v_add_f64_e32 v[2:3], v[2:3], v[24:25]
	s_delay_alu instid0(VALU_DEP_2) | instskip(SKIP_4) | instid1(VALU_DEP_2)
	v_add_f64_e32 v[58:59], v[26:27], v[62:63]
	ds_load_b128 v[24:27], v40 offset:1280
	s_wait_dscnt 0x0
	v_mul_f64_e32 v[28:29], v[52:53], v[26:27]
	;; [unrolled: 10-line block ×3, first 2 shown]
	v_mul_f64_e32 v[22:23], v[28:29], v[22:23]
	v_fma_f64 v[50:51], v[28:29], v[20:21], -v[50:51]
	s_delay_alu instid0(VALU_DEP_2) | instskip(SKIP_1) | instid1(VALU_DEP_3)
	v_fmac_f64_e32 v[22:23], v[30:31], v[20:21]
	v_mul_f64_e32 v[20:21], v[30:31], v[26:27]
	v_add_f64_e32 v[46:47], v[46:47], v[50:51]
	s_delay_alu instid0(VALU_DEP_3) | instskip(SKIP_1) | instid1(VALU_DEP_4)
	v_add_f64_e32 v[48:49], v[22:23], v[48:49]
	v_mul_f64_e32 v[22:23], v[28:29], v[26:27]
	v_fma_f64 v[20:21], v[28:29], v[24:25], -v[20:21]
	s_delay_alu instid0(VALU_DEP_2) | instskip(NEXT) | instid1(VALU_DEP_2)
	v_fmac_f64_e32 v[22:23], v[30:31], v[24:25]
	v_add_f64_e32 v[34:35], v[34:35], v[20:21]
	s_delay_alu instid0(VALU_DEP_2) | instskip(SKIP_4) | instid1(VALU_DEP_2)
	v_add_f64_e32 v[32:33], v[22:23], v[32:33]
	ds_load_b128 v[20:23], v40 offset:1536
	s_wait_dscnt 0x0
	v_mul_f64_e32 v[24:25], v[56:57], v[22:23]
	v_mul_f64_e32 v[26:27], v[54:55], v[22:23]
	v_fma_f64 v[24:25], v[54:55], v[20:21], -v[24:25]
	s_delay_alu instid0(VALU_DEP_2) | instskip(NEXT) | instid1(VALU_DEP_2)
	v_fmac_f64_e32 v[26:27], v[56:57], v[20:21]
	v_add_f64_e32 v[2:3], v[2:3], v[24:25]
	s_delay_alu instid0(VALU_DEP_2) | instskip(SKIP_4) | instid1(VALU_DEP_2)
	v_add_f64_e32 v[50:51], v[26:27], v[58:59]
	ds_load_b128 v[24:27], v40 offset:1792
	s_wait_dscnt 0x0
	v_mul_f64_e32 v[28:29], v[56:57], v[26:27]
	;; [unrolled: 10-line block ×3, first 2 shown]
	v_mul_f64_e32 v[22:23], v[28:29], v[22:23]
	v_fma_f64 v[52:53], v[28:29], v[20:21], -v[52:53]
	s_delay_alu instid0(VALU_DEP_2) | instskip(SKIP_1) | instid1(VALU_DEP_3)
	v_fmac_f64_e32 v[22:23], v[30:31], v[20:21]
	v_mul_f64_e32 v[20:21], v[30:31], v[26:27]
	v_add_f64_e32 v[46:47], v[46:47], v[52:53]
	s_delay_alu instid0(VALU_DEP_3) | instskip(SKIP_1) | instid1(VALU_DEP_4)
	v_add_f64_e32 v[48:49], v[22:23], v[48:49]
	v_mul_f64_e32 v[22:23], v[28:29], v[26:27]
	v_fma_f64 v[20:21], v[28:29], v[24:25], -v[20:21]
	s_delay_alu instid0(VALU_DEP_2) | instskip(NEXT) | instid1(VALU_DEP_2)
	v_fmac_f64_e32 v[22:23], v[30:31], v[24:25]
	v_add_f64_e32 v[34:35], v[34:35], v[20:21]
	s_delay_alu instid0(VALU_DEP_2)
	v_add_f64_e32 v[32:33], v[22:23], v[32:33]
	ds_load_b128 v[20:23], v41 offset:64
	ds_load_b128 v[24:27], v40 offset:2048
	s_wait_dscnt 0x0
	v_mul_f64_e32 v[28:29], v[22:23], v[26:27]
	v_mul_f64_e32 v[30:31], v[20:21], v[26:27]
	s_delay_alu instid0(VALU_DEP_2) | instskip(NEXT) | instid1(VALU_DEP_2)
	v_fma_f64 v[28:29], v[20:21], v[24:25], -v[28:29]
	v_fmac_f64_e32 v[30:31], v[22:23], v[24:25]
	s_delay_alu instid0(VALU_DEP_2) | instskip(NEXT) | instid1(VALU_DEP_2)
	v_add_f64_e32 v[2:3], v[2:3], v[28:29]
	v_add_f64_e32 v[50:51], v[30:31], v[50:51]
	ds_load_b128 v[28:31], v40 offset:2304
	s_wait_dscnt 0x0
	v_mul_f64_e32 v[52:53], v[22:23], v[30:31]
	s_delay_alu instid0(VALU_DEP_1) | instskip(SKIP_1) | instid1(VALU_DEP_2)
	v_fma_f64 v[52:53], v[20:21], v[28:29], -v[52:53]
	v_mul_f64_e32 v[20:21], v[20:21], v[30:31]
	v_add_f64_e32 v[44:45], v[44:45], v[52:53]
	s_delay_alu instid0(VALU_DEP_2) | instskip(NEXT) | instid1(VALU_DEP_1)
	v_fmac_f64_e32 v[20:21], v[22:23], v[28:29]
	v_add_f64_e32 v[42:43], v[20:21], v[42:43]
	ds_load_b128 v[20:23], v41 offset:2112
	s_wait_dscnt 0x0
	v_mul_f64_e32 v[52:53], v[22:23], v[26:27]
	v_mul_f64_e32 v[26:27], v[20:21], v[26:27]
	s_delay_alu instid0(VALU_DEP_2) | instskip(NEXT) | instid1(VALU_DEP_2)
	v_fma_f64 v[52:53], v[20:21], v[24:25], -v[52:53]
	v_fmac_f64_e32 v[26:27], v[22:23], v[24:25]
	v_mul_f64_e32 v[24:25], v[22:23], v[30:31]
	s_delay_alu instid0(VALU_DEP_3) | instskip(NEXT) | instid1(VALU_DEP_3)
	v_add_f64_e32 v[46:47], v[46:47], v[52:53]
	v_add_f64_e32 v[48:49], v[26:27], v[48:49]
	s_delay_alu instid0(VALU_DEP_3) | instskip(SKIP_1) | instid1(VALU_DEP_2)
	v_fma_f64 v[24:25], v[20:21], v[28:29], -v[24:25]
	v_mul_f64_e32 v[20:21], v[20:21], v[30:31]
	v_add_f64_e32 v[34:35], v[34:35], v[24:25]
	s_delay_alu instid0(VALU_DEP_2) | instskip(NEXT) | instid1(VALU_DEP_1)
	v_fmac_f64_e32 v[20:21], v[22:23], v[28:29]
	v_add_f64_e32 v[32:33], v[20:21], v[32:33]
	ds_load_b128 v[20:23], v41 offset:80
	ds_load_b128 v[24:27], v40 offset:2560
	s_wait_dscnt 0x0
	v_mul_f64_e32 v[28:29], v[22:23], v[26:27]
	v_mul_f64_e32 v[30:31], v[20:21], v[26:27]
	s_delay_alu instid0(VALU_DEP_2) | instskip(NEXT) | instid1(VALU_DEP_2)
	v_fma_f64 v[28:29], v[20:21], v[24:25], -v[28:29]
	v_fmac_f64_e32 v[30:31], v[22:23], v[24:25]
	s_delay_alu instid0(VALU_DEP_2) | instskip(NEXT) | instid1(VALU_DEP_2)
	v_add_f64_e32 v[2:3], v[2:3], v[28:29]
	v_add_f64_e32 v[50:51], v[30:31], v[50:51]
	ds_load_b128 v[28:31], v40 offset:2816
	s_wait_dscnt 0x0
	v_mul_f64_e32 v[52:53], v[22:23], v[30:31]
	s_delay_alu instid0(VALU_DEP_1) | instskip(SKIP_1) | instid1(VALU_DEP_2)
	v_fma_f64 v[52:53], v[20:21], v[28:29], -v[52:53]
	v_mul_f64_e32 v[20:21], v[20:21], v[30:31]
	v_add_f64_e32 v[44:45], v[44:45], v[52:53]
	s_delay_alu instid0(VALU_DEP_2) | instskip(NEXT) | instid1(VALU_DEP_1)
	v_fmac_f64_e32 v[20:21], v[22:23], v[28:29]
	v_add_f64_e32 v[42:43], v[20:21], v[42:43]
	ds_load_b128 v[20:23], v41 offset:2128
	s_wait_dscnt 0x0
	v_mul_f64_e32 v[52:53], v[22:23], v[26:27]
	v_mul_f64_e32 v[26:27], v[20:21], v[26:27]
	s_delay_alu instid0(VALU_DEP_2) | instskip(NEXT) | instid1(VALU_DEP_2)
	v_fma_f64 v[52:53], v[20:21], v[24:25], -v[52:53]
	v_fmac_f64_e32 v[26:27], v[22:23], v[24:25]
	v_mul_f64_e32 v[24:25], v[22:23], v[30:31]
	s_delay_alu instid0(VALU_DEP_3) | instskip(NEXT) | instid1(VALU_DEP_3)
	v_add_f64_e32 v[46:47], v[46:47], v[52:53]
	v_add_f64_e32 v[48:49], v[26:27], v[48:49]
	s_delay_alu instid0(VALU_DEP_3) | instskip(SKIP_1) | instid1(VALU_DEP_2)
	v_fma_f64 v[24:25], v[20:21], v[28:29], -v[24:25]
	v_mul_f64_e32 v[20:21], v[20:21], v[30:31]
	v_add_f64_e32 v[34:35], v[34:35], v[24:25]
	s_delay_alu instid0(VALU_DEP_2) | instskip(NEXT) | instid1(VALU_DEP_1)
	v_fmac_f64_e32 v[20:21], v[22:23], v[28:29]
	;; [unrolled: 39-line block ×3, first 2 shown]
	v_add_f64_e32 v[54:55], v[20:21], v[32:33]
	ds_load_b128 v[20:23], v41 offset:112
	ds_load_b128 v[24:27], v40 offset:3584
	;; [unrolled: 1-line block ×3, first 2 shown]
	s_wait_dscnt 0x1
	v_mul_f64_e32 v[28:29], v[22:23], v[26:27]
	v_mul_f64_e32 v[30:31], v[20:21], v[26:27]
	s_delay_alu instid0(VALU_DEP_2) | instskip(NEXT) | instid1(VALU_DEP_2)
	v_fma_f64 v[28:29], v[20:21], v[24:25], -v[28:29]
	v_fmac_f64_e32 v[30:31], v[22:23], v[24:25]
	s_delay_alu instid0(VALU_DEP_2) | instskip(NEXT) | instid1(VALU_DEP_2)
	v_add_f64_e32 v[28:29], v[2:3], v[28:29]
	v_add_f64_e32 v[30:31], v[30:31], v[50:51]
	s_wait_dscnt 0x0
	v_mul_f64_e32 v[2:3], v[22:23], v[34:35]
	v_mul_f64_e32 v[50:51], v[20:21], v[34:35]
	s_delay_alu instid0(VALU_DEP_2) | instskip(NEXT) | instid1(VALU_DEP_2)
	v_fma_f64 v[2:3], v[20:21], v[32:33], -v[2:3]
	v_fmac_f64_e32 v[50:51], v[22:23], v[32:33]
	s_delay_alu instid0(VALU_DEP_2) | instskip(NEXT) | instid1(VALU_DEP_2)
	v_add_f64_e32 v[20:21], v[44:45], v[2:3]
	v_add_f64_e32 v[22:23], v[50:51], v[42:43]
	ds_load_b128 v[42:45], v41 offset:2160
	s_wait_dscnt 0x0
	s_barrier_signal -1
	s_barrier_wait -1
	v_mul_f64_e32 v[2:3], v[44:45], v[26:27]
	v_mul_f64_e32 v[26:27], v[42:43], v[26:27]
	s_delay_alu instid0(VALU_DEP_2) | instskip(NEXT) | instid1(VALU_DEP_2)
	v_fma_f64 v[2:3], v[42:43], v[24:25], -v[2:3]
	v_fmac_f64_e32 v[26:27], v[44:45], v[24:25]
	s_delay_alu instid0(VALU_DEP_2) | instskip(SKIP_1) | instid1(VALU_DEP_3)
	v_add_f64_e32 v[24:25], v[46:47], v[2:3]
	v_mul_f64_e32 v[2:3], v[44:45], v[34:35]
	v_add_f64_e32 v[26:27], v[26:27], v[48:49]
	s_delay_alu instid0(VALU_DEP_2) | instskip(SKIP_1) | instid1(VALU_DEP_2)
	v_fma_f64 v[2:3], v[42:43], v[32:33], -v[2:3]
	v_mul_f64_e32 v[42:43], v[42:43], v[34:35]
	v_add_f64_e32 v[34:35], v[52:53], v[2:3]
	s_delay_alu instid0(VALU_DEP_2) | instskip(NEXT) | instid1(VALU_DEP_1)
	v_fmac_f64_e32 v[42:43], v[44:45], v[32:33]
	v_add_f64_e32 v[32:33], v[42:43], v[54:55]
	s_cbranch_scc0 .LBB120_18
.LBB120_10:                             ;   Parent Loop BB120_7 Depth=1
                                        ; =>  This Inner Loop Header: Depth=2
	v_add_nc_u32_e32 v1, s0, v37
	s_delay_alu instid0(VALU_DEP_1) | instskip(SKIP_1) | instid1(SALU_CYCLE_1)
	v_cmp_le_i32_e32 vcc_lo, s19, v1
	s_or_b32 s1, s7, vcc_lo
	s_and_saveexec_b32 s17, s1
	s_delay_alu instid0(SALU_CYCLE_1)
	s_xor_b32 s1, exec_lo, s17
; %bb.11:                               ;   in Loop: Header=BB120_10 Depth=2
	v_dual_mov_b32 v1, v0 :: v_dual_mov_b32 v2, v0
	v_mov_b32_e32 v3, v0
	ds_store_b128 v38, v[0:3]
; %bb.12:                               ;   in Loop: Header=BB120_10 Depth=2
	s_and_not1_saveexec_b32 s1, s1
	s_cbranch_execz .LBB120_14
; %bb.13:                               ;   in Loop: Header=BB120_10 Depth=2
	global_load_b128 v[42:45], v[4:5], off
	s_wait_loadcnt 0x0
	ds_store_2addr_b64 v38, v[42:43], v[44:45] offset1:1
.LBB120_14:                             ;   in Loop: Header=BB120_10 Depth=2
	s_wait_xcnt 0x0
	s_or_b32 exec_lo, exec_lo, s1
	v_add_nc_u32_e32 v1, s0, v36
	s_delay_alu instid0(VALU_DEP_1) | instskip(SKIP_1) | instid1(SALU_CYCLE_1)
	v_cmp_le_i32_e32 vcc_lo, s19, v1
	s_or_b32 s1, vcc_lo, s16
	s_and_saveexec_b32 s17, s1
	s_delay_alu instid0(SALU_CYCLE_1)
	s_xor_b32 s1, exec_lo, s17
; %bb.15:                               ;   in Loop: Header=BB120_10 Depth=2
	v_dual_mov_b32 v1, v0 :: v_dual_mov_b32 v2, v0
	v_mov_b32_e32 v3, v0
	ds_store_b128 v39, v[0:3]
; %bb.16:                               ;   in Loop: Header=BB120_10 Depth=2
	s_and_not1_saveexec_b32 s1, s1
	s_cbranch_execz .LBB120_9
; %bb.17:                               ;   in Loop: Header=BB120_10 Depth=2
	global_load_b128 v[42:45], v[18:19], off
	s_wait_loadcnt 0x0
	ds_store_2addr_b64 v39, v[42:43], v[44:45] offset1:1
	s_branch .LBB120_9
.LBB120_18:                             ;   in Loop: Header=BB120_7 Depth=1
	s_mul_u64 s[0:1], s[30:31], s[28:29]
	s_delay_alu instid0(SALU_CYCLE_1) | instskip(NEXT) | instid1(SALU_CYCLE_1)
	s_lshl_b64 s[0:1], s[0:1], 4
	s_add_nc_u64 s[0:1], s[24:25], s[0:1]
	s_delay_alu instid0(SALU_CYCLE_1)
	v_lshl_add_u64 v[18:19], v[8:9], 4, s[0:1]
	s_and_saveexec_b32 s17, s18
	s_cbranch_execz .LBB120_23
; %bb.19:                               ;   in Loop: Header=BB120_7 Depth=1
	v_mul_f64_e32 v[2:3], s[14:15], v[30:31]
	v_mul_f64_e32 v[4:5], s[12:13], v[30:31]
	s_and_b32 vcc_lo, exec_lo, s26
	s_mov_b32 s20, -1
	s_delay_alu instid0(VALU_DEP_2) | instskip(NEXT) | instid1(VALU_DEP_2)
	v_fma_f64 v[2:3], s[12:13], v[28:29], -v[2:3]
	v_fmac_f64_e32 v[4:5], s[14:15], v[28:29]
	v_lshl_add_u64 v[28:29], v[6:7], 4, v[18:19]
	s_cbranch_vccz .LBB120_21
; %bb.20:                               ;   in Loop: Header=BB120_7 Depth=1
	global_load_b128 v[42:45], v[28:29], off
	s_mov_b32 s20, 0
	s_wait_loadcnt 0x0
	v_mul_f64_e32 v[30:31], s[10:11], v[44:45]
	v_mul_f64_e32 v[44:45], s[8:9], v[44:45]
	s_delay_alu instid0(VALU_DEP_2) | instskip(NEXT) | instid1(VALU_DEP_2)
	v_fma_f64 v[30:31], s[8:9], v[42:43], -v[30:31]
	v_fmac_f64_e32 v[44:45], s[10:11], v[42:43]
	s_delay_alu instid0(VALU_DEP_2) | instskip(NEXT) | instid1(VALU_DEP_2)
	v_add_f64_e32 v[42:43], v[2:3], v[30:31]
	v_add_f64_e32 v[44:45], v[4:5], v[44:45]
	global_store_b128 v[28:29], v[42:45], off
.LBB120_21:                             ;   in Loop: Header=BB120_7 Depth=1
	s_and_not1_b32 vcc_lo, exec_lo, s20
	s_cbranch_vccnz .LBB120_23
; %bb.22:                               ;   in Loop: Header=BB120_7 Depth=1
	global_store_b128 v[28:29], v[2:5], off
.LBB120_23:                             ;   in Loop: Header=BB120_7 Depth=1
	s_wait_xcnt 0x0
	s_or_b32 exec_lo, exec_lo, s17
	s_and_saveexec_b32 s17, s33
	s_cbranch_execz .LBB120_28
; %bb.24:                               ;   in Loop: Header=BB120_7 Depth=1
	v_mul_f64_e32 v[2:3], s[14:15], v[22:23]
	v_mul_f64_e32 v[4:5], s[12:13], v[22:23]
	v_lshl_add_u64 v[18:19], v[12:13], 4, v[18:19]
	s_and_not1_b32 vcc_lo, exec_lo, s26
	s_mov_b32 s20, -1
	s_delay_alu instid0(VALU_DEP_3) | instskip(NEXT) | instid1(VALU_DEP_3)
	v_fma_f64 v[2:3], s[12:13], v[20:21], -v[2:3]
	v_fmac_f64_e32 v[4:5], s[14:15], v[20:21]
	s_cbranch_vccnz .LBB120_26
; %bb.25:                               ;   in Loop: Header=BB120_7 Depth=1
	global_load_b128 v[20:23], v[18:19], off
	s_mov_b32 s20, 0
	s_wait_loadcnt 0x0
	v_mul_f64_e32 v[28:29], s[10:11], v[22:23]
	v_mul_f64_e32 v[22:23], s[8:9], v[22:23]
	s_delay_alu instid0(VALU_DEP_2) | instskip(NEXT) | instid1(VALU_DEP_2)
	v_fma_f64 v[28:29], s[8:9], v[20:21], -v[28:29]
	v_fmac_f64_e32 v[22:23], s[10:11], v[20:21]
	s_delay_alu instid0(VALU_DEP_2) | instskip(NEXT) | instid1(VALU_DEP_2)
	v_add_f64_e32 v[20:21], v[2:3], v[28:29]
	v_add_f64_e32 v[22:23], v[4:5], v[22:23]
	global_store_b128 v[18:19], v[20:23], off
.LBB120_26:                             ;   in Loop: Header=BB120_7 Depth=1
	s_and_not1_b32 vcc_lo, exec_lo, s20
	s_cbranch_vccnz .LBB120_28
; %bb.27:                               ;   in Loop: Header=BB120_7 Depth=1
	global_store_b128 v[18:19], v[2:5], off
.LBB120_28:                             ;   in Loop: Header=BB120_7 Depth=1
	s_wait_xcnt 0x0
	s_or_b32 exec_lo, exec_lo, s17
	v_lshl_add_u64 v[18:19], v[10:11], 4, s[0:1]
	s_and_saveexec_b32 s0, s34
	s_cbranch_execz .LBB120_33
; %bb.29:                               ;   in Loop: Header=BB120_7 Depth=1
	v_mul_f64_e32 v[2:3], s[14:15], v[26:27]
	v_mul_f64_e32 v[4:5], s[12:13], v[26:27]
	v_lshl_add_u64 v[20:21], v[6:7], 4, v[18:19]
	s_and_not1_b32 vcc_lo, exec_lo, s26
	s_mov_b32 s1, -1
	s_delay_alu instid0(VALU_DEP_3) | instskip(NEXT) | instid1(VALU_DEP_3)
	v_fma_f64 v[2:3], s[12:13], v[24:25], -v[2:3]
	v_fmac_f64_e32 v[4:5], s[14:15], v[24:25]
	s_cbranch_vccnz .LBB120_31
; %bb.30:                               ;   in Loop: Header=BB120_7 Depth=1
	global_load_b128 v[22:25], v[20:21], off
	s_mov_b32 s1, 0
	s_wait_loadcnt 0x0
	v_mul_f64_e32 v[26:27], s[10:11], v[24:25]
	v_mul_f64_e32 v[24:25], s[8:9], v[24:25]
	s_delay_alu instid0(VALU_DEP_2) | instskip(NEXT) | instid1(VALU_DEP_2)
	v_fma_f64 v[26:27], s[8:9], v[22:23], -v[26:27]
	v_fmac_f64_e32 v[24:25], s[10:11], v[22:23]
	s_delay_alu instid0(VALU_DEP_2) | instskip(NEXT) | instid1(VALU_DEP_2)
	v_add_f64_e32 v[22:23], v[2:3], v[26:27]
	v_add_f64_e32 v[24:25], v[4:5], v[24:25]
	global_store_b128 v[20:21], v[22:25], off
.LBB120_31:                             ;   in Loop: Header=BB120_7 Depth=1
	s_and_not1_b32 vcc_lo, exec_lo, s1
	s_cbranch_vccnz .LBB120_33
; %bb.32:                               ;   in Loop: Header=BB120_7 Depth=1
	global_store_b128 v[20:21], v[2:5], off
.LBB120_33:                             ;   in Loop: Header=BB120_7 Depth=1
	s_wait_xcnt 0x0
	s_or_b32 exec_lo, exec_lo, s0
	s_and_saveexec_b32 s0, s35
	s_cbranch_execz .LBB120_6
; %bb.34:                               ;   in Loop: Header=BB120_7 Depth=1
	s_delay_alu instid0(VALU_DEP_3) | instskip(SKIP_4) | instid1(VALU_DEP_3)
	v_mul_f64_e32 v[2:3], s[14:15], v[32:33]
	v_mul_f64_e32 v[4:5], s[12:13], v[32:33]
	v_lshl_add_u64 v[18:19], v[12:13], 4, v[18:19]
	s_and_not1_b32 vcc_lo, exec_lo, s26
	s_mov_b32 s1, -1
	v_fma_f64 v[2:3], s[12:13], v[34:35], -v[2:3]
	s_delay_alu instid0(VALU_DEP_3)
	v_fmac_f64_e32 v[4:5], s[14:15], v[34:35]
	s_cbranch_vccnz .LBB120_36
; %bb.35:                               ;   in Loop: Header=BB120_7 Depth=1
	global_load_b128 v[20:23], v[18:19], off
	s_mov_b32 s1, 0
	s_wait_loadcnt 0x0
	v_mul_f64_e32 v[24:25], s[10:11], v[22:23]
	v_mul_f64_e32 v[22:23], s[8:9], v[22:23]
	s_delay_alu instid0(VALU_DEP_2) | instskip(NEXT) | instid1(VALU_DEP_2)
	v_fma_f64 v[24:25], s[8:9], v[20:21], -v[24:25]
	v_fmac_f64_e32 v[22:23], s[10:11], v[20:21]
	s_delay_alu instid0(VALU_DEP_2) | instskip(NEXT) | instid1(VALU_DEP_2)
	v_add_f64_e32 v[20:21], v[2:3], v[24:25]
	v_add_f64_e32 v[22:23], v[4:5], v[22:23]
	global_store_b128 v[18:19], v[20:23], off
.LBB120_36:                             ;   in Loop: Header=BB120_7 Depth=1
	s_and_not1_b32 vcc_lo, exec_lo, s1
	s_cbranch_vccnz .LBB120_6
; %bb.37:                               ;   in Loop: Header=BB120_7 Depth=1
	global_store_b128 v[18:19], v[2:5], off
	s_branch .LBB120_6
.LBB120_38:
.LBB120_39:
	s_sendmsg sendmsg(MSG_DEALLOC_VGPRS)
	s_endpgm
	.section	.rodata,"a",@progbits
	.p2align	6, 0x0
	.amdhsa_kernel _ZL29rocblas_internal_gemmt_kernelIiLi16ELi32ELi8ELc84ELc78ELc76ELb0ELb0E19rocblas_complex_numIdEPKS1_S3_PS1_EviT_T9_T10_S5_lS7_S5_lS6_T11_S5_li
		.amdhsa_group_segment_fixed_size 8192
		.amdhsa_private_segment_fixed_size 0
		.amdhsa_kernarg_size 100
		.amdhsa_user_sgpr_count 2
		.amdhsa_user_sgpr_dispatch_ptr 0
		.amdhsa_user_sgpr_queue_ptr 0
		.amdhsa_user_sgpr_kernarg_segment_ptr 1
		.amdhsa_user_sgpr_dispatch_id 0
		.amdhsa_user_sgpr_kernarg_preload_length 0
		.amdhsa_user_sgpr_kernarg_preload_offset 0
		.amdhsa_user_sgpr_private_segment_size 0
		.amdhsa_wavefront_size32 1
		.amdhsa_uses_dynamic_stack 0
		.amdhsa_enable_private_segment 0
		.amdhsa_system_sgpr_workgroup_id_x 1
		.amdhsa_system_sgpr_workgroup_id_y 1
		.amdhsa_system_sgpr_workgroup_id_z 1
		.amdhsa_system_sgpr_workgroup_info 0
		.amdhsa_system_vgpr_workitem_id 1
		.amdhsa_next_free_vgpr 66
		.amdhsa_next_free_sgpr 41
		.amdhsa_named_barrier_count 0
		.amdhsa_reserve_vcc 1
		.amdhsa_float_round_mode_32 0
		.amdhsa_float_round_mode_16_64 0
		.amdhsa_float_denorm_mode_32 3
		.amdhsa_float_denorm_mode_16_64 3
		.amdhsa_fp16_overflow 0
		.amdhsa_memory_ordered 1
		.amdhsa_forward_progress 1
		.amdhsa_inst_pref_size 26
		.amdhsa_round_robin_scheduling 0
		.amdhsa_exception_fp_ieee_invalid_op 0
		.amdhsa_exception_fp_denorm_src 0
		.amdhsa_exception_fp_ieee_div_zero 0
		.amdhsa_exception_fp_ieee_overflow 0
		.amdhsa_exception_fp_ieee_underflow 0
		.amdhsa_exception_fp_ieee_inexact 0
		.amdhsa_exception_int_div_zero 0
	.end_amdhsa_kernel
	.section	.text._ZL29rocblas_internal_gemmt_kernelIiLi16ELi32ELi8ELc84ELc78ELc76ELb0ELb0E19rocblas_complex_numIdEPKS1_S3_PS1_EviT_T9_T10_S5_lS7_S5_lS6_T11_S5_li,"axG",@progbits,_ZL29rocblas_internal_gemmt_kernelIiLi16ELi32ELi8ELc84ELc78ELc76ELb0ELb0E19rocblas_complex_numIdEPKS1_S3_PS1_EviT_T9_T10_S5_lS7_S5_lS6_T11_S5_li,comdat
.Lfunc_end120:
	.size	_ZL29rocblas_internal_gemmt_kernelIiLi16ELi32ELi8ELc84ELc78ELc76ELb0ELb0E19rocblas_complex_numIdEPKS1_S3_PS1_EviT_T9_T10_S5_lS7_S5_lS6_T11_S5_li, .Lfunc_end120-_ZL29rocblas_internal_gemmt_kernelIiLi16ELi32ELi8ELc84ELc78ELc76ELb0ELb0E19rocblas_complex_numIdEPKS1_S3_PS1_EviT_T9_T10_S5_lS7_S5_lS6_T11_S5_li
                                        ; -- End function
	.set _ZL29rocblas_internal_gemmt_kernelIiLi16ELi32ELi8ELc84ELc78ELc76ELb0ELb0E19rocblas_complex_numIdEPKS1_S3_PS1_EviT_T9_T10_S5_lS7_S5_lS6_T11_S5_li.num_vgpr, 66
	.set _ZL29rocblas_internal_gemmt_kernelIiLi16ELi32ELi8ELc84ELc78ELc76ELb0ELb0E19rocblas_complex_numIdEPKS1_S3_PS1_EviT_T9_T10_S5_lS7_S5_lS6_T11_S5_li.num_agpr, 0
	.set _ZL29rocblas_internal_gemmt_kernelIiLi16ELi32ELi8ELc84ELc78ELc76ELb0ELb0E19rocblas_complex_numIdEPKS1_S3_PS1_EviT_T9_T10_S5_lS7_S5_lS6_T11_S5_li.numbered_sgpr, 41
	.set _ZL29rocblas_internal_gemmt_kernelIiLi16ELi32ELi8ELc84ELc78ELc76ELb0ELb0E19rocblas_complex_numIdEPKS1_S3_PS1_EviT_T9_T10_S5_lS7_S5_lS6_T11_S5_li.num_named_barrier, 0
	.set _ZL29rocblas_internal_gemmt_kernelIiLi16ELi32ELi8ELc84ELc78ELc76ELb0ELb0E19rocblas_complex_numIdEPKS1_S3_PS1_EviT_T9_T10_S5_lS7_S5_lS6_T11_S5_li.private_seg_size, 0
	.set _ZL29rocblas_internal_gemmt_kernelIiLi16ELi32ELi8ELc84ELc78ELc76ELb0ELb0E19rocblas_complex_numIdEPKS1_S3_PS1_EviT_T9_T10_S5_lS7_S5_lS6_T11_S5_li.uses_vcc, 1
	.set _ZL29rocblas_internal_gemmt_kernelIiLi16ELi32ELi8ELc84ELc78ELc76ELb0ELb0E19rocblas_complex_numIdEPKS1_S3_PS1_EviT_T9_T10_S5_lS7_S5_lS6_T11_S5_li.uses_flat_scratch, 0
	.set _ZL29rocblas_internal_gemmt_kernelIiLi16ELi32ELi8ELc84ELc78ELc76ELb0ELb0E19rocblas_complex_numIdEPKS1_S3_PS1_EviT_T9_T10_S5_lS7_S5_lS6_T11_S5_li.has_dyn_sized_stack, 0
	.set _ZL29rocblas_internal_gemmt_kernelIiLi16ELi32ELi8ELc84ELc78ELc76ELb0ELb0E19rocblas_complex_numIdEPKS1_S3_PS1_EviT_T9_T10_S5_lS7_S5_lS6_T11_S5_li.has_recursion, 0
	.set _ZL29rocblas_internal_gemmt_kernelIiLi16ELi32ELi8ELc84ELc78ELc76ELb0ELb0E19rocblas_complex_numIdEPKS1_S3_PS1_EviT_T9_T10_S5_lS7_S5_lS6_T11_S5_li.has_indirect_call, 0
	.section	.AMDGPU.csdata,"",@progbits
; Kernel info:
; codeLenInByte = 3252
; TotalNumSgprs: 43
; NumVgprs: 66
; ScratchSize: 0
; MemoryBound: 0
; FloatMode: 240
; IeeeMode: 1
; LDSByteSize: 8192 bytes/workgroup (compile time only)
; SGPRBlocks: 0
; VGPRBlocks: 4
; NumSGPRsForWavesPerEU: 43
; NumVGPRsForWavesPerEU: 66
; NamedBarCnt: 0
; Occupancy: 12
; WaveLimiterHint : 0
; COMPUTE_PGM_RSRC2:SCRATCH_EN: 0
; COMPUTE_PGM_RSRC2:USER_SGPR: 2
; COMPUTE_PGM_RSRC2:TRAP_HANDLER: 0
; COMPUTE_PGM_RSRC2:TGID_X_EN: 1
; COMPUTE_PGM_RSRC2:TGID_Y_EN: 1
; COMPUTE_PGM_RSRC2:TGID_Z_EN: 1
; COMPUTE_PGM_RSRC2:TIDIG_COMP_CNT: 1
	.section	.text._ZL29rocblas_internal_gemmt_kernelIiLi16ELi32ELi8ELc84ELc84ELc76ELb0ELb0E19rocblas_complex_numIdEPKS1_S3_PS1_EviT_T9_T10_S5_lS7_S5_lS6_T11_S5_li,"axG",@progbits,_ZL29rocblas_internal_gemmt_kernelIiLi16ELi32ELi8ELc84ELc84ELc76ELb0ELb0E19rocblas_complex_numIdEPKS1_S3_PS1_EviT_T9_T10_S5_lS7_S5_lS6_T11_S5_li,comdat
	.globl	_ZL29rocblas_internal_gemmt_kernelIiLi16ELi32ELi8ELc84ELc84ELc76ELb0ELb0E19rocblas_complex_numIdEPKS1_S3_PS1_EviT_T9_T10_S5_lS7_S5_lS6_T11_S5_li ; -- Begin function _ZL29rocblas_internal_gemmt_kernelIiLi16ELi32ELi8ELc84ELc84ELc76ELb0ELb0E19rocblas_complex_numIdEPKS1_S3_PS1_EviT_T9_T10_S5_lS7_S5_lS6_T11_S5_li
	.p2align	8
	.type	_ZL29rocblas_internal_gemmt_kernelIiLi16ELi32ELi8ELc84ELc84ELc76ELb0ELb0E19rocblas_complex_numIdEPKS1_S3_PS1_EviT_T9_T10_S5_lS7_S5_lS6_T11_S5_li,@function
_ZL29rocblas_internal_gemmt_kernelIiLi16ELi32ELi8ELc84ELc84ELc76ELb0ELb0E19rocblas_complex_numIdEPKS1_S3_PS1_EviT_T9_T10_S5_lS7_S5_lS6_T11_S5_li: ; @_ZL29rocblas_internal_gemmt_kernelIiLi16ELi32ELi8ELc84ELc84ELc76ELb0ELb0E19rocblas_complex_numIdEPKS1_S3_PS1_EviT_T9_T10_S5_lS7_S5_lS6_T11_S5_li
; %bb.0:
	s_load_b128 s[16:19], s[0:1], 0x38
	s_wait_kmcnt 0x0
	s_load_b128 s[8:11], s[18:19], 0x0
	s_load_b128 s[4:7], s[0:1], 0x8
	s_wait_xcnt 0x0
	s_load_b64 s[18:19], s[0:1], 0x0
	s_wait_kmcnt 0x0
	v_cmp_eq_f64_e64 s2, s[8:9], 1.0
	v_cmp_eq_f64_e64 s33, s[10:11], 0
	s_load_b128 s[12:15], s[4:5], 0x0
	s_and_b32 s2, s2, s33
	s_delay_alu instid0(SALU_CYCLE_1)
	s_and_not1_b32 vcc_lo, exec_lo, s2
	s_mov_b32 s2, -1
	s_cbranch_vccnz .LBB121_3
; %bb.1:
	s_cmp_lg_u32 s19, 0
	s_cbranch_scc0 .LBB121_38
; %bb.2:
	s_wait_kmcnt 0x0
	v_cmp_neq_f64_e64 s2, s[12:13], 0
	v_cmp_neq_f64_e64 s3, s[14:15], 0
	s_or_b32 s2, s2, s3
.LBB121_3:
	s_delay_alu instid0(SALU_CYCLE_1)
	s_and_b32 vcc_lo, exec_lo, s2
	s_cbranch_vccz .LBB121_39
; %bb.4:
	s_load_b32 s27, s[0:1], 0x60
	s_bfe_u32 s2, ttmp6, 0x40014
	s_lshr_b32 s3, ttmp7, 16
	s_add_co_i32 s2, s2, 1
	s_wait_xcnt 0x0
	s_bfe_u32 s5, ttmp6, 0x40008
	s_mul_i32 s2, s3, s2
	s_getreg_b32 s4, hwreg(HW_REG_IB_STS2, 6, 4)
	s_add_co_i32 s5, s5, s2
	s_cmp_eq_u32 s4, 0
	s_mov_b32 s29, 0
	s_cselect_b32 s28, s3, s5
	s_wait_kmcnt 0x0
	s_cmp_ge_u32 s28, s27
	s_cbranch_scc1 .LBB121_39
; %bb.5:
	s_clause 0x2
	s_load_b32 s2, s[0:1], 0x18
	s_load_b32 s34, s[0:1], 0x30
	s_load_b96 s[24:26], s[0:1], 0x48
	v_and_b32_e32 v1, 0x3ff, v0
	v_bfe_u32 v9, v0, 10, 10
	s_clause 0x1
	s_load_b128 s[20:23], s[0:1], 0x20
	s_load_b64 s[30:31], s[0:1], 0x58
	s_wait_xcnt 0x0
	s_bfe_u32 s1, ttmp6, 0x4000c
	s_bfe_u32 s39, ttmp6, 0x40010
	s_add_co_i32 s1, s1, 1
	s_add_co_i32 s39, s39, 1
	v_and_b32_e32 v6, 7, v0
	v_lshl_add_u32 v0, v9, 4, v1
	s_and_b32 s0, ttmp6, 15
	s_mul_i32 s1, ttmp9, s1
	s_bfe_u32 s40, ttmp6, 0x40004
	s_add_co_i32 s0, s0, s1
	v_dual_lshrrev_b32 v5, 3, v0 :: v_dual_bitop2_b32 v8, 31, v0 bitop3:0x40
	v_cmp_neq_f64_e64 s5, s[12:13], 0
	s_wait_kmcnt 0x0
	s_ashr_i32 s3, s2, 31
	s_ashr_i32 s35, s34, 31
	;; [unrolled: 1-line block ×3, first 2 shown]
	s_mov_b32 s36, s26
	s_and_b32 s26, ttmp7, 0xffff
	v_cmp_neq_f64_e64 s38, s[14:15], 0
	s_mul_i32 s39, s26, s39
	v_lshrrev_b32_e32 v38, 5, v0
	s_add_co_i32 s40, s40, s39
	s_cmp_eq_u32 s4, 0
	v_lshl_add_u32 v41, v9, 7, 0x1000
	s_cselect_b32 s0, ttmp9, s0
	s_cselect_b32 s1, s26, s40
	s_lshl_b32 s4, s0, 5
	s_lshl_b32 s0, s1, 5
	s_delay_alu instid0(SALU_CYCLE_1) | instskip(SKIP_2) | instid1(VALU_DEP_3)
	v_dual_add_nc_u32 v4, s0, v5 :: v_dual_bitop2_b32 v2, s4, v8 bitop3:0x54
	v_mov_b32_e32 v0, 0
	v_cmp_neq_f64_e64 s26, s[8:9], 0
	v_dual_add_nc_u32 v16, s0, v9 :: v_dual_ashrrev_i32 v3, 31, v2
	s_delay_alu instid0(VALU_DEP_3) | instskip(SKIP_2) | instid1(VALU_DEP_4)
	v_dual_mov_b32 v7, v0 :: v_dual_lshlrev_b32 v10, 4, v6
	v_cmp_gt_i32_e32 vcc_lo, s18, v2
	v_cmp_gt_i32_e64 s0, s18, v4
	v_mul_u64_e32 v[18:19], s[2:3], v[2:3]
	v_lshlrev_b32_e32 v3, 4, v8
	v_mul_u64_e32 v[20:21], s[34:35], v[6:7]
	v_dual_add_nc_u32 v2, 16, v16 :: v_dual_ashrrev_i32 v17, 31, v16
	v_lshl_or_b32 v5, v5, 7, v10
	s_delay_alu instid0(VALU_DEP_4) | instskip(NEXT) | instid1(VALU_DEP_3)
	v_lshl_or_b32 v7, v38, 9, v3
	v_dual_add_nc_u32 v8, s4, v1 :: v_dual_ashrrev_i32 v3, 31, v2
	s_delay_alu instid0(VALU_DEP_4) | instskip(NEXT) | instid1(VALU_DEP_4)
	v_mul_u64_e32 v[10:11], s[36:37], v[16:17]
	v_add_nc_u32_e32 v39, 0x1000, v5
	v_dual_ashrrev_i32 v5, 31, v4 :: v_dual_lshlrev_b32 v40, 4, v1
	s_delay_alu instid0(VALU_DEP_4)
	v_mul_u64_e32 v[12:13], s[36:37], v[2:3]
	s_or_b32 s38, s5, s38
	v_cmp_le_i32_e64 s1, v16, v8
	v_cmp_gt_i32_e64 s2, s18, v8
	v_add_nc_u32_e32 v14, 16, v8
	s_cmp_gt_i32 s19, 0
	v_lshlrev_b64_e32 v[4:5], 4, v[4:5]
	s_cselect_b32 s39, -1, 0
	s_xor_b32 s3, s33, -1
	s_and_b32 s33, s1, s2
	v_cmp_le_i32_e64 s1, v16, v14
	v_lshlrev_b32_e32 v16, 4, v38
	s_or_b32 s26, s26, s3
	v_cmp_gt_i32_e64 s3, s18, v14
	v_dual_mov_b32 v17, v0 :: v_dual_ashrrev_i32 v9, 31, v8
	v_cmp_le_i32_e64 s4, v2, v14
	v_ashrrev_i32_e32 v15, 31, v14
	s_and_b32 s18, s1, s3
	v_cmp_le_i32_e64 s1, v2, v8
	v_lshl_add_u64 v[2:3], v[18:19], 4, v[16:17]
	v_lshl_add_u64 v[4:5], v[20:21], 4, v[4:5]
	s_and_b32 s37, s4, s3
	s_lshl_b64 s[4:5], s[16:17], 4
	s_and_b32 s36, s1, s2
	v_add_nc_u64_e32 v[16:17], s[6:7], v[2:3]
	v_add_nc_u64_e32 v[18:19], s[22:23], v[4:5]
	s_lshl_b64 s[2:3], s[20:21], 4
	s_and_b32 s16, s38, s39
	s_lshl_b64 s[6:7], s[34:35], 7
	s_xor_b32 s17, vcc_lo, -1
	s_xor_b32 s20, s0, -1
	s_branch .LBB121_7
.LBB121_6:                              ;   in Loop: Header=BB121_7 Depth=1
	s_wait_xcnt 0x0
	s_or_b32 exec_lo, exec_lo, s0
	s_add_co_i32 s28, s28, 0x10000
	s_delay_alu instid0(SALU_CYCLE_1)
	s_cmp_lt_u32 s28, s27
	s_cbranch_scc0 .LBB121_39
.LBB121_7:                              ; =>This Loop Header: Depth=1
                                        ;     Child Loop BB121_10 Depth 2
	v_mov_b64_e32 v[30:31], 0
	v_mov_b64_e32 v[32:33], 0
	;; [unrolled: 1-line block ×8, first 2 shown]
	s_and_not1_b32 vcc_lo, exec_lo, s16
	s_cbranch_vccnz .LBB121_18
; %bb.8:                                ;   in Loop: Header=BB121_7 Depth=1
	v_mad_nc_u64_u32 v[4:5], s2, s28, v[16:17]
	v_mad_nc_u64_u32 v[20:21], s4, s28, v[18:19]
	v_mov_b64_e32 v[34:35], 0
	v_mov_b64_e32 v[36:37], 0
	v_mov_b64_e32 v[28:29], 0
	v_mov_b64_e32 v[26:27], 0
	v_mov_b64_e32 v[24:25], 0
	v_mov_b64_e32 v[22:23], 0
	v_mov_b64_e32 v[32:33], 0
	v_mov_b64_e32 v[30:31], 0
	s_mov_b32 s0, 0
	v_mad_u32 v5, s3, s28, v5
	v_mad_u32 v21, s5, s28, v21
	s_branch .LBB121_10
.LBB121_9:                              ;   in Loop: Header=BB121_10 Depth=2
	s_wait_xcnt 0x0
	s_or_b32 exec_lo, exec_lo, s1
	s_wait_dscnt 0x0
	s_barrier_signal -1
	s_barrier_wait -1
	ds_load_b128 v[42:45], v41
	ds_load_b128 v[46:49], v41 offset:16
	ds_load_b128 v[50:53], v41 offset:32
	;; [unrolled: 1-line block ×3, first 2 shown]
	ds_load_b128 v[58:61], v40
	v_add_nc_u64_e32 v[4:5], 0x80, v[4:5]
	v_add_nc_u64_e32 v[20:21], s[6:7], v[20:21]
	s_add_co_i32 s0, s0, 8
	s_delay_alu instid0(SALU_CYCLE_1) | instskip(SKIP_3) | instid1(VALU_DEP_2)
	s_cmp_lt_i32 s0, s19
	s_wait_dscnt 0x0
	v_mul_f64_e32 v[2:3], v[44:45], v[60:61]
	v_mul_f64_e32 v[62:63], v[42:43], v[60:61]
	v_fma_f64 v[2:3], v[42:43], v[58:59], -v[2:3]
	s_delay_alu instid0(VALU_DEP_2) | instskip(NEXT) | instid1(VALU_DEP_2)
	v_fmac_f64_e32 v[62:63], v[44:45], v[58:59]
	v_add_f64_e32 v[2:3], v[30:31], v[2:3]
	s_delay_alu instid0(VALU_DEP_2) | instskip(SKIP_3) | instid1(VALU_DEP_1)
	v_add_f64_e32 v[62:63], v[62:63], v[32:33]
	ds_load_b128 v[30:33], v40 offset:256
	s_wait_dscnt 0x0
	v_mul_f64_e32 v[64:65], v[44:45], v[32:33]
	v_fma_f64 v[64:65], v[42:43], v[30:31], -v[64:65]
	v_mul_f64_e32 v[42:43], v[42:43], v[32:33]
	s_delay_alu instid0(VALU_DEP_1) | instskip(NEXT) | instid1(VALU_DEP_3)
	v_fmac_f64_e32 v[42:43], v[44:45], v[30:31]
	v_add_f64_e32 v[44:45], v[22:23], v[64:65]
	s_delay_alu instid0(VALU_DEP_2) | instskip(SKIP_4) | instid1(VALU_DEP_2)
	v_add_f64_e32 v[42:43], v[42:43], v[24:25]
	ds_load_b128 v[22:25], v41 offset:2048
	s_wait_dscnt 0x0
	v_mul_f64_e32 v[64:65], v[24:25], v[60:61]
	v_mul_f64_e32 v[60:61], v[22:23], v[60:61]
	v_fma_f64 v[64:65], v[22:23], v[58:59], -v[64:65]
	s_delay_alu instid0(VALU_DEP_2) | instskip(NEXT) | instid1(VALU_DEP_2)
	v_fmac_f64_e32 v[60:61], v[24:25], v[58:59]
	v_add_f64_e32 v[58:59], v[26:27], v[64:65]
	v_mul_f64_e32 v[26:27], v[24:25], v[32:33]
	s_delay_alu instid0(VALU_DEP_3) | instskip(NEXT) | instid1(VALU_DEP_2)
	v_add_f64_e32 v[60:61], v[60:61], v[28:29]
	v_fma_f64 v[26:27], v[22:23], v[30:31], -v[26:27]
	v_mul_f64_e32 v[22:23], v[22:23], v[32:33]
	s_delay_alu instid0(VALU_DEP_2) | instskip(NEXT) | instid1(VALU_DEP_2)
	v_add_f64_e32 v[36:37], v[36:37], v[26:27]
	v_fmac_f64_e32 v[22:23], v[24:25], v[30:31]
	s_delay_alu instid0(VALU_DEP_1) | instskip(SKIP_4) | instid1(VALU_DEP_2)
	v_add_f64_e32 v[34:35], v[22:23], v[34:35]
	ds_load_b128 v[22:25], v40 offset:512
	s_wait_dscnt 0x0
	v_mul_f64_e32 v[26:27], v[48:49], v[24:25]
	v_mul_f64_e32 v[28:29], v[46:47], v[24:25]
	v_fma_f64 v[26:27], v[46:47], v[22:23], -v[26:27]
	s_delay_alu instid0(VALU_DEP_2) | instskip(NEXT) | instid1(VALU_DEP_2)
	v_fmac_f64_e32 v[28:29], v[48:49], v[22:23]
	v_add_f64_e32 v[2:3], v[2:3], v[26:27]
	s_delay_alu instid0(VALU_DEP_2) | instskip(SKIP_4) | instid1(VALU_DEP_2)
	v_add_f64_e32 v[62:63], v[28:29], v[62:63]
	ds_load_b128 v[26:29], v40 offset:768
	s_wait_dscnt 0x0
	v_mul_f64_e32 v[30:31], v[48:49], v[28:29]
	v_mul_f64_e32 v[32:33], v[46:47], v[28:29]
	v_fma_f64 v[30:31], v[46:47], v[26:27], -v[30:31]
	s_delay_alu instid0(VALU_DEP_2) | instskip(NEXT) | instid1(VALU_DEP_2)
	v_fmac_f64_e32 v[32:33], v[48:49], v[26:27]
	v_add_f64_e32 v[44:45], v[44:45], v[30:31]
	s_delay_alu instid0(VALU_DEP_2) | instskip(SKIP_4) | instid1(VALU_DEP_2)
	v_add_f64_e32 v[42:43], v[32:33], v[42:43]
	ds_load_b128 v[30:33], v41 offset:2064
	s_wait_dscnt 0x0
	v_mul_f64_e32 v[46:47], v[32:33], v[24:25]
	v_mul_f64_e32 v[24:25], v[30:31], v[24:25]
	v_fma_f64 v[46:47], v[30:31], v[22:23], -v[46:47]
	s_delay_alu instid0(VALU_DEP_2) | instskip(SKIP_1) | instid1(VALU_DEP_3)
	v_fmac_f64_e32 v[24:25], v[32:33], v[22:23]
	v_mul_f64_e32 v[22:23], v[32:33], v[28:29]
	v_add_f64_e32 v[46:47], v[58:59], v[46:47]
	s_delay_alu instid0(VALU_DEP_3) | instskip(SKIP_1) | instid1(VALU_DEP_4)
	v_add_f64_e32 v[48:49], v[24:25], v[60:61]
	v_mul_f64_e32 v[24:25], v[30:31], v[28:29]
	v_fma_f64 v[22:23], v[30:31], v[26:27], -v[22:23]
	s_delay_alu instid0(VALU_DEP_2) | instskip(NEXT) | instid1(VALU_DEP_2)
	v_fmac_f64_e32 v[24:25], v[32:33], v[26:27]
	v_add_f64_e32 v[36:37], v[36:37], v[22:23]
	s_delay_alu instid0(VALU_DEP_2) | instskip(SKIP_4) | instid1(VALU_DEP_2)
	v_add_f64_e32 v[34:35], v[24:25], v[34:35]
	ds_load_b128 v[22:25], v40 offset:1024
	s_wait_dscnt 0x0
	v_mul_f64_e32 v[26:27], v[52:53], v[24:25]
	v_mul_f64_e32 v[28:29], v[50:51], v[24:25]
	v_fma_f64 v[26:27], v[50:51], v[22:23], -v[26:27]
	s_delay_alu instid0(VALU_DEP_2) | instskip(NEXT) | instid1(VALU_DEP_2)
	v_fmac_f64_e32 v[28:29], v[52:53], v[22:23]
	v_add_f64_e32 v[2:3], v[2:3], v[26:27]
	s_delay_alu instid0(VALU_DEP_2) | instskip(SKIP_4) | instid1(VALU_DEP_2)
	v_add_f64_e32 v[58:59], v[28:29], v[62:63]
	ds_load_b128 v[26:29], v40 offset:1280
	s_wait_dscnt 0x0
	v_mul_f64_e32 v[30:31], v[52:53], v[28:29]
	v_mul_f64_e32 v[32:33], v[50:51], v[28:29]
	v_fma_f64 v[30:31], v[50:51], v[26:27], -v[30:31]
	s_delay_alu instid0(VALU_DEP_2) | instskip(NEXT) | instid1(VALU_DEP_2)
	v_fmac_f64_e32 v[32:33], v[52:53], v[26:27]
	v_add_f64_e32 v[44:45], v[44:45], v[30:31]
	s_delay_alu instid0(VALU_DEP_2) | instskip(SKIP_4) | instid1(VALU_DEP_2)
	v_add_f64_e32 v[42:43], v[32:33], v[42:43]
	ds_load_b128 v[30:33], v41 offset:2080
	s_wait_dscnt 0x0
	v_mul_f64_e32 v[50:51], v[32:33], v[24:25]
	v_mul_f64_e32 v[24:25], v[30:31], v[24:25]
	v_fma_f64 v[50:51], v[30:31], v[22:23], -v[50:51]
	s_delay_alu instid0(VALU_DEP_2) | instskip(SKIP_1) | instid1(VALU_DEP_3)
	v_fmac_f64_e32 v[24:25], v[32:33], v[22:23]
	v_mul_f64_e32 v[22:23], v[32:33], v[28:29]
	v_add_f64_e32 v[46:47], v[46:47], v[50:51]
	s_delay_alu instid0(VALU_DEP_3) | instskip(SKIP_1) | instid1(VALU_DEP_4)
	v_add_f64_e32 v[48:49], v[24:25], v[48:49]
	v_mul_f64_e32 v[24:25], v[30:31], v[28:29]
	v_fma_f64 v[22:23], v[30:31], v[26:27], -v[22:23]
	s_delay_alu instid0(VALU_DEP_2) | instskip(NEXT) | instid1(VALU_DEP_2)
	v_fmac_f64_e32 v[24:25], v[32:33], v[26:27]
	v_add_f64_e32 v[36:37], v[36:37], v[22:23]
	s_delay_alu instid0(VALU_DEP_2) | instskip(SKIP_4) | instid1(VALU_DEP_2)
	v_add_f64_e32 v[34:35], v[24:25], v[34:35]
	ds_load_b128 v[22:25], v40 offset:1536
	s_wait_dscnt 0x0
	v_mul_f64_e32 v[26:27], v[56:57], v[24:25]
	v_mul_f64_e32 v[28:29], v[54:55], v[24:25]
	v_fma_f64 v[26:27], v[54:55], v[22:23], -v[26:27]
	s_delay_alu instid0(VALU_DEP_2) | instskip(NEXT) | instid1(VALU_DEP_2)
	v_fmac_f64_e32 v[28:29], v[56:57], v[22:23]
	v_add_f64_e32 v[2:3], v[2:3], v[26:27]
	s_delay_alu instid0(VALU_DEP_2) | instskip(SKIP_4) | instid1(VALU_DEP_2)
	v_add_f64_e32 v[50:51], v[28:29], v[58:59]
	ds_load_b128 v[26:29], v40 offset:1792
	s_wait_dscnt 0x0
	v_mul_f64_e32 v[30:31], v[56:57], v[28:29]
	;; [unrolled: 10-line block ×3, first 2 shown]
	v_mul_f64_e32 v[24:25], v[30:31], v[24:25]
	v_fma_f64 v[52:53], v[30:31], v[22:23], -v[52:53]
	s_delay_alu instid0(VALU_DEP_2) | instskip(SKIP_1) | instid1(VALU_DEP_3)
	v_fmac_f64_e32 v[24:25], v[32:33], v[22:23]
	v_mul_f64_e32 v[22:23], v[32:33], v[28:29]
	v_add_f64_e32 v[46:47], v[46:47], v[52:53]
	s_delay_alu instid0(VALU_DEP_3) | instskip(SKIP_1) | instid1(VALU_DEP_4)
	v_add_f64_e32 v[48:49], v[24:25], v[48:49]
	v_mul_f64_e32 v[24:25], v[30:31], v[28:29]
	v_fma_f64 v[22:23], v[30:31], v[26:27], -v[22:23]
	s_delay_alu instid0(VALU_DEP_2) | instskip(NEXT) | instid1(VALU_DEP_2)
	v_fmac_f64_e32 v[24:25], v[32:33], v[26:27]
	v_add_f64_e32 v[36:37], v[36:37], v[22:23]
	s_delay_alu instid0(VALU_DEP_2)
	v_add_f64_e32 v[34:35], v[24:25], v[34:35]
	ds_load_b128 v[22:25], v41 offset:64
	ds_load_b128 v[26:29], v40 offset:2048
	s_wait_dscnt 0x0
	v_mul_f64_e32 v[30:31], v[24:25], v[28:29]
	v_mul_f64_e32 v[32:33], v[22:23], v[28:29]
	s_delay_alu instid0(VALU_DEP_2) | instskip(NEXT) | instid1(VALU_DEP_2)
	v_fma_f64 v[30:31], v[22:23], v[26:27], -v[30:31]
	v_fmac_f64_e32 v[32:33], v[24:25], v[26:27]
	s_delay_alu instid0(VALU_DEP_2) | instskip(NEXT) | instid1(VALU_DEP_2)
	v_add_f64_e32 v[2:3], v[2:3], v[30:31]
	v_add_f64_e32 v[50:51], v[32:33], v[50:51]
	ds_load_b128 v[30:33], v40 offset:2304
	s_wait_dscnt 0x0
	v_mul_f64_e32 v[52:53], v[24:25], v[32:33]
	s_delay_alu instid0(VALU_DEP_1) | instskip(SKIP_1) | instid1(VALU_DEP_2)
	v_fma_f64 v[52:53], v[22:23], v[30:31], -v[52:53]
	v_mul_f64_e32 v[22:23], v[22:23], v[32:33]
	v_add_f64_e32 v[44:45], v[44:45], v[52:53]
	s_delay_alu instid0(VALU_DEP_2) | instskip(NEXT) | instid1(VALU_DEP_1)
	v_fmac_f64_e32 v[22:23], v[24:25], v[30:31]
	v_add_f64_e32 v[42:43], v[22:23], v[42:43]
	ds_load_b128 v[22:25], v41 offset:2112
	s_wait_dscnt 0x0
	v_mul_f64_e32 v[52:53], v[24:25], v[28:29]
	v_mul_f64_e32 v[28:29], v[22:23], v[28:29]
	s_delay_alu instid0(VALU_DEP_2) | instskip(NEXT) | instid1(VALU_DEP_2)
	v_fma_f64 v[52:53], v[22:23], v[26:27], -v[52:53]
	v_fmac_f64_e32 v[28:29], v[24:25], v[26:27]
	v_mul_f64_e32 v[26:27], v[24:25], v[32:33]
	s_delay_alu instid0(VALU_DEP_3) | instskip(NEXT) | instid1(VALU_DEP_3)
	v_add_f64_e32 v[46:47], v[46:47], v[52:53]
	v_add_f64_e32 v[48:49], v[28:29], v[48:49]
	s_delay_alu instid0(VALU_DEP_3) | instskip(SKIP_1) | instid1(VALU_DEP_2)
	v_fma_f64 v[26:27], v[22:23], v[30:31], -v[26:27]
	v_mul_f64_e32 v[22:23], v[22:23], v[32:33]
	v_add_f64_e32 v[36:37], v[36:37], v[26:27]
	s_delay_alu instid0(VALU_DEP_2) | instskip(NEXT) | instid1(VALU_DEP_1)
	v_fmac_f64_e32 v[22:23], v[24:25], v[30:31]
	v_add_f64_e32 v[34:35], v[22:23], v[34:35]
	ds_load_b128 v[22:25], v41 offset:80
	ds_load_b128 v[26:29], v40 offset:2560
	s_wait_dscnt 0x0
	v_mul_f64_e32 v[30:31], v[24:25], v[28:29]
	v_mul_f64_e32 v[32:33], v[22:23], v[28:29]
	s_delay_alu instid0(VALU_DEP_2) | instskip(NEXT) | instid1(VALU_DEP_2)
	v_fma_f64 v[30:31], v[22:23], v[26:27], -v[30:31]
	v_fmac_f64_e32 v[32:33], v[24:25], v[26:27]
	s_delay_alu instid0(VALU_DEP_2) | instskip(NEXT) | instid1(VALU_DEP_2)
	v_add_f64_e32 v[2:3], v[2:3], v[30:31]
	v_add_f64_e32 v[50:51], v[32:33], v[50:51]
	ds_load_b128 v[30:33], v40 offset:2816
	s_wait_dscnt 0x0
	v_mul_f64_e32 v[52:53], v[24:25], v[32:33]
	s_delay_alu instid0(VALU_DEP_1) | instskip(SKIP_1) | instid1(VALU_DEP_2)
	v_fma_f64 v[52:53], v[22:23], v[30:31], -v[52:53]
	v_mul_f64_e32 v[22:23], v[22:23], v[32:33]
	v_add_f64_e32 v[44:45], v[44:45], v[52:53]
	s_delay_alu instid0(VALU_DEP_2) | instskip(NEXT) | instid1(VALU_DEP_1)
	v_fmac_f64_e32 v[22:23], v[24:25], v[30:31]
	v_add_f64_e32 v[42:43], v[22:23], v[42:43]
	ds_load_b128 v[22:25], v41 offset:2128
	s_wait_dscnt 0x0
	v_mul_f64_e32 v[52:53], v[24:25], v[28:29]
	v_mul_f64_e32 v[28:29], v[22:23], v[28:29]
	s_delay_alu instid0(VALU_DEP_2) | instskip(NEXT) | instid1(VALU_DEP_2)
	v_fma_f64 v[52:53], v[22:23], v[26:27], -v[52:53]
	v_fmac_f64_e32 v[28:29], v[24:25], v[26:27]
	v_mul_f64_e32 v[26:27], v[24:25], v[32:33]
	s_delay_alu instid0(VALU_DEP_3) | instskip(NEXT) | instid1(VALU_DEP_3)
	v_add_f64_e32 v[46:47], v[46:47], v[52:53]
	v_add_f64_e32 v[48:49], v[28:29], v[48:49]
	s_delay_alu instid0(VALU_DEP_3) | instskip(SKIP_1) | instid1(VALU_DEP_2)
	v_fma_f64 v[26:27], v[22:23], v[30:31], -v[26:27]
	v_mul_f64_e32 v[22:23], v[22:23], v[32:33]
	v_add_f64_e32 v[36:37], v[36:37], v[26:27]
	s_delay_alu instid0(VALU_DEP_2) | instskip(NEXT) | instid1(VALU_DEP_1)
	v_fmac_f64_e32 v[22:23], v[24:25], v[30:31]
	;; [unrolled: 39-line block ×3, first 2 shown]
	v_add_f64_e32 v[54:55], v[22:23], v[34:35]
	ds_load_b128 v[22:25], v41 offset:112
	ds_load_b128 v[26:29], v40 offset:3584
	;; [unrolled: 1-line block ×3, first 2 shown]
	s_wait_dscnt 0x1
	v_mul_f64_e32 v[30:31], v[24:25], v[28:29]
	v_mul_f64_e32 v[32:33], v[22:23], v[28:29]
	s_delay_alu instid0(VALU_DEP_2) | instskip(NEXT) | instid1(VALU_DEP_2)
	v_fma_f64 v[30:31], v[22:23], v[26:27], -v[30:31]
	v_fmac_f64_e32 v[32:33], v[24:25], v[26:27]
	s_delay_alu instid0(VALU_DEP_2) | instskip(NEXT) | instid1(VALU_DEP_2)
	v_add_f64_e32 v[30:31], v[2:3], v[30:31]
	v_add_f64_e32 v[32:33], v[32:33], v[50:51]
	s_wait_dscnt 0x0
	v_mul_f64_e32 v[2:3], v[24:25], v[36:37]
	v_mul_f64_e32 v[50:51], v[22:23], v[36:37]
	s_delay_alu instid0(VALU_DEP_2) | instskip(NEXT) | instid1(VALU_DEP_2)
	v_fma_f64 v[2:3], v[22:23], v[34:35], -v[2:3]
	v_fmac_f64_e32 v[50:51], v[24:25], v[34:35]
	s_delay_alu instid0(VALU_DEP_2) | instskip(NEXT) | instid1(VALU_DEP_2)
	v_add_f64_e32 v[22:23], v[44:45], v[2:3]
	v_add_f64_e32 v[24:25], v[50:51], v[42:43]
	ds_load_b128 v[42:45], v41 offset:2160
	s_wait_dscnt 0x0
	s_barrier_signal -1
	s_barrier_wait -1
	v_mul_f64_e32 v[2:3], v[44:45], v[28:29]
	v_mul_f64_e32 v[28:29], v[42:43], v[28:29]
	s_delay_alu instid0(VALU_DEP_2) | instskip(NEXT) | instid1(VALU_DEP_2)
	v_fma_f64 v[2:3], v[42:43], v[26:27], -v[2:3]
	v_fmac_f64_e32 v[28:29], v[44:45], v[26:27]
	s_delay_alu instid0(VALU_DEP_2) | instskip(SKIP_1) | instid1(VALU_DEP_3)
	v_add_f64_e32 v[26:27], v[46:47], v[2:3]
	v_mul_f64_e32 v[2:3], v[44:45], v[36:37]
	v_add_f64_e32 v[28:29], v[28:29], v[48:49]
	s_delay_alu instid0(VALU_DEP_2) | instskip(SKIP_1) | instid1(VALU_DEP_2)
	v_fma_f64 v[2:3], v[42:43], v[34:35], -v[2:3]
	v_mul_f64_e32 v[42:43], v[42:43], v[36:37]
	v_add_f64_e32 v[36:37], v[52:53], v[2:3]
	s_delay_alu instid0(VALU_DEP_2) | instskip(NEXT) | instid1(VALU_DEP_1)
	v_fmac_f64_e32 v[42:43], v[44:45], v[34:35]
	v_add_f64_e32 v[34:35], v[42:43], v[54:55]
	s_cbranch_scc0 .LBB121_18
.LBB121_10:                             ;   Parent Loop BB121_7 Depth=1
                                        ; =>  This Inner Loop Header: Depth=2
	v_add_nc_u32_e32 v1, s0, v38
	s_delay_alu instid0(VALU_DEP_1) | instskip(SKIP_1) | instid1(SALU_CYCLE_1)
	v_cmp_le_i32_e32 vcc_lo, s19, v1
	s_or_b32 s1, s17, vcc_lo
	s_and_saveexec_b32 s21, s1
	s_delay_alu instid0(SALU_CYCLE_1)
	s_xor_b32 s1, exec_lo, s21
; %bb.11:                               ;   in Loop: Header=BB121_10 Depth=2
	v_dual_mov_b32 v1, v0 :: v_dual_mov_b32 v2, v0
	v_mov_b32_e32 v3, v0
	ds_store_b128 v7, v[0:3]
; %bb.12:                               ;   in Loop: Header=BB121_10 Depth=2
	s_and_not1_saveexec_b32 s1, s1
	s_cbranch_execz .LBB121_14
; %bb.13:                               ;   in Loop: Header=BB121_10 Depth=2
	global_load_b128 v[42:45], v[4:5], off
	s_wait_loadcnt 0x0
	ds_store_2addr_b64 v7, v[42:43], v[44:45] offset1:1
.LBB121_14:                             ;   in Loop: Header=BB121_10 Depth=2
	s_wait_xcnt 0x0
	s_or_b32 exec_lo, exec_lo, s1
	v_add_nc_u32_e32 v1, s0, v6
	s_delay_alu instid0(VALU_DEP_1) | instskip(SKIP_1) | instid1(SALU_CYCLE_1)
	v_cmp_le_i32_e32 vcc_lo, s19, v1
	s_or_b32 s1, vcc_lo, s20
	s_and_saveexec_b32 s21, s1
	s_delay_alu instid0(SALU_CYCLE_1)
	s_xor_b32 s1, exec_lo, s21
; %bb.15:                               ;   in Loop: Header=BB121_10 Depth=2
	v_dual_mov_b32 v1, v0 :: v_dual_mov_b32 v2, v0
	v_mov_b32_e32 v3, v0
	ds_store_b128 v39, v[0:3]
; %bb.16:                               ;   in Loop: Header=BB121_10 Depth=2
	s_and_not1_saveexec_b32 s1, s1
	s_cbranch_execz .LBB121_9
; %bb.17:                               ;   in Loop: Header=BB121_10 Depth=2
	global_load_b128 v[42:45], v[20:21], off
	s_wait_loadcnt 0x0
	ds_store_2addr_b64 v39, v[42:43], v[44:45] offset1:1
	s_branch .LBB121_9
.LBB121_18:                             ;   in Loop: Header=BB121_7 Depth=1
	s_mul_u64 s[0:1], s[30:31], s[28:29]
	s_delay_alu instid0(SALU_CYCLE_1) | instskip(NEXT) | instid1(SALU_CYCLE_1)
	s_lshl_b64 s[0:1], s[0:1], 4
	s_add_nc_u64 s[0:1], s[24:25], s[0:1]
	s_delay_alu instid0(SALU_CYCLE_1)
	v_lshl_add_u64 v[20:21], v[10:11], 4, s[0:1]
	s_and_saveexec_b32 s21, s33
	s_cbranch_execz .LBB121_23
; %bb.19:                               ;   in Loop: Header=BB121_7 Depth=1
	v_mul_f64_e32 v[2:3], s[14:15], v[32:33]
	v_mul_f64_e32 v[4:5], s[12:13], v[32:33]
	s_and_b32 vcc_lo, exec_lo, s26
	s_mov_b32 s22, -1
	s_delay_alu instid0(VALU_DEP_2) | instskip(NEXT) | instid1(VALU_DEP_2)
	v_fma_f64 v[2:3], s[12:13], v[30:31], -v[2:3]
	v_fmac_f64_e32 v[4:5], s[14:15], v[30:31]
	v_lshl_add_u64 v[30:31], v[8:9], 4, v[20:21]
	s_cbranch_vccz .LBB121_21
; %bb.20:                               ;   in Loop: Header=BB121_7 Depth=1
	global_load_b128 v[42:45], v[30:31], off
	s_mov_b32 s22, 0
	s_wait_loadcnt 0x0
	v_mul_f64_e32 v[32:33], s[10:11], v[44:45]
	v_mul_f64_e32 v[44:45], s[8:9], v[44:45]
	s_delay_alu instid0(VALU_DEP_2) | instskip(NEXT) | instid1(VALU_DEP_2)
	v_fma_f64 v[32:33], s[8:9], v[42:43], -v[32:33]
	v_fmac_f64_e32 v[44:45], s[10:11], v[42:43]
	s_delay_alu instid0(VALU_DEP_2) | instskip(NEXT) | instid1(VALU_DEP_2)
	v_add_f64_e32 v[42:43], v[2:3], v[32:33]
	v_add_f64_e32 v[44:45], v[4:5], v[44:45]
	global_store_b128 v[30:31], v[42:45], off
.LBB121_21:                             ;   in Loop: Header=BB121_7 Depth=1
	s_and_not1_b32 vcc_lo, exec_lo, s22
	s_cbranch_vccnz .LBB121_23
; %bb.22:                               ;   in Loop: Header=BB121_7 Depth=1
	global_store_b128 v[30:31], v[2:5], off
.LBB121_23:                             ;   in Loop: Header=BB121_7 Depth=1
	s_wait_xcnt 0x0
	s_or_b32 exec_lo, exec_lo, s21
	s_and_saveexec_b32 s21, s18
	s_cbranch_execz .LBB121_28
; %bb.24:                               ;   in Loop: Header=BB121_7 Depth=1
	v_mul_f64_e32 v[2:3], s[14:15], v[24:25]
	v_mul_f64_e32 v[4:5], s[12:13], v[24:25]
	v_lshl_add_u64 v[20:21], v[14:15], 4, v[20:21]
	s_and_not1_b32 vcc_lo, exec_lo, s26
	s_mov_b32 s22, -1
	s_delay_alu instid0(VALU_DEP_3) | instskip(NEXT) | instid1(VALU_DEP_3)
	v_fma_f64 v[2:3], s[12:13], v[22:23], -v[2:3]
	v_fmac_f64_e32 v[4:5], s[14:15], v[22:23]
	s_cbranch_vccnz .LBB121_26
; %bb.25:                               ;   in Loop: Header=BB121_7 Depth=1
	global_load_b128 v[22:25], v[20:21], off
	s_mov_b32 s22, 0
	s_wait_loadcnt 0x0
	v_mul_f64_e32 v[30:31], s[10:11], v[24:25]
	v_mul_f64_e32 v[24:25], s[8:9], v[24:25]
	s_delay_alu instid0(VALU_DEP_2) | instskip(NEXT) | instid1(VALU_DEP_2)
	v_fma_f64 v[30:31], s[8:9], v[22:23], -v[30:31]
	v_fmac_f64_e32 v[24:25], s[10:11], v[22:23]
	s_delay_alu instid0(VALU_DEP_2) | instskip(NEXT) | instid1(VALU_DEP_2)
	v_add_f64_e32 v[22:23], v[2:3], v[30:31]
	v_add_f64_e32 v[24:25], v[4:5], v[24:25]
	global_store_b128 v[20:21], v[22:25], off
.LBB121_26:                             ;   in Loop: Header=BB121_7 Depth=1
	s_and_not1_b32 vcc_lo, exec_lo, s22
	s_cbranch_vccnz .LBB121_28
; %bb.27:                               ;   in Loop: Header=BB121_7 Depth=1
	global_store_b128 v[20:21], v[2:5], off
.LBB121_28:                             ;   in Loop: Header=BB121_7 Depth=1
	s_wait_xcnt 0x0
	s_or_b32 exec_lo, exec_lo, s21
	v_lshl_add_u64 v[20:21], v[12:13], 4, s[0:1]
	s_and_saveexec_b32 s0, s36
	s_cbranch_execz .LBB121_33
; %bb.29:                               ;   in Loop: Header=BB121_7 Depth=1
	v_mul_f64_e32 v[2:3], s[14:15], v[28:29]
	v_mul_f64_e32 v[4:5], s[12:13], v[28:29]
	v_lshl_add_u64 v[22:23], v[8:9], 4, v[20:21]
	s_and_not1_b32 vcc_lo, exec_lo, s26
	s_mov_b32 s1, -1
	s_delay_alu instid0(VALU_DEP_3) | instskip(NEXT) | instid1(VALU_DEP_3)
	v_fma_f64 v[2:3], s[12:13], v[26:27], -v[2:3]
	v_fmac_f64_e32 v[4:5], s[14:15], v[26:27]
	s_cbranch_vccnz .LBB121_31
; %bb.30:                               ;   in Loop: Header=BB121_7 Depth=1
	global_load_b128 v[24:27], v[22:23], off
	s_mov_b32 s1, 0
	s_wait_loadcnt 0x0
	v_mul_f64_e32 v[28:29], s[10:11], v[26:27]
	v_mul_f64_e32 v[26:27], s[8:9], v[26:27]
	s_delay_alu instid0(VALU_DEP_2) | instskip(NEXT) | instid1(VALU_DEP_2)
	v_fma_f64 v[28:29], s[8:9], v[24:25], -v[28:29]
	v_fmac_f64_e32 v[26:27], s[10:11], v[24:25]
	s_delay_alu instid0(VALU_DEP_2) | instskip(NEXT) | instid1(VALU_DEP_2)
	v_add_f64_e32 v[24:25], v[2:3], v[28:29]
	v_add_f64_e32 v[26:27], v[4:5], v[26:27]
	global_store_b128 v[22:23], v[24:27], off
.LBB121_31:                             ;   in Loop: Header=BB121_7 Depth=1
	s_and_not1_b32 vcc_lo, exec_lo, s1
	s_cbranch_vccnz .LBB121_33
; %bb.32:                               ;   in Loop: Header=BB121_7 Depth=1
	global_store_b128 v[22:23], v[2:5], off
.LBB121_33:                             ;   in Loop: Header=BB121_7 Depth=1
	s_wait_xcnt 0x0
	s_or_b32 exec_lo, exec_lo, s0
	s_and_saveexec_b32 s0, s37
	s_cbranch_execz .LBB121_6
; %bb.34:                               ;   in Loop: Header=BB121_7 Depth=1
	s_delay_alu instid0(VALU_DEP_3) | instskip(SKIP_4) | instid1(VALU_DEP_3)
	v_mul_f64_e32 v[2:3], s[14:15], v[34:35]
	v_mul_f64_e32 v[4:5], s[12:13], v[34:35]
	v_lshl_add_u64 v[20:21], v[14:15], 4, v[20:21]
	s_and_not1_b32 vcc_lo, exec_lo, s26
	s_mov_b32 s1, -1
	v_fma_f64 v[2:3], s[12:13], v[36:37], -v[2:3]
	s_delay_alu instid0(VALU_DEP_3)
	v_fmac_f64_e32 v[4:5], s[14:15], v[36:37]
	s_cbranch_vccnz .LBB121_36
; %bb.35:                               ;   in Loop: Header=BB121_7 Depth=1
	global_load_b128 v[22:25], v[20:21], off
	s_mov_b32 s1, 0
	s_wait_loadcnt 0x0
	v_mul_f64_e32 v[26:27], s[10:11], v[24:25]
	v_mul_f64_e32 v[24:25], s[8:9], v[24:25]
	s_delay_alu instid0(VALU_DEP_2) | instskip(NEXT) | instid1(VALU_DEP_2)
	v_fma_f64 v[26:27], s[8:9], v[22:23], -v[26:27]
	v_fmac_f64_e32 v[24:25], s[10:11], v[22:23]
	s_delay_alu instid0(VALU_DEP_2) | instskip(NEXT) | instid1(VALU_DEP_2)
	v_add_f64_e32 v[22:23], v[2:3], v[26:27]
	v_add_f64_e32 v[24:25], v[4:5], v[24:25]
	global_store_b128 v[20:21], v[22:25], off
.LBB121_36:                             ;   in Loop: Header=BB121_7 Depth=1
	s_and_not1_b32 vcc_lo, exec_lo, s1
	s_cbranch_vccnz .LBB121_6
; %bb.37:                               ;   in Loop: Header=BB121_7 Depth=1
	global_store_b128 v[20:21], v[2:5], off
	s_branch .LBB121_6
.LBB121_38:
.LBB121_39:
	s_sendmsg sendmsg(MSG_DEALLOC_VGPRS)
	s_endpgm
	.section	.rodata,"a",@progbits
	.p2align	6, 0x0
	.amdhsa_kernel _ZL29rocblas_internal_gemmt_kernelIiLi16ELi32ELi8ELc84ELc84ELc76ELb0ELb0E19rocblas_complex_numIdEPKS1_S3_PS1_EviT_T9_T10_S5_lS7_S5_lS6_T11_S5_li
		.amdhsa_group_segment_fixed_size 8192
		.amdhsa_private_segment_fixed_size 0
		.amdhsa_kernarg_size 100
		.amdhsa_user_sgpr_count 2
		.amdhsa_user_sgpr_dispatch_ptr 0
		.amdhsa_user_sgpr_queue_ptr 0
		.amdhsa_user_sgpr_kernarg_segment_ptr 1
		.amdhsa_user_sgpr_dispatch_id 0
		.amdhsa_user_sgpr_kernarg_preload_length 0
		.amdhsa_user_sgpr_kernarg_preload_offset 0
		.amdhsa_user_sgpr_private_segment_size 0
		.amdhsa_wavefront_size32 1
		.amdhsa_uses_dynamic_stack 0
		.amdhsa_enable_private_segment 0
		.amdhsa_system_sgpr_workgroup_id_x 1
		.amdhsa_system_sgpr_workgroup_id_y 1
		.amdhsa_system_sgpr_workgroup_id_z 1
		.amdhsa_system_sgpr_workgroup_info 0
		.amdhsa_system_vgpr_workitem_id 1
		.amdhsa_next_free_vgpr 66
		.amdhsa_next_free_sgpr 41
		.amdhsa_named_barrier_count 0
		.amdhsa_reserve_vcc 1
		.amdhsa_float_round_mode_32 0
		.amdhsa_float_round_mode_16_64 0
		.amdhsa_float_denorm_mode_32 3
		.amdhsa_float_denorm_mode_16_64 3
		.amdhsa_fp16_overflow 0
		.amdhsa_memory_ordered 1
		.amdhsa_forward_progress 1
		.amdhsa_inst_pref_size 26
		.amdhsa_round_robin_scheduling 0
		.amdhsa_exception_fp_ieee_invalid_op 0
		.amdhsa_exception_fp_denorm_src 0
		.amdhsa_exception_fp_ieee_div_zero 0
		.amdhsa_exception_fp_ieee_overflow 0
		.amdhsa_exception_fp_ieee_underflow 0
		.amdhsa_exception_fp_ieee_inexact 0
		.amdhsa_exception_int_div_zero 0
	.end_amdhsa_kernel
	.section	.text._ZL29rocblas_internal_gemmt_kernelIiLi16ELi32ELi8ELc84ELc84ELc76ELb0ELb0E19rocblas_complex_numIdEPKS1_S3_PS1_EviT_T9_T10_S5_lS7_S5_lS6_T11_S5_li,"axG",@progbits,_ZL29rocblas_internal_gemmt_kernelIiLi16ELi32ELi8ELc84ELc84ELc76ELb0ELb0E19rocblas_complex_numIdEPKS1_S3_PS1_EviT_T9_T10_S5_lS7_S5_lS6_T11_S5_li,comdat
.Lfunc_end121:
	.size	_ZL29rocblas_internal_gemmt_kernelIiLi16ELi32ELi8ELc84ELc84ELc76ELb0ELb0E19rocblas_complex_numIdEPKS1_S3_PS1_EviT_T9_T10_S5_lS7_S5_lS6_T11_S5_li, .Lfunc_end121-_ZL29rocblas_internal_gemmt_kernelIiLi16ELi32ELi8ELc84ELc84ELc76ELb0ELb0E19rocblas_complex_numIdEPKS1_S3_PS1_EviT_T9_T10_S5_lS7_S5_lS6_T11_S5_li
                                        ; -- End function
	.set _ZL29rocblas_internal_gemmt_kernelIiLi16ELi32ELi8ELc84ELc84ELc76ELb0ELb0E19rocblas_complex_numIdEPKS1_S3_PS1_EviT_T9_T10_S5_lS7_S5_lS6_T11_S5_li.num_vgpr, 66
	.set _ZL29rocblas_internal_gemmt_kernelIiLi16ELi32ELi8ELc84ELc84ELc76ELb0ELb0E19rocblas_complex_numIdEPKS1_S3_PS1_EviT_T9_T10_S5_lS7_S5_lS6_T11_S5_li.num_agpr, 0
	.set _ZL29rocblas_internal_gemmt_kernelIiLi16ELi32ELi8ELc84ELc84ELc76ELb0ELb0E19rocblas_complex_numIdEPKS1_S3_PS1_EviT_T9_T10_S5_lS7_S5_lS6_T11_S5_li.numbered_sgpr, 41
	.set _ZL29rocblas_internal_gemmt_kernelIiLi16ELi32ELi8ELc84ELc84ELc76ELb0ELb0E19rocblas_complex_numIdEPKS1_S3_PS1_EviT_T9_T10_S5_lS7_S5_lS6_T11_S5_li.num_named_barrier, 0
	.set _ZL29rocblas_internal_gemmt_kernelIiLi16ELi32ELi8ELc84ELc84ELc76ELb0ELb0E19rocblas_complex_numIdEPKS1_S3_PS1_EviT_T9_T10_S5_lS7_S5_lS6_T11_S5_li.private_seg_size, 0
	.set _ZL29rocblas_internal_gemmt_kernelIiLi16ELi32ELi8ELc84ELc84ELc76ELb0ELb0E19rocblas_complex_numIdEPKS1_S3_PS1_EviT_T9_T10_S5_lS7_S5_lS6_T11_S5_li.uses_vcc, 1
	.set _ZL29rocblas_internal_gemmt_kernelIiLi16ELi32ELi8ELc84ELc84ELc76ELb0ELb0E19rocblas_complex_numIdEPKS1_S3_PS1_EviT_T9_T10_S5_lS7_S5_lS6_T11_S5_li.uses_flat_scratch, 0
	.set _ZL29rocblas_internal_gemmt_kernelIiLi16ELi32ELi8ELc84ELc84ELc76ELb0ELb0E19rocblas_complex_numIdEPKS1_S3_PS1_EviT_T9_T10_S5_lS7_S5_lS6_T11_S5_li.has_dyn_sized_stack, 0
	.set _ZL29rocblas_internal_gemmt_kernelIiLi16ELi32ELi8ELc84ELc84ELc76ELb0ELb0E19rocblas_complex_numIdEPKS1_S3_PS1_EviT_T9_T10_S5_lS7_S5_lS6_T11_S5_li.has_recursion, 0
	.set _ZL29rocblas_internal_gemmt_kernelIiLi16ELi32ELi8ELc84ELc84ELc76ELb0ELb0E19rocblas_complex_numIdEPKS1_S3_PS1_EviT_T9_T10_S5_lS7_S5_lS6_T11_S5_li.has_indirect_call, 0
	.section	.AMDGPU.csdata,"",@progbits
; Kernel info:
; codeLenInByte = 3256
; TotalNumSgprs: 43
; NumVgprs: 66
; ScratchSize: 0
; MemoryBound: 0
; FloatMode: 240
; IeeeMode: 1
; LDSByteSize: 8192 bytes/workgroup (compile time only)
; SGPRBlocks: 0
; VGPRBlocks: 4
; NumSGPRsForWavesPerEU: 43
; NumVGPRsForWavesPerEU: 66
; NamedBarCnt: 0
; Occupancy: 12
; WaveLimiterHint : 0
; COMPUTE_PGM_RSRC2:SCRATCH_EN: 0
; COMPUTE_PGM_RSRC2:USER_SGPR: 2
; COMPUTE_PGM_RSRC2:TRAP_HANDLER: 0
; COMPUTE_PGM_RSRC2:TGID_X_EN: 1
; COMPUTE_PGM_RSRC2:TGID_Y_EN: 1
; COMPUTE_PGM_RSRC2:TGID_Z_EN: 1
; COMPUTE_PGM_RSRC2:TIDIG_COMP_CNT: 1
	.section	.text._ZL29rocblas_internal_gemmt_kernelIiLi16ELi32ELi8ELc84ELc67ELc76ELb0ELb1E19rocblas_complex_numIdEPKS1_S3_PS1_EviT_T9_T10_S5_lS7_S5_lS6_T11_S5_li,"axG",@progbits,_ZL29rocblas_internal_gemmt_kernelIiLi16ELi32ELi8ELc84ELc67ELc76ELb0ELb1E19rocblas_complex_numIdEPKS1_S3_PS1_EviT_T9_T10_S5_lS7_S5_lS6_T11_S5_li,comdat
	.globl	_ZL29rocblas_internal_gemmt_kernelIiLi16ELi32ELi8ELc84ELc67ELc76ELb0ELb1E19rocblas_complex_numIdEPKS1_S3_PS1_EviT_T9_T10_S5_lS7_S5_lS6_T11_S5_li ; -- Begin function _ZL29rocblas_internal_gemmt_kernelIiLi16ELi32ELi8ELc84ELc67ELc76ELb0ELb1E19rocblas_complex_numIdEPKS1_S3_PS1_EviT_T9_T10_S5_lS7_S5_lS6_T11_S5_li
	.p2align	8
	.type	_ZL29rocblas_internal_gemmt_kernelIiLi16ELi32ELi8ELc84ELc67ELc76ELb0ELb1E19rocblas_complex_numIdEPKS1_S3_PS1_EviT_T9_T10_S5_lS7_S5_lS6_T11_S5_li,@function
_ZL29rocblas_internal_gemmt_kernelIiLi16ELi32ELi8ELc84ELc67ELc76ELb0ELb1E19rocblas_complex_numIdEPKS1_S3_PS1_EviT_T9_T10_S5_lS7_S5_lS6_T11_S5_li: ; @_ZL29rocblas_internal_gemmt_kernelIiLi16ELi32ELi8ELc84ELc67ELc76ELb0ELb1E19rocblas_complex_numIdEPKS1_S3_PS1_EviT_T9_T10_S5_lS7_S5_lS6_T11_S5_li
; %bb.0:
	s_load_b128 s[16:19], s[0:1], 0x38
	s_wait_kmcnt 0x0
	s_load_b128 s[8:11], s[18:19], 0x0
	s_load_b128 s[4:7], s[0:1], 0x8
	s_wait_xcnt 0x0
	s_load_b64 s[18:19], s[0:1], 0x0
	s_wait_kmcnt 0x0
	v_cmp_eq_f64_e64 s2, s[8:9], 1.0
	v_cmp_eq_f64_e64 s33, s[10:11], 0
	s_load_b128 s[12:15], s[4:5], 0x0
	s_and_b32 s2, s2, s33
	s_delay_alu instid0(SALU_CYCLE_1)
	s_and_not1_b32 vcc_lo, exec_lo, s2
	s_mov_b32 s2, -1
	s_cbranch_vccnz .LBB122_3
; %bb.1:
	s_cmp_lg_u32 s19, 0
	s_cbranch_scc0 .LBB122_36
; %bb.2:
	s_wait_kmcnt 0x0
	v_cmp_neq_f64_e64 s2, s[12:13], 0
	v_cmp_neq_f64_e64 s3, s[14:15], 0
	s_or_b32 s2, s2, s3
.LBB122_3:
	s_delay_alu instid0(SALU_CYCLE_1)
	s_and_b32 vcc_lo, exec_lo, s2
	s_cbranch_vccz .LBB122_37
; %bb.4:
	s_load_b32 s27, s[0:1], 0x60
	s_bfe_u32 s2, ttmp6, 0x40014
	s_lshr_b32 s3, ttmp7, 16
	s_add_co_i32 s2, s2, 1
	s_wait_xcnt 0x0
	s_bfe_u32 s5, ttmp6, 0x40008
	s_mul_i32 s2, s3, s2
	s_getreg_b32 s4, hwreg(HW_REG_IB_STS2, 6, 4)
	s_add_co_i32 s5, s5, s2
	s_cmp_eq_u32 s4, 0
	s_mov_b32 s29, 0
	s_cselect_b32 s28, s3, s5
	s_wait_kmcnt 0x0
	s_cmp_ge_u32 s28, s27
	s_cbranch_scc1 .LBB122_37
; %bb.5:
	s_clause 0x3
	s_load_b32 s2, s[0:1], 0x18
	s_load_b32 s34, s[0:1], 0x30
	s_load_b96 s[24:26], s[0:1], 0x48
	s_load_b128 s[20:23], s[0:1], 0x20
	v_and_b32_e32 v1, 0x3ff, v0
	v_bfe_u32 v9, v0, 10, 10
	s_load_b64 s[30:31], s[0:1], 0x58
	s_wait_xcnt 0x0
	s_bfe_u32 s1, ttmp6, 0x4000c
	s_bfe_u32 s3, ttmp6, 0x40010
	s_and_b32 s38, ttmp7, 0xffff
	s_add_co_i32 s1, s1, 1
	s_add_co_i32 s39, s3, 1
	v_lshl_add_u32 v2, v9, 4, v1
	s_and_b32 s0, ttmp6, 15
	s_mul_i32 s1, ttmp9, s1
	s_mul_i32 s39, s38, s39
	s_bfe_u32 s40, ttmp6, 0x40004
	s_add_co_i32 s0, s0, s1
	s_add_co_i32 s40, s40, s39
	v_dual_lshrrev_b32 v40, 5, v2 :: v_dual_bitop2_b32 v6, 7, v0 bitop3:0x40
	s_wait_kmcnt 0x0
	s_ashr_i32 s3, s2, 31
	s_ashr_i32 s35, s34, 31
	;; [unrolled: 1-line block ×3, first 2 shown]
	s_cmp_eq_u32 s4, 0
	v_dual_mov_b32 v0, 0 :: v_dual_bitop2_b32 v5, 31, v2 bitop3:0x40
	s_cselect_b32 s0, ttmp9, s0
	s_cselect_b32 s1, s38, s40
	s_lshl_b32 s38, s0, 5
	s_delay_alu instid0(VALU_DEP_1) | instid1(SALU_CYCLE_1)
	v_dual_lshrrev_b32 v8, 3, v2 :: v_dual_bitop2_b32 v2, s38, v5 bitop3:0x54
	s_lshl_b32 s0, s1, 5
	v_mov_b32_e32 v7, v0
	v_cmp_neq_f64_e64 s36, s[12:13], 0
	v_cmp_neq_f64_e64 s37, s[14:15], 0
	v_dual_add_nc_u32 v4, s0, v8 :: v_dual_ashrrev_i32 v3, 31, v2
	v_add_nc_u32_e32 v18, s0, v9
	v_mul_u64_e32 v[16:17], s[34:35], v[6:7]
	v_lshlrev_b32_e32 v7, 4, v6
	v_cmp_gt_i32_e32 vcc_lo, s18, v2
	v_mul_u64_e32 v[20:21], s[2:3], v[2:3]
	v_dual_lshlrev_b32 v3, 4, v5 :: v_dual_add_nc_u32 v2, 16, v18
	v_ashrrev_i32_e32 v19, 31, v18
	v_cmp_neq_f64_e64 s39, s[8:9], 0
	v_lshl_or_b32 v5, v8, 7, v7
	s_delay_alu instid0(VALU_DEP_4)
	v_lshl_or_b32 v7, v40, 9, v3
	v_ashrrev_i32_e32 v3, 31, v2
	s_mov_b32 s4, s26
	v_dual_add_nc_u32 v8, s38, v1 :: v_dual_lshlrev_b32 v42, 4, v1
	v_add_nc_u32_e32 v41, 0x1000, v5
	v_ashrrev_i32_e32 v5, 31, v4
	v_mul_u64_e32 v[10:11], s[4:5], v[18:19]
	v_mul_u64_e32 v[12:13], s[4:5], v[2:3]
	v_cmp_gt_i32_e64 s0, s18, v4
	v_cmp_le_i32_e64 s1, v18, v8
	v_lshlrev_b64_e32 v[4:5], 4, v[4:5]
	v_cmp_gt_i32_e64 s2, s18, v8
	v_add_nc_u32_e32 v14, 16, v8
	v_lshl_add_u32 v43, v9, 7, 0x1000
	v_dual_ashrrev_i32 v9, 31, v8 :: v_dual_mov_b32 v19, v0
	v_cmp_le_i32_e64 s4, v2, v8
	s_delay_alu instid0(VALU_DEP_4)
	v_cmp_le_i32_e64 s5, v2, v14
	s_or_b32 s36, s36, s37
	s_cmp_gt_i32 s19, 0
	v_ashrrev_i32_e32 v15, 31, v14
	s_cselect_b32 s37, -1, 0
	v_lshl_add_u64 v[4:5], v[16:17], 4, v[4:5]
	s_xor_b32 s3, s33, -1
	s_and_b32 s33, s1, s2
	v_cmp_le_i32_e64 s1, v18, v14
	v_lshlrev_b32_e32 v18, 4, v40
	v_add_nc_u64_e32 v[4:5], s[22:23], v[4:5]
	s_or_b32 s26, s39, s3
	v_cmp_gt_i32_e64 s3, s18, v14
	s_delay_alu instid0(VALU_DEP_3) | instskip(SKIP_3) | instid1(VALU_DEP_2)
	v_lshl_add_u64 v[2:3], v[20:21], 4, v[18:19]
	s_and_b32 s18, s4, s2
	v_add_nc_u64_e32 v[18:19], 8, v[4:5]
	s_and_b32 s1, s1, s3
	v_add_nc_u64_e32 v[16:17], s[6:7], v[2:3]
	s_and_b32 s22, s5, s3
	s_lshl_b64 s[2:3], s[20:21], 4
	s_and_b32 s20, s36, s37
	s_lshl_b64 s[4:5], s[16:17], 4
	s_lshl_b64 s[6:7], s[34:35], 7
	s_xor_b32 s21, vcc_lo, -1
	s_branch .LBB122_7
.LBB122_6:                              ;   in Loop: Header=BB122_7 Depth=1
	s_wait_xcnt 0x0
	s_or_b32 exec_lo, exec_lo, s16
	s_add_co_i32 s28, s28, 0x10000
	s_delay_alu instid0(SALU_CYCLE_1)
	s_cmp_lt_u32 s28, s27
	s_cbranch_scc0 .LBB122_37
.LBB122_7:                              ; =>This Loop Header: Depth=1
                                        ;     Child Loop BB122_10 Depth 2
	v_mov_b64_e32 v[36:37], 0
	v_mov_b64_e32 v[38:39], 0
	;; [unrolled: 1-line block ×8, first 2 shown]
	s_and_not1_b32 vcc_lo, exec_lo, s20
	s_cbranch_vccnz .LBB122_16
; %bb.8:                                ;   in Loop: Header=BB122_7 Depth=1
	v_mad_nc_u64_u32 v[24:25], s2, s28, v[16:17]
	v_mad_nc_u64_u32 v[26:27], s4, s28, v[18:19]
	v_mov_b64_e32 v[20:21], 0
	v_mov_b64_e32 v[22:23], 0
	;; [unrolled: 1-line block ×8, first 2 shown]
	s_mov_b32 s16, 0
	v_mad_u32 v25, s3, s28, v25
	v_mad_u32 v27, s5, s28, v27
	s_branch .LBB122_10
.LBB122_9:                              ;   in Loop: Header=BB122_10 Depth=2
	s_wait_xcnt 0x0
	s_or_b32 exec_lo, exec_lo, s17
	ds_store_b128 v41, v[2:5]
	s_wait_dscnt 0x0
	s_barrier_signal -1
	s_barrier_wait -1
	ds_load_b128 v[2:5], v43
	ds_load_b128 v[44:47], v42
	ds_load_b128 v[48:51], v42 offset:256
	ds_load_b128 v[52:55], v43 offset:2048
	;; [unrolled: 1-line block ×10, first 2 shown]
	v_add_nc_u64_e32 v[24:25], 0x80, v[24:25]
	v_add_nc_u64_e32 v[26:27], s[6:7], v[26:27]
	s_add_co_i32 s16, s16, 8
	s_delay_alu instid0(SALU_CYCLE_1)
	s_cmp_lt_i32 s16, s19
	s_wait_dscnt 0xa
	v_mul_f64_e32 v[88:89], v[4:5], v[46:47]
	v_mul_f64_e32 v[90:91], v[2:3], v[46:47]
	s_wait_dscnt 0x9
	v_mul_f64_e32 v[92:93], v[4:5], v[50:51]
	v_mul_f64_e32 v[94:95], v[2:3], v[50:51]
	s_wait_dscnt 0x8
	v_mul_f64_e32 v[96:97], v[54:55], v[46:47]
	v_mul_f64_e32 v[98:99], v[52:53], v[46:47]
	v_mul_f64_e32 v[46:47], v[54:55], v[50:51]
	v_mul_f64_e32 v[100:101], v[52:53], v[50:51]
	s_wait_dscnt 0x6
	v_mul_f64_e32 v[102:103], v[58:59], v[62:63]
	v_mul_f64_e32 v[104:105], v[56:57], v[62:63]
	s_wait_dscnt 0x5
	v_mul_f64_e32 v[106:107], v[58:59], v[66:67]
	v_mul_f64_e32 v[108:109], v[56:57], v[66:67]
	s_wait_dscnt 0x4
	v_mul_f64_e32 v[110:111], v[70:71], v[62:63]
	v_mul_f64_e32 v[62:63], v[68:69], v[62:63]
	v_mul_f64_e32 v[112:113], v[70:71], v[66:67]
	v_mul_f64_e32 v[66:67], v[68:69], v[66:67]
	s_wait_dscnt 0x2
	v_mul_f64_e32 v[116:117], v[74:75], v[78:79]
	v_mul_f64_e32 v[118:119], v[72:73], v[78:79]
	s_wait_dscnt 0x1
	v_mul_f64_e32 v[120:121], v[74:75], v[82:83]
	v_mul_f64_e32 v[122:123], v[72:73], v[82:83]
	s_wait_dscnt 0x0
	v_mul_f64_e32 v[124:125], v[86:87], v[78:79]
	v_mul_f64_e32 v[78:79], v[84:85], v[78:79]
	v_mul_f64_e32 v[126:127], v[86:87], v[82:83]
	v_mul_f64_e32 v[82:83], v[84:85], v[82:83]
	v_fma_f64 v[88:89], v[2:3], v[44:45], -v[88:89]
	v_fmac_f64_e32 v[90:91], v[4:5], v[44:45]
	v_fma_f64 v[92:93], v[2:3], v[48:49], -v[92:93]
	v_fmac_f64_e32 v[94:95], v[4:5], v[48:49]
	v_fma_f64 v[96:97], v[52:53], v[44:45], -v[96:97]
	v_fmac_f64_e32 v[98:99], v[54:55], v[44:45]
	v_fma_f64 v[114:115], v[52:53], v[48:49], -v[46:47]
	v_fmac_f64_e32 v[100:101], v[54:55], v[48:49]
	v_fma_f64 v[102:103], v[56:57], v[60:61], -v[102:103]
	v_fmac_f64_e32 v[104:105], v[58:59], v[60:61]
	v_fma_f64 v[56:57], v[56:57], v[64:65], -v[106:107]
	v_fmac_f64_e32 v[108:109], v[58:59], v[64:65]
	v_fma_f64 v[58:59], v[68:69], v[60:61], -v[110:111]
	v_fmac_f64_e32 v[62:63], v[70:71], v[60:61]
	v_fma_f64 v[60:61], v[68:69], v[64:65], -v[112:113]
	v_fmac_f64_e32 v[66:67], v[70:71], v[64:65]
	ds_load_b128 v[2:5], v43 offset:48
	ds_load_b128 v[44:47], v43 offset:2096
	;; [unrolled: 1-line block ×4, first 2 shown]
	v_fma_f64 v[116:117], v[72:73], v[76:77], -v[116:117]
	v_fmac_f64_e32 v[118:119], v[74:75], v[76:77]
	v_fma_f64 v[72:73], v[72:73], v[80:81], -v[120:121]
	v_fmac_f64_e32 v[122:123], v[74:75], v[80:81]
	;; [unrolled: 2-line block ×4, first 2 shown]
	v_add_f64_e32 v[64:65], v[36:37], v[88:89]
	v_add_f64_e32 v[68:69], v[90:91], v[38:39]
	;; [unrolled: 1-line block ×8, first 2 shown]
	s_wait_dscnt 0x1
	v_mul_f64_e32 v[98:99], v[4:5], v[50:51]
	v_mul_f64_e32 v[100:101], v[2:3], v[50:51]
	s_wait_dscnt 0x0
	v_mul_f64_e32 v[106:107], v[4:5], v[54:55]
	v_mul_f64_e32 v[110:111], v[2:3], v[54:55]
	;; [unrolled: 1-line block ×6, first 2 shown]
	ds_load_b128 v[20:23], v43 offset:64
	ds_load_b128 v[28:31], v42 offset:2048
	;; [unrolled: 1-line block ×4, first 2 shown]
	v_add_f64_e32 v[80:81], v[64:65], v[102:103]
	v_add_f64_e32 v[84:85], v[104:105], v[68:69]
	v_add_f64_e32 v[70:71], v[70:71], v[56:57]
	v_add_f64_e32 v[86:87], v[108:109], v[88:89]
	v_add_f64_e32 v[88:89], v[90:91], v[58:59]
	v_add_f64_e32 v[90:91], v[62:63], v[92:93]
	v_add_f64_e32 v[92:93], v[94:95], v[60:61]
	v_add_f64_e32 v[94:95], v[66:67], v[96:97]
	s_wait_dscnt 0x2
	v_mul_f64_e32 v[96:97], v[22:23], v[30:31]
	v_mul_f64_e32 v[102:103], v[20:21], v[30:31]
	s_wait_dscnt 0x1
	v_mul_f64_e32 v[104:105], v[22:23], v[34:35]
	v_mul_f64_e32 v[108:109], v[20:21], v[34:35]
	;; [unrolled: 3-line block ×3, first 2 shown]
	v_mul_f64_e32 v[30:31], v[38:39], v[34:35]
	v_mul_f64_e32 v[126:127], v[36:37], v[34:35]
	v_fma_f64 v[34:35], v[2:3], v[48:49], -v[98:99]
	v_fmac_f64_e32 v[100:101], v[4:5], v[48:49]
	v_fma_f64 v[98:99], v[2:3], v[52:53], -v[106:107]
	v_fmac_f64_e32 v[110:111], v[4:5], v[52:53]
	;; [unrolled: 2-line block ×4, first 2 shown]
	ds_load_b128 v[54:57], v43 offset:80
	ds_load_b128 v[58:61], v43 offset:2128
	;; [unrolled: 1-line block ×4, first 2 shown]
	v_add_f64_e32 v[52:53], v[80:81], v[116:117]
	v_add_f64_e32 v[80:81], v[118:119], v[84:85]
	;; [unrolled: 1-line block ×8, first 2 shown]
	v_fma_f64 v[96:97], v[20:21], v[28:29], -v[96:97]
	v_fmac_f64_e32 v[102:103], v[22:23], v[28:29]
	v_fma_f64 v[104:105], v[20:21], v[32:33], -v[104:105]
	s_wait_dscnt 0x1
	v_mul_f64_e32 v[88:89], v[56:57], v[64:65]
	v_mul_f64_e32 v[90:91], v[54:55], v[64:65]
	s_wait_dscnt 0x0
	v_mul_f64_e32 v[92:93], v[56:57], v[68:69]
	v_mul_f64_e32 v[94:95], v[54:55], v[68:69]
	;; [unrolled: 1-line block ×6, first 2 shown]
	v_fmac_f64_e32 v[108:109], v[22:23], v[32:33]
	v_fma_f64 v[120:121], v[36:37], v[28:29], -v[120:121]
	v_fmac_f64_e32 v[124:125], v[38:39], v[28:29]
	v_fma_f64 v[122:123], v[36:37], v[32:33], -v[30:31]
	v_fmac_f64_e32 v[126:127], v[38:39], v[32:33]
	ds_load_b128 v[2:5], v43 offset:96
	ds_load_b128 v[44:47], v42 offset:3072
	;; [unrolled: 1-line block ×4, first 2 shown]
	v_add_f64_e32 v[52:53], v[52:53], v[34:35]
	v_add_f64_e32 v[80:81], v[100:101], v[80:81]
	;; [unrolled: 1-line block ×8, first 2 shown]
	ds_load_b128 v[20:23], v43 offset:112
	ds_load_b128 v[28:31], v43 offset:2160
	;; [unrolled: 1-line block ×4, first 2 shown]
	s_wait_dscnt 0x0
	v_mul_f64_e32 v[98:99], v[4:5], v[46:47]
	v_mul_f64_e32 v[100:101], v[2:3], v[46:47]
	;; [unrolled: 1-line block ×8, first 2 shown]
	v_fma_f64 v[88:89], v[54:55], v[62:63], -v[88:89]
	v_fmac_f64_e32 v[90:91], v[56:57], v[62:63]
	v_fma_f64 v[54:55], v[54:55], v[66:67], -v[92:93]
	v_fmac_f64_e32 v[94:95], v[56:57], v[66:67]
	;; [unrolled: 2-line block ×4, first 2 shown]
	s_barrier_signal -1
	s_barrier_wait -1
	v_mul_f64_e32 v[92:93], v[20:21], v[38:39]
	v_add_f64_e32 v[52:53], v[52:53], v[96:97]
	v_add_f64_e32 v[60:61], v[102:103], v[80:81]
	;; [unrolled: 1-line block ×8, first 2 shown]
	v_mul_f64_e32 v[82:83], v[22:23], v[34:35]
	v_mul_f64_e32 v[84:85], v[20:21], v[34:35]
	;; [unrolled: 1-line block ×7, first 2 shown]
	v_fma_f64 v[38:39], v[2:3], v[44:45], -v[98:99]
	v_fmac_f64_e32 v[100:101], v[4:5], v[44:45]
	v_fma_f64 v[2:3], v[2:3], v[48:49], -v[106:107]
	v_fmac_f64_e32 v[110:111], v[4:5], v[48:49]
	;; [unrolled: 2-line block ×4, first 2 shown]
	v_fmac_f64_e32 v[92:93], v[22:23], v[36:37]
	v_add_f64_e32 v[48:49], v[52:53], v[88:89]
	v_add_f64_e32 v[52:53], v[90:91], v[60:61]
	;; [unrolled: 1-line block ×8, first 2 shown]
	v_fma_f64 v[66:67], v[20:21], v[32:33], -v[82:83]
	v_fmac_f64_e32 v[84:85], v[22:23], v[32:33]
	v_fma_f64 v[20:21], v[20:21], v[36:37], -v[86:87]
	v_fma_f64 v[22:23], v[28:29], v[32:33], -v[96:97]
	v_fmac_f64_e32 v[102:103], v[30:31], v[32:33]
	v_fma_f64 v[68:69], v[28:29], v[36:37], -v[34:35]
	v_fmac_f64_e32 v[104:105], v[30:31], v[36:37]
	v_add_f64_e32 v[28:29], v[48:49], v[38:39]
	v_add_f64_e32 v[30:31], v[100:101], v[52:53]
	;; [unrolled: 1-line block ×16, first 2 shown]
	s_cbranch_scc0 .LBB122_16
.LBB122_10:                             ;   Parent Loop BB122_7 Depth=1
                                        ; =>  This Inner Loop Header: Depth=2
	v_add_nc_u32_e32 v1, s16, v40
	s_delay_alu instid0(VALU_DEP_1) | instskip(SKIP_1) | instid1(SALU_CYCLE_1)
	v_cmp_le_i32_e32 vcc_lo, s19, v1
	s_or_b32 s17, s21, vcc_lo
	s_and_saveexec_b32 s23, s17
	s_delay_alu instid0(SALU_CYCLE_1)
	s_xor_b32 s17, exec_lo, s23
; %bb.11:                               ;   in Loop: Header=BB122_10 Depth=2
	v_dual_mov_b32 v1, v0 :: v_dual_mov_b32 v2, v0
	v_mov_b32_e32 v3, v0
	ds_store_b128 v7, v[0:3]
; %bb.12:                               ;   in Loop: Header=BB122_10 Depth=2
	s_and_not1_saveexec_b32 s17, s17
	s_cbranch_execz .LBB122_14
; %bb.13:                               ;   in Loop: Header=BB122_10 Depth=2
	global_load_b128 v[2:5], v[24:25], off
	s_wait_loadcnt 0x0
	ds_store_2addr_b64 v7, v[2:3], v[4:5] offset1:1
.LBB122_14:                             ;   in Loop: Header=BB122_10 Depth=2
	s_wait_xcnt 0x0
	s_or_b32 exec_lo, exec_lo, s17
	v_add_nc_u32_e32 v1, s16, v6
	v_mov_b64_e32 v[2:3], 0
	v_mov_b64_e32 v[4:5], 0
	s_delay_alu instid0(VALU_DEP_3) | instskip(SKIP_1) | instid1(SALU_CYCLE_1)
	v_cmp_gt_i32_e32 vcc_lo, s19, v1
	s_and_b32 s23, vcc_lo, s0
	s_and_saveexec_b32 s17, s23
	s_cbranch_execz .LBB122_9
; %bb.15:                               ;   in Loop: Header=BB122_10 Depth=2
	global_load_b128 v[2:5], v[26:27], off offset:-8
	s_wait_loadcnt 0x0
	v_xor_b32_e32 v5, 0x80000000, v5
	s_branch .LBB122_9
.LBB122_16:                             ;   in Loop: Header=BB122_7 Depth=1
	s_mul_u64 s[16:17], s[30:31], s[28:29]
	s_delay_alu instid0(SALU_CYCLE_1) | instskip(NEXT) | instid1(SALU_CYCLE_1)
	s_lshl_b64 s[16:17], s[16:17], 4
	s_add_nc_u64 s[16:17], s[24:25], s[16:17]
	s_delay_alu instid0(SALU_CYCLE_1)
	v_lshl_add_u64 v[24:25], v[10:11], 4, s[16:17]
	s_and_saveexec_b32 s23, s33
	s_cbranch_execz .LBB122_21
; %bb.17:                               ;   in Loop: Header=BB122_7 Depth=1
	v_mul_f64_e32 v[2:3], s[14:15], v[38:39]
	v_mul_f64_e32 v[4:5], s[12:13], v[38:39]
	v_lshl_add_u64 v[26:27], v[8:9], 4, v[24:25]
	s_and_b32 vcc_lo, exec_lo, s26
	s_mov_b32 s34, -1
	s_delay_alu instid0(VALU_DEP_3) | instskip(NEXT) | instid1(VALU_DEP_3)
	v_fma_f64 v[2:3], s[12:13], v[36:37], -v[2:3]
	v_fmac_f64_e32 v[4:5], s[14:15], v[36:37]
	s_cbranch_vccz .LBB122_19
; %bb.18:                               ;   in Loop: Header=BB122_7 Depth=1
	global_load_b128 v[36:39], v[26:27], off
	s_mov_b32 s34, 0
	s_wait_loadcnt 0x0
	v_mul_f64_e32 v[44:45], s[10:11], v[38:39]
	v_mul_f64_e32 v[38:39], s[8:9], v[38:39]
	s_delay_alu instid0(VALU_DEP_2) | instskip(NEXT) | instid1(VALU_DEP_2)
	v_fma_f64 v[44:45], s[8:9], v[36:37], -v[44:45]
	v_fmac_f64_e32 v[38:39], s[10:11], v[36:37]
	s_delay_alu instid0(VALU_DEP_2) | instskip(NEXT) | instid1(VALU_DEP_2)
	v_add_f64_e32 v[36:37], v[2:3], v[44:45]
	v_add_f64_e32 v[38:39], v[4:5], v[38:39]
	global_store_b128 v[26:27], v[36:39], off
.LBB122_19:                             ;   in Loop: Header=BB122_7 Depth=1
	s_and_not1_b32 vcc_lo, exec_lo, s34
	s_cbranch_vccnz .LBB122_21
; %bb.20:                               ;   in Loop: Header=BB122_7 Depth=1
	global_store_b128 v[26:27], v[2:5], off
.LBB122_21:                             ;   in Loop: Header=BB122_7 Depth=1
	s_wait_xcnt 0x0
	s_or_b32 exec_lo, exec_lo, s23
	s_and_saveexec_b32 s23, s1
	s_cbranch_execz .LBB122_26
; %bb.22:                               ;   in Loop: Header=BB122_7 Depth=1
	v_mul_f64_e32 v[2:3], s[14:15], v[34:35]
	v_mul_f64_e32 v[4:5], s[12:13], v[34:35]
	v_lshl_add_u64 v[24:25], v[14:15], 4, v[24:25]
	s_and_not1_b32 vcc_lo, exec_lo, s26
	s_mov_b32 s34, -1
	s_delay_alu instid0(VALU_DEP_3) | instskip(NEXT) | instid1(VALU_DEP_3)
	v_fma_f64 v[2:3], s[12:13], v[32:33], -v[2:3]
	v_fmac_f64_e32 v[4:5], s[14:15], v[32:33]
	s_cbranch_vccnz .LBB122_24
; %bb.23:                               ;   in Loop: Header=BB122_7 Depth=1
	global_load_b128 v[32:35], v[24:25], off
	s_mov_b32 s34, 0
	s_wait_loadcnt 0x0
	v_mul_f64_e32 v[26:27], s[10:11], v[34:35]
	v_mul_f64_e32 v[34:35], s[8:9], v[34:35]
	s_delay_alu instid0(VALU_DEP_2) | instskip(NEXT) | instid1(VALU_DEP_2)
	v_fma_f64 v[26:27], s[8:9], v[32:33], -v[26:27]
	v_fmac_f64_e32 v[34:35], s[10:11], v[32:33]
	s_delay_alu instid0(VALU_DEP_2) | instskip(NEXT) | instid1(VALU_DEP_2)
	v_add_f64_e32 v[32:33], v[2:3], v[26:27]
	v_add_f64_e32 v[34:35], v[4:5], v[34:35]
	global_store_b128 v[24:25], v[32:35], off
.LBB122_24:                             ;   in Loop: Header=BB122_7 Depth=1
	s_and_not1_b32 vcc_lo, exec_lo, s34
	s_cbranch_vccnz .LBB122_26
; %bb.25:                               ;   in Loop: Header=BB122_7 Depth=1
	global_store_b128 v[24:25], v[2:5], off
.LBB122_26:                             ;   in Loop: Header=BB122_7 Depth=1
	s_wait_xcnt 0x0
	s_or_b32 exec_lo, exec_lo, s23
	v_lshl_add_u64 v[24:25], v[12:13], 4, s[16:17]
	s_and_saveexec_b32 s16, s18
	s_cbranch_execz .LBB122_31
; %bb.27:                               ;   in Loop: Header=BB122_7 Depth=1
	v_mul_f64_e32 v[2:3], s[14:15], v[30:31]
	v_mul_f64_e32 v[4:5], s[12:13], v[30:31]
	v_lshl_add_u64 v[26:27], v[8:9], 4, v[24:25]
	s_and_not1_b32 vcc_lo, exec_lo, s26
	s_mov_b32 s17, -1
	s_delay_alu instid0(VALU_DEP_3) | instskip(NEXT) | instid1(VALU_DEP_3)
	v_fma_f64 v[2:3], s[12:13], v[28:29], -v[2:3]
	v_fmac_f64_e32 v[4:5], s[14:15], v[28:29]
	s_cbranch_vccnz .LBB122_29
; %bb.28:                               ;   in Loop: Header=BB122_7 Depth=1
	global_load_b128 v[28:31], v[26:27], off
	s_mov_b32 s17, 0
	s_wait_loadcnt 0x0
	v_mul_f64_e32 v[32:33], s[10:11], v[30:31]
	v_mul_f64_e32 v[30:31], s[8:9], v[30:31]
	s_delay_alu instid0(VALU_DEP_2) | instskip(NEXT) | instid1(VALU_DEP_2)
	v_fma_f64 v[32:33], s[8:9], v[28:29], -v[32:33]
	v_fmac_f64_e32 v[30:31], s[10:11], v[28:29]
	s_delay_alu instid0(VALU_DEP_2) | instskip(NEXT) | instid1(VALU_DEP_2)
	v_add_f64_e32 v[28:29], v[2:3], v[32:33]
	v_add_f64_e32 v[30:31], v[4:5], v[30:31]
	global_store_b128 v[26:27], v[28:31], off
.LBB122_29:                             ;   in Loop: Header=BB122_7 Depth=1
	s_and_not1_b32 vcc_lo, exec_lo, s17
	s_cbranch_vccnz .LBB122_31
; %bb.30:                               ;   in Loop: Header=BB122_7 Depth=1
	global_store_b128 v[26:27], v[2:5], off
.LBB122_31:                             ;   in Loop: Header=BB122_7 Depth=1
	s_wait_xcnt 0x0
	s_or_b32 exec_lo, exec_lo, s16
	s_and_saveexec_b32 s16, s22
	s_cbranch_execz .LBB122_6
; %bb.32:                               ;   in Loop: Header=BB122_7 Depth=1
	s_delay_alu instid0(VALU_DEP_3) | instskip(SKIP_4) | instid1(VALU_DEP_3)
	v_mul_f64_e32 v[2:3], s[14:15], v[20:21]
	v_mul_f64_e32 v[4:5], s[12:13], v[20:21]
	v_lshl_add_u64 v[20:21], v[14:15], 4, v[24:25]
	s_and_not1_b32 vcc_lo, exec_lo, s26
	s_mov_b32 s17, -1
	v_fma_f64 v[2:3], s[12:13], v[22:23], -v[2:3]
	s_delay_alu instid0(VALU_DEP_3)
	v_fmac_f64_e32 v[4:5], s[14:15], v[22:23]
	s_cbranch_vccnz .LBB122_34
; %bb.33:                               ;   in Loop: Header=BB122_7 Depth=1
	global_load_b128 v[22:25], v[20:21], off
	s_mov_b32 s17, 0
	s_wait_loadcnt 0x0
	v_mul_f64_e32 v[26:27], s[10:11], v[24:25]
	v_mul_f64_e32 v[24:25], s[8:9], v[24:25]
	s_delay_alu instid0(VALU_DEP_2) | instskip(NEXT) | instid1(VALU_DEP_2)
	v_fma_f64 v[26:27], s[8:9], v[22:23], -v[26:27]
	v_fmac_f64_e32 v[24:25], s[10:11], v[22:23]
	s_delay_alu instid0(VALU_DEP_2) | instskip(NEXT) | instid1(VALU_DEP_2)
	v_add_f64_e32 v[22:23], v[2:3], v[26:27]
	v_add_f64_e32 v[24:25], v[4:5], v[24:25]
	global_store_b128 v[20:21], v[22:25], off
.LBB122_34:                             ;   in Loop: Header=BB122_7 Depth=1
	s_and_not1_b32 vcc_lo, exec_lo, s17
	s_cbranch_vccnz .LBB122_6
; %bb.35:                               ;   in Loop: Header=BB122_7 Depth=1
	global_store_b128 v[20:21], v[2:5], off
	s_branch .LBB122_6
.LBB122_36:
.LBB122_37:
	s_sendmsg sendmsg(MSG_DEALLOC_VGPRS)
	s_endpgm
	.section	.rodata,"a",@progbits
	.p2align	6, 0x0
	.amdhsa_kernel _ZL29rocblas_internal_gemmt_kernelIiLi16ELi32ELi8ELc84ELc67ELc76ELb0ELb1E19rocblas_complex_numIdEPKS1_S3_PS1_EviT_T9_T10_S5_lS7_S5_lS6_T11_S5_li
		.amdhsa_group_segment_fixed_size 8192
		.amdhsa_private_segment_fixed_size 0
		.amdhsa_kernarg_size 100
		.amdhsa_user_sgpr_count 2
		.amdhsa_user_sgpr_dispatch_ptr 0
		.amdhsa_user_sgpr_queue_ptr 0
		.amdhsa_user_sgpr_kernarg_segment_ptr 1
		.amdhsa_user_sgpr_dispatch_id 0
		.amdhsa_user_sgpr_kernarg_preload_length 0
		.amdhsa_user_sgpr_kernarg_preload_offset 0
		.amdhsa_user_sgpr_private_segment_size 0
		.amdhsa_wavefront_size32 1
		.amdhsa_uses_dynamic_stack 0
		.amdhsa_enable_private_segment 0
		.amdhsa_system_sgpr_workgroup_id_x 1
		.amdhsa_system_sgpr_workgroup_id_y 1
		.amdhsa_system_sgpr_workgroup_id_z 1
		.amdhsa_system_sgpr_workgroup_info 0
		.amdhsa_system_vgpr_workitem_id 1
		.amdhsa_next_free_vgpr 130
		.amdhsa_next_free_sgpr 41
		.amdhsa_named_barrier_count 0
		.amdhsa_reserve_vcc 1
		.amdhsa_float_round_mode_32 0
		.amdhsa_float_round_mode_16_64 0
		.amdhsa_float_denorm_mode_32 3
		.amdhsa_float_denorm_mode_16_64 3
		.amdhsa_fp16_overflow 0
		.amdhsa_memory_ordered 1
		.amdhsa_forward_progress 1
		.amdhsa_inst_pref_size 24
		.amdhsa_round_robin_scheduling 0
		.amdhsa_exception_fp_ieee_invalid_op 0
		.amdhsa_exception_fp_denorm_src 0
		.amdhsa_exception_fp_ieee_div_zero 0
		.amdhsa_exception_fp_ieee_overflow 0
		.amdhsa_exception_fp_ieee_underflow 0
		.amdhsa_exception_fp_ieee_inexact 0
		.amdhsa_exception_int_div_zero 0
	.end_amdhsa_kernel
	.section	.text._ZL29rocblas_internal_gemmt_kernelIiLi16ELi32ELi8ELc84ELc67ELc76ELb0ELb1E19rocblas_complex_numIdEPKS1_S3_PS1_EviT_T9_T10_S5_lS7_S5_lS6_T11_S5_li,"axG",@progbits,_ZL29rocblas_internal_gemmt_kernelIiLi16ELi32ELi8ELc84ELc67ELc76ELb0ELb1E19rocblas_complex_numIdEPKS1_S3_PS1_EviT_T9_T10_S5_lS7_S5_lS6_T11_S5_li,comdat
.Lfunc_end122:
	.size	_ZL29rocblas_internal_gemmt_kernelIiLi16ELi32ELi8ELc84ELc67ELc76ELb0ELb1E19rocblas_complex_numIdEPKS1_S3_PS1_EviT_T9_T10_S5_lS7_S5_lS6_T11_S5_li, .Lfunc_end122-_ZL29rocblas_internal_gemmt_kernelIiLi16ELi32ELi8ELc84ELc67ELc76ELb0ELb1E19rocblas_complex_numIdEPKS1_S3_PS1_EviT_T9_T10_S5_lS7_S5_lS6_T11_S5_li
                                        ; -- End function
	.set _ZL29rocblas_internal_gemmt_kernelIiLi16ELi32ELi8ELc84ELc67ELc76ELb0ELb1E19rocblas_complex_numIdEPKS1_S3_PS1_EviT_T9_T10_S5_lS7_S5_lS6_T11_S5_li.num_vgpr, 130
	.set _ZL29rocblas_internal_gemmt_kernelIiLi16ELi32ELi8ELc84ELc67ELc76ELb0ELb1E19rocblas_complex_numIdEPKS1_S3_PS1_EviT_T9_T10_S5_lS7_S5_lS6_T11_S5_li.num_agpr, 0
	.set _ZL29rocblas_internal_gemmt_kernelIiLi16ELi32ELi8ELc84ELc67ELc76ELb0ELb1E19rocblas_complex_numIdEPKS1_S3_PS1_EviT_T9_T10_S5_lS7_S5_lS6_T11_S5_li.numbered_sgpr, 41
	.set _ZL29rocblas_internal_gemmt_kernelIiLi16ELi32ELi8ELc84ELc67ELc76ELb0ELb1E19rocblas_complex_numIdEPKS1_S3_PS1_EviT_T9_T10_S5_lS7_S5_lS6_T11_S5_li.num_named_barrier, 0
	.set _ZL29rocblas_internal_gemmt_kernelIiLi16ELi32ELi8ELc84ELc67ELc76ELb0ELb1E19rocblas_complex_numIdEPKS1_S3_PS1_EviT_T9_T10_S5_lS7_S5_lS6_T11_S5_li.private_seg_size, 0
	.set _ZL29rocblas_internal_gemmt_kernelIiLi16ELi32ELi8ELc84ELc67ELc76ELb0ELb1E19rocblas_complex_numIdEPKS1_S3_PS1_EviT_T9_T10_S5_lS7_S5_lS6_T11_S5_li.uses_vcc, 1
	.set _ZL29rocblas_internal_gemmt_kernelIiLi16ELi32ELi8ELc84ELc67ELc76ELb0ELb1E19rocblas_complex_numIdEPKS1_S3_PS1_EviT_T9_T10_S5_lS7_S5_lS6_T11_S5_li.uses_flat_scratch, 0
	.set _ZL29rocblas_internal_gemmt_kernelIiLi16ELi32ELi8ELc84ELc67ELc76ELb0ELb1E19rocblas_complex_numIdEPKS1_S3_PS1_EviT_T9_T10_S5_lS7_S5_lS6_T11_S5_li.has_dyn_sized_stack, 0
	.set _ZL29rocblas_internal_gemmt_kernelIiLi16ELi32ELi8ELc84ELc67ELc76ELb0ELb1E19rocblas_complex_numIdEPKS1_S3_PS1_EviT_T9_T10_S5_lS7_S5_lS6_T11_S5_li.has_recursion, 0
	.set _ZL29rocblas_internal_gemmt_kernelIiLi16ELi32ELi8ELc84ELc67ELc76ELb0ELb1E19rocblas_complex_numIdEPKS1_S3_PS1_EviT_T9_T10_S5_lS7_S5_lS6_T11_S5_li.has_indirect_call, 0
	.section	.AMDGPU.csdata,"",@progbits
; Kernel info:
; codeLenInByte = 2948
; TotalNumSgprs: 43
; NumVgprs: 130
; ScratchSize: 0
; MemoryBound: 1
; FloatMode: 240
; IeeeMode: 1
; LDSByteSize: 8192 bytes/workgroup (compile time only)
; SGPRBlocks: 0
; VGPRBlocks: 8
; NumSGPRsForWavesPerEU: 43
; NumVGPRsForWavesPerEU: 130
; NamedBarCnt: 0
; Occupancy: 7
; WaveLimiterHint : 0
; COMPUTE_PGM_RSRC2:SCRATCH_EN: 0
; COMPUTE_PGM_RSRC2:USER_SGPR: 2
; COMPUTE_PGM_RSRC2:TRAP_HANDLER: 0
; COMPUTE_PGM_RSRC2:TGID_X_EN: 1
; COMPUTE_PGM_RSRC2:TGID_Y_EN: 1
; COMPUTE_PGM_RSRC2:TGID_Z_EN: 1
; COMPUTE_PGM_RSRC2:TIDIG_COMP_CNT: 1
	.section	.text._ZL29rocblas_internal_gemmt_kernelIiLi16ELi32ELi8ELc67ELc78ELc76ELb1ELb0E19rocblas_complex_numIdEPKS1_S3_PS1_EviT_T9_T10_S5_lS7_S5_lS6_T11_S5_li,"axG",@progbits,_ZL29rocblas_internal_gemmt_kernelIiLi16ELi32ELi8ELc67ELc78ELc76ELb1ELb0E19rocblas_complex_numIdEPKS1_S3_PS1_EviT_T9_T10_S5_lS7_S5_lS6_T11_S5_li,comdat
	.globl	_ZL29rocblas_internal_gemmt_kernelIiLi16ELi32ELi8ELc67ELc78ELc76ELb1ELb0E19rocblas_complex_numIdEPKS1_S3_PS1_EviT_T9_T10_S5_lS7_S5_lS6_T11_S5_li ; -- Begin function _ZL29rocblas_internal_gemmt_kernelIiLi16ELi32ELi8ELc67ELc78ELc76ELb1ELb0E19rocblas_complex_numIdEPKS1_S3_PS1_EviT_T9_T10_S5_lS7_S5_lS6_T11_S5_li
	.p2align	8
	.type	_ZL29rocblas_internal_gemmt_kernelIiLi16ELi32ELi8ELc67ELc78ELc76ELb1ELb0E19rocblas_complex_numIdEPKS1_S3_PS1_EviT_T9_T10_S5_lS7_S5_lS6_T11_S5_li,@function
_ZL29rocblas_internal_gemmt_kernelIiLi16ELi32ELi8ELc67ELc78ELc76ELb1ELb0E19rocblas_complex_numIdEPKS1_S3_PS1_EviT_T9_T10_S5_lS7_S5_lS6_T11_S5_li: ; @_ZL29rocblas_internal_gemmt_kernelIiLi16ELi32ELi8ELc67ELc78ELc76ELb1ELb0E19rocblas_complex_numIdEPKS1_S3_PS1_EviT_T9_T10_S5_lS7_S5_lS6_T11_S5_li
; %bb.0:
	s_load_b128 s[16:19], s[0:1], 0x38
	s_wait_kmcnt 0x0
	s_load_b128 s[8:11], s[18:19], 0x0
	s_load_b128 s[4:7], s[0:1], 0x8
	s_wait_xcnt 0x0
	s_load_b64 s[18:19], s[0:1], 0x0
	s_wait_kmcnt 0x0
	v_cmp_eq_f64_e64 s2, s[8:9], 1.0
	v_cmp_eq_f64_e64 s33, s[10:11], 0
	s_load_b128 s[12:15], s[4:5], 0x0
	s_and_b32 s2, s2, s33
	s_delay_alu instid0(SALU_CYCLE_1)
	s_and_not1_b32 vcc_lo, exec_lo, s2
	s_mov_b32 s2, -1
	s_cbranch_vccnz .LBB123_3
; %bb.1:
	s_cmp_lg_u32 s19, 0
	s_cbranch_scc0 .LBB123_36
; %bb.2:
	s_wait_kmcnt 0x0
	v_cmp_neq_f64_e64 s2, s[12:13], 0
	v_cmp_neq_f64_e64 s3, s[14:15], 0
	s_or_b32 s2, s2, s3
.LBB123_3:
	s_delay_alu instid0(SALU_CYCLE_1)
	s_and_b32 vcc_lo, exec_lo, s2
	s_cbranch_vccz .LBB123_37
; %bb.4:
	s_load_b32 s27, s[0:1], 0x60
	s_bfe_u32 s2, ttmp6, 0x40014
	s_lshr_b32 s3, ttmp7, 16
	s_add_co_i32 s2, s2, 1
	s_wait_xcnt 0x0
	s_bfe_u32 s4, ttmp6, 0x40008
	s_mul_i32 s2, s3, s2
	s_getreg_b32 s34, hwreg(HW_REG_IB_STS2, 6, 4)
	s_add_co_i32 s4, s4, s2
	s_cmp_eq_u32 s34, 0
	s_mov_b32 s29, 0
	s_cselect_b32 s28, s3, s4
	s_wait_kmcnt 0x0
	s_cmp_ge_u32 s28, s27
	s_cbranch_scc1 .LBB123_37
; %bb.5:
	s_clause 0x3
	s_load_b32 s4, s[0:1], 0x18
	s_load_b32 s2, s[0:1], 0x30
	s_load_b96 s[24:26], s[0:1], 0x48
	s_load_b128 s[20:23], s[0:1], 0x20
	v_and_b32_e32 v6, 0x3ff, v0
	v_bfe_u32 v7, v0, 10, 10
	s_bfe_u32 s3, ttmp6, 0x4000c
	s_bfe_u32 s5, ttmp6, 0x40010
	s_and_b32 s37, ttmp7, 0xffff
	s_add_co_i32 s3, s3, 1
	s_add_co_i32 s5, s5, 1
	v_lshl_add_u32 v1, v7, 4, v6
	s_load_b64 s[30:31], s[0:1], 0x58
	s_wait_xcnt 0x0
	s_and_b32 s0, ttmp6, 15
	s_mul_i32 s38, ttmp9, s3
	s_mul_i32 s39, s37, s5
	s_bfe_u32 s40, ttmp6, 0x40004
	s_add_co_i32 s0, s0, s38
	s_add_co_i32 s40, s40, s39
	v_dual_lshrrev_b32 v38, 5, v1 :: v_dual_bitop2_b32 v8, 31, v1 bitop3:0x40
	s_wait_kmcnt 0x0
	s_ashr_i32 s5, s4, 31
	s_ashr_i32 s3, s2, 31
	;; [unrolled: 1-line block ×3, first 2 shown]
	s_cmp_eq_u32 s34, 0
	v_cmp_neq_f64_e64 s1, s[12:13], 0
	s_cselect_b32 s0, ttmp9, s0
	s_cselect_b32 s34, s37, s40
	s_lshl_b32 s37, s0, 5
	s_delay_alu instid0(SALU_CYCLE_1) | instskip(SKIP_3) | instid1(VALU_DEP_3)
	v_dual_lshrrev_b32 v9, 3, v1 :: v_dual_bitop2_b32 v2, s37, v8 bitop3:0x54
	v_and_b32_e32 v39, 7, v0
	s_lshl_b32 s0, s34, 5
	v_cmp_neq_f64_e64 s36, s[14:15], 0
	v_dual_add_nc_u32 v0, s0, v9 :: v_dual_add_nc_u32 v14, s0, v7
	v_ashrrev_i32_e32 v3, 31, v2
	v_cmp_gt_i32_e64 s0, s18, v2
	v_cmp_neq_f64_e64 s38, s[8:9], 0
	s_delay_alu instid0(VALU_DEP_4) | instskip(NEXT) | instid1(VALU_DEP_4)
	v_dual_ashrrev_i32 v1, 31, v0 :: v_dual_lshlrev_b32 v16, 4, v39
	v_mul_u64_e32 v[4:5], s[4:5], v[2:3]
	v_dual_lshlrev_b32 v3, 4, v8 :: v_dual_add_nc_u32 v2, 16, v14
	s_delay_alu instid0(VALU_DEP_3) | instskip(SKIP_2) | instid1(VALU_DEP_4)
	v_mul_u64_e32 v[18:19], s[2:3], v[0:1]
	v_cmp_gt_i32_e32 vcc_lo, s18, v0
	v_dual_mov_b32 v0, 0 :: v_dual_ashrrev_i32 v15, 31, v14
	v_lshl_or_b32 v40, v38, 9, v3
	v_ashrrev_i32_e32 v3, 31, v2
	s_mov_b32 s34, s26
	v_lshl_or_b32 v1, v9, 7, v16
	v_mul_u64_e32 v[8:9], s[34:35], v[14:15]
	v_mov_b32_e32 v21, v0
	v_mul_u64_e32 v[10:11], s[34:35], v[2:3]
	v_dual_mov_b32 v17, v0 :: v_dual_lshlrev_b32 v20, 4, v38
	v_dual_lshlrev_b32 v42, 4, v6 :: v_dual_add_nc_u32 v6, s37, v6
	v_lshl_add_u32 v43, v7, 7, 0x1000
	v_add_nc_u32_e32 v41, 0x1000, v1
	s_delay_alu instid0(VALU_DEP_3)
	v_dual_add_nc_u32 v12, 16, v6 :: v_dual_ashrrev_i32 v7, 31, v6
	s_or_b32 s36, s1, s36
	v_cmp_le_i32_e64 s1, v14, v6
	v_cmp_gt_i32_e64 s2, s18, v6
	v_cmp_le_i32_e64 s4, v2, v6
	v_cmp_le_i32_e64 s5, v2, v12
	s_cmp_gt_i32 s19, 0
	v_ashrrev_i32_e32 v13, 31, v12
	s_cselect_b32 s39, -1, 0
	v_lshl_add_u64 v[4:5], v[4:5], 4, v[20:21]
	s_xor_b32 s3, s33, -1
	s_and_b32 s33, s1, s2
	v_lshl_add_u64 v[2:3], v[18:19], 4, v[16:17]
	s_or_b32 s26, s38, s3
	v_add_nc_u64_e32 v[4:5], s[6:7], v[4:5]
	v_cmp_le_i32_e64 s1, v14, v12
	v_cmp_gt_i32_e64 s3, s18, v12
	v_add_nc_u64_e32 v[16:17], s[22:23], v[2:3]
	s_and_b32 s18, s4, s2
	s_and_b32 s22, s36, s39
	v_add_nc_u64_e32 v[14:15], 8, v[4:5]
	s_and_b32 s1, s1, s3
	s_and_b32 s34, s5, s3
	s_lshl_b64 s[2:3], s[20:21], 4
	s_lshl_b64 s[4:5], s[16:17], 4
	s_xor_b32 s16, vcc_lo, -1
	s_branch .LBB123_7
.LBB123_6:                              ;   in Loop: Header=BB123_7 Depth=1
	s_wait_xcnt 0x0
	s_or_b32 exec_lo, exec_lo, s6
	s_add_co_i32 s28, s28, 0x10000
	s_delay_alu instid0(SALU_CYCLE_1)
	s_cmp_lt_u32 s28, s27
	s_cbranch_scc0 .LBB123_37
.LBB123_7:                              ; =>This Loop Header: Depth=1
                                        ;     Child Loop BB123_10 Depth 2
	v_mov_b64_e32 v[34:35], 0
	v_mov_b64_e32 v[36:37], 0
	;; [unrolled: 1-line block ×8, first 2 shown]
	s_and_not1_b32 vcc_lo, exec_lo, s22
	s_cbranch_vccnz .LBB123_16
; %bb.8:                                ;   in Loop: Header=BB123_7 Depth=1
	v_mad_nc_u64_u32 v[22:23], s2, s28, v[14:15]
	v_mad_nc_u64_u32 v[24:25], s4, s28, v[16:17]
	v_mov_b64_e32 v[18:19], 0
	v_mov_b64_e32 v[20:21], 0
	;; [unrolled: 1-line block ×8, first 2 shown]
	s_mov_b32 s6, 0
	v_mad_u32 v23, s3, s28, v23
	v_mad_u32 v25, s5, s28, v25
	s_branch .LBB123_10
.LBB123_9:                              ;   in Loop: Header=BB123_10 Depth=2
	s_wait_xcnt 0x0
	s_or_b32 exec_lo, exec_lo, s7
	s_wait_dscnt 0x0
	s_barrier_signal -1
	s_barrier_wait -1
	ds_load_b128 v[2:5], v43
	ds_load_b128 v[44:47], v42
	ds_load_b128 v[48:51], v42 offset:256
	ds_load_b128 v[52:55], v43 offset:2048
	;; [unrolled: 1-line block ×10, first 2 shown]
	v_add_nc_u64_e32 v[22:23], 0x80, v[22:23]
	v_add_nc_u64_e32 v[24:25], 0x80, v[24:25]
	s_add_co_i32 s6, s6, 8
	s_delay_alu instid0(SALU_CYCLE_1)
	s_cmp_lt_i32 s6, s19
	s_wait_dscnt 0xa
	v_mul_f64_e32 v[88:89], v[4:5], v[46:47]
	v_mul_f64_e32 v[90:91], v[2:3], v[46:47]
	s_wait_dscnt 0x9
	v_mul_f64_e32 v[92:93], v[4:5], v[50:51]
	v_mul_f64_e32 v[94:95], v[2:3], v[50:51]
	s_wait_dscnt 0x8
	v_mul_f64_e32 v[96:97], v[54:55], v[46:47]
	v_mul_f64_e32 v[98:99], v[52:53], v[46:47]
	v_mul_f64_e32 v[46:47], v[54:55], v[50:51]
	v_mul_f64_e32 v[100:101], v[52:53], v[50:51]
	s_wait_dscnt 0x6
	v_mul_f64_e32 v[102:103], v[58:59], v[62:63]
	v_mul_f64_e32 v[104:105], v[56:57], v[62:63]
	s_wait_dscnt 0x5
	v_mul_f64_e32 v[106:107], v[58:59], v[66:67]
	v_mul_f64_e32 v[108:109], v[56:57], v[66:67]
	s_wait_dscnt 0x4
	v_mul_f64_e32 v[110:111], v[70:71], v[62:63]
	v_mul_f64_e32 v[62:63], v[68:69], v[62:63]
	v_mul_f64_e32 v[112:113], v[70:71], v[66:67]
	v_mul_f64_e32 v[66:67], v[68:69], v[66:67]
	s_wait_dscnt 0x2
	v_mul_f64_e32 v[116:117], v[74:75], v[78:79]
	v_mul_f64_e32 v[118:119], v[72:73], v[78:79]
	s_wait_dscnt 0x1
	v_mul_f64_e32 v[120:121], v[74:75], v[82:83]
	v_mul_f64_e32 v[122:123], v[72:73], v[82:83]
	s_wait_dscnt 0x0
	v_mul_f64_e32 v[124:125], v[86:87], v[78:79]
	v_mul_f64_e32 v[78:79], v[84:85], v[78:79]
	v_mul_f64_e32 v[126:127], v[86:87], v[82:83]
	v_mul_f64_e32 v[82:83], v[84:85], v[82:83]
	v_fma_f64 v[88:89], v[2:3], v[44:45], -v[88:89]
	v_fmac_f64_e32 v[90:91], v[4:5], v[44:45]
	v_fma_f64 v[92:93], v[2:3], v[48:49], -v[92:93]
	v_fmac_f64_e32 v[94:95], v[4:5], v[48:49]
	;; [unrolled: 2-line block ×8, first 2 shown]
	ds_load_b128 v[2:5], v43 offset:48
	ds_load_b128 v[44:47], v43 offset:2096
	;; [unrolled: 1-line block ×4, first 2 shown]
	v_fma_f64 v[116:117], v[72:73], v[76:77], -v[116:117]
	v_fmac_f64_e32 v[118:119], v[74:75], v[76:77]
	v_fma_f64 v[72:73], v[72:73], v[80:81], -v[120:121]
	v_fmac_f64_e32 v[122:123], v[74:75], v[80:81]
	;; [unrolled: 2-line block ×4, first 2 shown]
	v_add_f64_e32 v[64:65], v[34:35], v[88:89]
	v_add_f64_e32 v[68:69], v[90:91], v[36:37]
	;; [unrolled: 1-line block ×8, first 2 shown]
	s_wait_dscnt 0x1
	v_mul_f64_e32 v[98:99], v[4:5], v[50:51]
	v_mul_f64_e32 v[100:101], v[2:3], v[50:51]
	s_wait_dscnt 0x0
	v_mul_f64_e32 v[106:107], v[4:5], v[54:55]
	v_mul_f64_e32 v[110:111], v[2:3], v[54:55]
	;; [unrolled: 1-line block ×6, first 2 shown]
	ds_load_b128 v[18:21], v43 offset:64
	ds_load_b128 v[26:29], v42 offset:2048
	;; [unrolled: 1-line block ×4, first 2 shown]
	v_add_f64_e32 v[80:81], v[64:65], v[102:103]
	v_add_f64_e32 v[84:85], v[104:105], v[68:69]
	;; [unrolled: 1-line block ×8, first 2 shown]
	s_wait_dscnt 0x2
	v_mul_f64_e32 v[96:97], v[20:21], v[28:29]
	v_mul_f64_e32 v[102:103], v[18:19], v[28:29]
	s_wait_dscnt 0x1
	v_mul_f64_e32 v[104:105], v[20:21], v[32:33]
	v_mul_f64_e32 v[108:109], v[18:19], v[32:33]
	;; [unrolled: 3-line block ×3, first 2 shown]
	v_mul_f64_e32 v[28:29], v[36:37], v[32:33]
	v_mul_f64_e32 v[126:127], v[34:35], v[32:33]
	v_fma_f64 v[32:33], v[2:3], v[48:49], -v[98:99]
	v_fmac_f64_e32 v[100:101], v[4:5], v[48:49]
	v_fma_f64 v[98:99], v[2:3], v[52:53], -v[106:107]
	v_fmac_f64_e32 v[110:111], v[4:5], v[52:53]
	;; [unrolled: 2-line block ×4, first 2 shown]
	ds_load_b128 v[54:57], v43 offset:80
	ds_load_b128 v[58:61], v43 offset:2128
	;; [unrolled: 1-line block ×4, first 2 shown]
	v_add_f64_e32 v[52:53], v[80:81], v[116:117]
	v_add_f64_e32 v[80:81], v[118:119], v[84:85]
	;; [unrolled: 1-line block ×8, first 2 shown]
	v_fma_f64 v[96:97], v[18:19], v[26:27], -v[96:97]
	v_fmac_f64_e32 v[102:103], v[20:21], v[26:27]
	v_fma_f64 v[104:105], v[18:19], v[30:31], -v[104:105]
	s_wait_dscnt 0x1
	v_mul_f64_e32 v[88:89], v[56:57], v[64:65]
	v_mul_f64_e32 v[90:91], v[54:55], v[64:65]
	s_wait_dscnt 0x0
	v_mul_f64_e32 v[92:93], v[56:57], v[68:69]
	v_mul_f64_e32 v[94:95], v[54:55], v[68:69]
	;; [unrolled: 1-line block ×6, first 2 shown]
	v_fmac_f64_e32 v[108:109], v[20:21], v[30:31]
	v_fma_f64 v[120:121], v[34:35], v[26:27], -v[120:121]
	v_fmac_f64_e32 v[124:125], v[36:37], v[26:27]
	v_fma_f64 v[122:123], v[34:35], v[30:31], -v[28:29]
	v_fmac_f64_e32 v[126:127], v[36:37], v[30:31]
	ds_load_b128 v[2:5], v43 offset:96
	ds_load_b128 v[44:47], v42 offset:3072
	;; [unrolled: 1-line block ×4, first 2 shown]
	v_add_f64_e32 v[52:53], v[52:53], v[32:33]
	v_add_f64_e32 v[80:81], v[100:101], v[80:81]
	;; [unrolled: 1-line block ×8, first 2 shown]
	ds_load_b128 v[18:21], v43 offset:112
	ds_load_b128 v[26:29], v43 offset:2160
	;; [unrolled: 1-line block ×4, first 2 shown]
	s_wait_dscnt 0x0
	v_mul_f64_e32 v[98:99], v[4:5], v[46:47]
	v_mul_f64_e32 v[100:101], v[2:3], v[46:47]
	;; [unrolled: 1-line block ×8, first 2 shown]
	v_fma_f64 v[88:89], v[54:55], v[62:63], -v[88:89]
	v_fmac_f64_e32 v[90:91], v[56:57], v[62:63]
	v_fma_f64 v[54:55], v[54:55], v[66:67], -v[92:93]
	v_fmac_f64_e32 v[94:95], v[56:57], v[66:67]
	;; [unrolled: 2-line block ×4, first 2 shown]
	s_barrier_signal -1
	s_barrier_wait -1
	v_mul_f64_e32 v[92:93], v[18:19], v[36:37]
	v_add_f64_e32 v[52:53], v[52:53], v[96:97]
	v_add_f64_e32 v[60:61], v[102:103], v[80:81]
	;; [unrolled: 1-line block ×8, first 2 shown]
	v_mul_f64_e32 v[82:83], v[20:21], v[32:33]
	v_mul_f64_e32 v[84:85], v[18:19], v[32:33]
	;; [unrolled: 1-line block ×7, first 2 shown]
	v_fma_f64 v[36:37], v[2:3], v[44:45], -v[98:99]
	v_fmac_f64_e32 v[100:101], v[4:5], v[44:45]
	v_fma_f64 v[2:3], v[2:3], v[48:49], -v[106:107]
	v_fmac_f64_e32 v[110:111], v[4:5], v[48:49]
	;; [unrolled: 2-line block ×4, first 2 shown]
	v_fmac_f64_e32 v[92:93], v[20:21], v[34:35]
	v_add_f64_e32 v[48:49], v[52:53], v[88:89]
	v_add_f64_e32 v[52:53], v[90:91], v[60:61]
	;; [unrolled: 1-line block ×8, first 2 shown]
	v_fma_f64 v[66:67], v[18:19], v[30:31], -v[82:83]
	v_fmac_f64_e32 v[84:85], v[20:21], v[30:31]
	v_fma_f64 v[18:19], v[18:19], v[34:35], -v[86:87]
	v_fma_f64 v[20:21], v[26:27], v[30:31], -v[96:97]
	v_fmac_f64_e32 v[102:103], v[28:29], v[30:31]
	v_fma_f64 v[68:69], v[26:27], v[34:35], -v[32:33]
	v_fmac_f64_e32 v[104:105], v[28:29], v[34:35]
	v_add_f64_e32 v[26:27], v[48:49], v[36:37]
	v_add_f64_e32 v[28:29], v[100:101], v[52:53]
	;; [unrolled: 1-line block ×16, first 2 shown]
	s_cbranch_scc0 .LBB123_16
.LBB123_10:                             ;   Parent Loop BB123_7 Depth=1
                                        ; =>  This Inner Loop Header: Depth=2
	v_add_nc_u32_e32 v1, s6, v38
	v_mov_b64_e32 v[2:3], 0
	v_mov_b64_e32 v[4:5], 0
	s_delay_alu instid0(VALU_DEP_3) | instskip(SKIP_1) | instid1(SALU_CYCLE_1)
	v_cmp_gt_i32_e32 vcc_lo, s19, v1
	s_and_b32 s17, s0, vcc_lo
	s_and_saveexec_b32 s7, s17
	s_cbranch_execz .LBB123_12
; %bb.11:                               ;   in Loop: Header=BB123_10 Depth=2
	global_load_b128 v[2:5], v[22:23], off offset:-8
	s_wait_loadcnt 0x0
	v_xor_b32_e32 v5, 0x80000000, v5
.LBB123_12:                             ;   in Loop: Header=BB123_10 Depth=2
	s_wait_xcnt 0x0
	s_or_b32 exec_lo, exec_lo, s7
	v_add_nc_u32_e32 v1, s6, v39
	ds_store_b128 v40, v[2:5]
	v_cmp_le_i32_e32 vcc_lo, s19, v1
	s_or_b32 s7, vcc_lo, s16
	s_delay_alu instid0(SALU_CYCLE_1) | instskip(NEXT) | instid1(SALU_CYCLE_1)
	s_and_saveexec_b32 s17, s7
	s_xor_b32 s7, exec_lo, s17
; %bb.13:                               ;   in Loop: Header=BB123_10 Depth=2
	v_dual_mov_b32 v1, v0 :: v_dual_mov_b32 v2, v0
	v_mov_b32_e32 v3, v0
	ds_store_b128 v41, v[0:3]
; %bb.14:                               ;   in Loop: Header=BB123_10 Depth=2
	s_and_not1_saveexec_b32 s7, s7
	s_cbranch_execz .LBB123_9
; %bb.15:                               ;   in Loop: Header=BB123_10 Depth=2
	global_load_b128 v[2:5], v[24:25], off
	s_wait_loadcnt 0x0
	ds_store_2addr_b64 v41, v[2:3], v[4:5] offset1:1
	s_branch .LBB123_9
.LBB123_16:                             ;   in Loop: Header=BB123_7 Depth=1
	s_mul_u64 s[6:7], s[30:31], s[28:29]
	s_delay_alu instid0(SALU_CYCLE_1) | instskip(NEXT) | instid1(SALU_CYCLE_1)
	s_lshl_b64 s[6:7], s[6:7], 4
	s_add_nc_u64 s[6:7], s[24:25], s[6:7]
	s_delay_alu instid0(SALU_CYCLE_1)
	v_lshl_add_u64 v[22:23], v[8:9], 4, s[6:7]
	s_and_saveexec_b32 s17, s33
	s_cbranch_execz .LBB123_21
; %bb.17:                               ;   in Loop: Header=BB123_7 Depth=1
	v_mul_f64_e32 v[2:3], s[14:15], v[36:37]
	v_mul_f64_e32 v[4:5], s[12:13], v[36:37]
	v_lshl_add_u64 v[24:25], v[6:7], 4, v[22:23]
	s_and_b32 vcc_lo, exec_lo, s26
	s_mov_b32 s20, -1
	s_delay_alu instid0(VALU_DEP_3) | instskip(NEXT) | instid1(VALU_DEP_3)
	v_fma_f64 v[2:3], s[12:13], v[34:35], -v[2:3]
	v_fmac_f64_e32 v[4:5], s[14:15], v[34:35]
	s_cbranch_vccz .LBB123_19
; %bb.18:                               ;   in Loop: Header=BB123_7 Depth=1
	global_load_b128 v[34:37], v[24:25], off
	s_mov_b32 s20, 0
	s_wait_loadcnt 0x0
	v_mul_f64_e32 v[44:45], s[10:11], v[36:37]
	v_mul_f64_e32 v[36:37], s[8:9], v[36:37]
	s_delay_alu instid0(VALU_DEP_2) | instskip(NEXT) | instid1(VALU_DEP_2)
	v_fma_f64 v[44:45], s[8:9], v[34:35], -v[44:45]
	v_fmac_f64_e32 v[36:37], s[10:11], v[34:35]
	s_delay_alu instid0(VALU_DEP_2) | instskip(NEXT) | instid1(VALU_DEP_2)
	v_add_f64_e32 v[34:35], v[2:3], v[44:45]
	v_add_f64_e32 v[36:37], v[4:5], v[36:37]
	global_store_b128 v[24:25], v[34:37], off
.LBB123_19:                             ;   in Loop: Header=BB123_7 Depth=1
	s_and_not1_b32 vcc_lo, exec_lo, s20
	s_cbranch_vccnz .LBB123_21
; %bb.20:                               ;   in Loop: Header=BB123_7 Depth=1
	global_store_b128 v[24:25], v[2:5], off
.LBB123_21:                             ;   in Loop: Header=BB123_7 Depth=1
	s_wait_xcnt 0x0
	s_or_b32 exec_lo, exec_lo, s17
	s_and_saveexec_b32 s17, s1
	s_cbranch_execz .LBB123_26
; %bb.22:                               ;   in Loop: Header=BB123_7 Depth=1
	v_mul_f64_e32 v[2:3], s[14:15], v[32:33]
	v_mul_f64_e32 v[4:5], s[12:13], v[32:33]
	v_lshl_add_u64 v[22:23], v[12:13], 4, v[22:23]
	s_and_not1_b32 vcc_lo, exec_lo, s26
	s_mov_b32 s20, -1
	s_delay_alu instid0(VALU_DEP_3) | instskip(NEXT) | instid1(VALU_DEP_3)
	v_fma_f64 v[2:3], s[12:13], v[30:31], -v[2:3]
	v_fmac_f64_e32 v[4:5], s[14:15], v[30:31]
	s_cbranch_vccnz .LBB123_24
; %bb.23:                               ;   in Loop: Header=BB123_7 Depth=1
	global_load_b128 v[30:33], v[22:23], off
	s_mov_b32 s20, 0
	s_wait_loadcnt 0x0
	v_mul_f64_e32 v[24:25], s[10:11], v[32:33]
	v_mul_f64_e32 v[32:33], s[8:9], v[32:33]
	s_delay_alu instid0(VALU_DEP_2) | instskip(NEXT) | instid1(VALU_DEP_2)
	v_fma_f64 v[24:25], s[8:9], v[30:31], -v[24:25]
	v_fmac_f64_e32 v[32:33], s[10:11], v[30:31]
	s_delay_alu instid0(VALU_DEP_2) | instskip(NEXT) | instid1(VALU_DEP_2)
	v_add_f64_e32 v[30:31], v[2:3], v[24:25]
	v_add_f64_e32 v[32:33], v[4:5], v[32:33]
	global_store_b128 v[22:23], v[30:33], off
.LBB123_24:                             ;   in Loop: Header=BB123_7 Depth=1
	s_and_not1_b32 vcc_lo, exec_lo, s20
	s_cbranch_vccnz .LBB123_26
; %bb.25:                               ;   in Loop: Header=BB123_7 Depth=1
	global_store_b128 v[22:23], v[2:5], off
.LBB123_26:                             ;   in Loop: Header=BB123_7 Depth=1
	s_wait_xcnt 0x0
	s_or_b32 exec_lo, exec_lo, s17
	v_lshl_add_u64 v[22:23], v[10:11], 4, s[6:7]
	s_and_saveexec_b32 s6, s18
	s_cbranch_execz .LBB123_31
; %bb.27:                               ;   in Loop: Header=BB123_7 Depth=1
	v_mul_f64_e32 v[2:3], s[14:15], v[28:29]
	v_mul_f64_e32 v[4:5], s[12:13], v[28:29]
	v_lshl_add_u64 v[24:25], v[6:7], 4, v[22:23]
	s_and_not1_b32 vcc_lo, exec_lo, s26
	s_mov_b32 s7, -1
	s_delay_alu instid0(VALU_DEP_3) | instskip(NEXT) | instid1(VALU_DEP_3)
	v_fma_f64 v[2:3], s[12:13], v[26:27], -v[2:3]
	v_fmac_f64_e32 v[4:5], s[14:15], v[26:27]
	s_cbranch_vccnz .LBB123_29
; %bb.28:                               ;   in Loop: Header=BB123_7 Depth=1
	global_load_b128 v[26:29], v[24:25], off
	s_mov_b32 s7, 0
	s_wait_loadcnt 0x0
	v_mul_f64_e32 v[30:31], s[10:11], v[28:29]
	v_mul_f64_e32 v[28:29], s[8:9], v[28:29]
	s_delay_alu instid0(VALU_DEP_2) | instskip(NEXT) | instid1(VALU_DEP_2)
	v_fma_f64 v[30:31], s[8:9], v[26:27], -v[30:31]
	v_fmac_f64_e32 v[28:29], s[10:11], v[26:27]
	s_delay_alu instid0(VALU_DEP_2) | instskip(NEXT) | instid1(VALU_DEP_2)
	v_add_f64_e32 v[26:27], v[2:3], v[30:31]
	v_add_f64_e32 v[28:29], v[4:5], v[28:29]
	global_store_b128 v[24:25], v[26:29], off
.LBB123_29:                             ;   in Loop: Header=BB123_7 Depth=1
	s_and_not1_b32 vcc_lo, exec_lo, s7
	s_cbranch_vccnz .LBB123_31
; %bb.30:                               ;   in Loop: Header=BB123_7 Depth=1
	global_store_b128 v[24:25], v[2:5], off
.LBB123_31:                             ;   in Loop: Header=BB123_7 Depth=1
	s_wait_xcnt 0x0
	s_or_b32 exec_lo, exec_lo, s6
	s_and_saveexec_b32 s6, s34
	s_cbranch_execz .LBB123_6
; %bb.32:                               ;   in Loop: Header=BB123_7 Depth=1
	s_delay_alu instid0(VALU_DEP_3) | instskip(SKIP_4) | instid1(VALU_DEP_3)
	v_mul_f64_e32 v[2:3], s[14:15], v[18:19]
	v_mul_f64_e32 v[4:5], s[12:13], v[18:19]
	v_lshl_add_u64 v[18:19], v[12:13], 4, v[22:23]
	s_and_not1_b32 vcc_lo, exec_lo, s26
	s_mov_b32 s7, -1
	v_fma_f64 v[2:3], s[12:13], v[20:21], -v[2:3]
	s_delay_alu instid0(VALU_DEP_3)
	v_fmac_f64_e32 v[4:5], s[14:15], v[20:21]
	s_cbranch_vccnz .LBB123_34
; %bb.33:                               ;   in Loop: Header=BB123_7 Depth=1
	global_load_b128 v[20:23], v[18:19], off
	s_mov_b32 s7, 0
	s_wait_loadcnt 0x0
	v_mul_f64_e32 v[24:25], s[10:11], v[22:23]
	v_mul_f64_e32 v[22:23], s[8:9], v[22:23]
	s_delay_alu instid0(VALU_DEP_2) | instskip(NEXT) | instid1(VALU_DEP_2)
	v_fma_f64 v[24:25], s[8:9], v[20:21], -v[24:25]
	v_fmac_f64_e32 v[22:23], s[10:11], v[20:21]
	s_delay_alu instid0(VALU_DEP_2) | instskip(NEXT) | instid1(VALU_DEP_2)
	v_add_f64_e32 v[20:21], v[2:3], v[24:25]
	v_add_f64_e32 v[22:23], v[4:5], v[22:23]
	global_store_b128 v[18:19], v[20:23], off
.LBB123_34:                             ;   in Loop: Header=BB123_7 Depth=1
	s_and_not1_b32 vcc_lo, exec_lo, s7
	s_cbranch_vccnz .LBB123_6
; %bb.35:                               ;   in Loop: Header=BB123_7 Depth=1
	global_store_b128 v[18:19], v[2:5], off
	s_branch .LBB123_6
.LBB123_36:
.LBB123_37:
	s_sendmsg sendmsg(MSG_DEALLOC_VGPRS)
	s_endpgm
	.section	.rodata,"a",@progbits
	.p2align	6, 0x0
	.amdhsa_kernel _ZL29rocblas_internal_gemmt_kernelIiLi16ELi32ELi8ELc67ELc78ELc76ELb1ELb0E19rocblas_complex_numIdEPKS1_S3_PS1_EviT_T9_T10_S5_lS7_S5_lS6_T11_S5_li
		.amdhsa_group_segment_fixed_size 8192
		.amdhsa_private_segment_fixed_size 0
		.amdhsa_kernarg_size 100
		.amdhsa_user_sgpr_count 2
		.amdhsa_user_sgpr_dispatch_ptr 0
		.amdhsa_user_sgpr_queue_ptr 0
		.amdhsa_user_sgpr_kernarg_segment_ptr 1
		.amdhsa_user_sgpr_dispatch_id 0
		.amdhsa_user_sgpr_kernarg_preload_length 0
		.amdhsa_user_sgpr_kernarg_preload_offset 0
		.amdhsa_user_sgpr_private_segment_size 0
		.amdhsa_wavefront_size32 1
		.amdhsa_uses_dynamic_stack 0
		.amdhsa_enable_private_segment 0
		.amdhsa_system_sgpr_workgroup_id_x 1
		.amdhsa_system_sgpr_workgroup_id_y 1
		.amdhsa_system_sgpr_workgroup_id_z 1
		.amdhsa_system_sgpr_workgroup_info 0
		.amdhsa_system_vgpr_workitem_id 1
		.amdhsa_next_free_vgpr 130
		.amdhsa_next_free_sgpr 41
		.amdhsa_named_barrier_count 0
		.amdhsa_reserve_vcc 1
		.amdhsa_float_round_mode_32 0
		.amdhsa_float_round_mode_16_64 0
		.amdhsa_float_denorm_mode_32 3
		.amdhsa_float_denorm_mode_16_64 3
		.amdhsa_fp16_overflow 0
		.amdhsa_memory_ordered 1
		.amdhsa_forward_progress 1
		.amdhsa_inst_pref_size 23
		.amdhsa_round_robin_scheduling 0
		.amdhsa_exception_fp_ieee_invalid_op 0
		.amdhsa_exception_fp_denorm_src 0
		.amdhsa_exception_fp_ieee_div_zero 0
		.amdhsa_exception_fp_ieee_overflow 0
		.amdhsa_exception_fp_ieee_underflow 0
		.amdhsa_exception_fp_ieee_inexact 0
		.amdhsa_exception_int_div_zero 0
	.end_amdhsa_kernel
	.section	.text._ZL29rocblas_internal_gemmt_kernelIiLi16ELi32ELi8ELc67ELc78ELc76ELb1ELb0E19rocblas_complex_numIdEPKS1_S3_PS1_EviT_T9_T10_S5_lS7_S5_lS6_T11_S5_li,"axG",@progbits,_ZL29rocblas_internal_gemmt_kernelIiLi16ELi32ELi8ELc67ELc78ELc76ELb1ELb0E19rocblas_complex_numIdEPKS1_S3_PS1_EviT_T9_T10_S5_lS7_S5_lS6_T11_S5_li,comdat
.Lfunc_end123:
	.size	_ZL29rocblas_internal_gemmt_kernelIiLi16ELi32ELi8ELc67ELc78ELc76ELb1ELb0E19rocblas_complex_numIdEPKS1_S3_PS1_EviT_T9_T10_S5_lS7_S5_lS6_T11_S5_li, .Lfunc_end123-_ZL29rocblas_internal_gemmt_kernelIiLi16ELi32ELi8ELc67ELc78ELc76ELb1ELb0E19rocblas_complex_numIdEPKS1_S3_PS1_EviT_T9_T10_S5_lS7_S5_lS6_T11_S5_li
                                        ; -- End function
	.set _ZL29rocblas_internal_gemmt_kernelIiLi16ELi32ELi8ELc67ELc78ELc76ELb1ELb0E19rocblas_complex_numIdEPKS1_S3_PS1_EviT_T9_T10_S5_lS7_S5_lS6_T11_S5_li.num_vgpr, 130
	.set _ZL29rocblas_internal_gemmt_kernelIiLi16ELi32ELi8ELc67ELc78ELc76ELb1ELb0E19rocblas_complex_numIdEPKS1_S3_PS1_EviT_T9_T10_S5_lS7_S5_lS6_T11_S5_li.num_agpr, 0
	.set _ZL29rocblas_internal_gemmt_kernelIiLi16ELi32ELi8ELc67ELc78ELc76ELb1ELb0E19rocblas_complex_numIdEPKS1_S3_PS1_EviT_T9_T10_S5_lS7_S5_lS6_T11_S5_li.numbered_sgpr, 41
	.set _ZL29rocblas_internal_gemmt_kernelIiLi16ELi32ELi8ELc67ELc78ELc76ELb1ELb0E19rocblas_complex_numIdEPKS1_S3_PS1_EviT_T9_T10_S5_lS7_S5_lS6_T11_S5_li.num_named_barrier, 0
	.set _ZL29rocblas_internal_gemmt_kernelIiLi16ELi32ELi8ELc67ELc78ELc76ELb1ELb0E19rocblas_complex_numIdEPKS1_S3_PS1_EviT_T9_T10_S5_lS7_S5_lS6_T11_S5_li.private_seg_size, 0
	.set _ZL29rocblas_internal_gemmt_kernelIiLi16ELi32ELi8ELc67ELc78ELc76ELb1ELb0E19rocblas_complex_numIdEPKS1_S3_PS1_EviT_T9_T10_S5_lS7_S5_lS6_T11_S5_li.uses_vcc, 1
	.set _ZL29rocblas_internal_gemmt_kernelIiLi16ELi32ELi8ELc67ELc78ELc76ELb1ELb0E19rocblas_complex_numIdEPKS1_S3_PS1_EviT_T9_T10_S5_lS7_S5_lS6_T11_S5_li.uses_flat_scratch, 0
	.set _ZL29rocblas_internal_gemmt_kernelIiLi16ELi32ELi8ELc67ELc78ELc76ELb1ELb0E19rocblas_complex_numIdEPKS1_S3_PS1_EviT_T9_T10_S5_lS7_S5_lS6_T11_S5_li.has_dyn_sized_stack, 0
	.set _ZL29rocblas_internal_gemmt_kernelIiLi16ELi32ELi8ELc67ELc78ELc76ELb1ELb0E19rocblas_complex_numIdEPKS1_S3_PS1_EviT_T9_T10_S5_lS7_S5_lS6_T11_S5_li.has_recursion, 0
	.set _ZL29rocblas_internal_gemmt_kernelIiLi16ELi32ELi8ELc67ELc78ELc76ELb1ELb0E19rocblas_complex_numIdEPKS1_S3_PS1_EviT_T9_T10_S5_lS7_S5_lS6_T11_S5_li.has_indirect_call, 0
	.section	.AMDGPU.csdata,"",@progbits
; Kernel info:
; codeLenInByte = 2940
; TotalNumSgprs: 43
; NumVgprs: 130
; ScratchSize: 0
; MemoryBound: 1
; FloatMode: 240
; IeeeMode: 1
; LDSByteSize: 8192 bytes/workgroup (compile time only)
; SGPRBlocks: 0
; VGPRBlocks: 8
; NumSGPRsForWavesPerEU: 43
; NumVGPRsForWavesPerEU: 130
; NamedBarCnt: 0
; Occupancy: 7
; WaveLimiterHint : 0
; COMPUTE_PGM_RSRC2:SCRATCH_EN: 0
; COMPUTE_PGM_RSRC2:USER_SGPR: 2
; COMPUTE_PGM_RSRC2:TRAP_HANDLER: 0
; COMPUTE_PGM_RSRC2:TGID_X_EN: 1
; COMPUTE_PGM_RSRC2:TGID_Y_EN: 1
; COMPUTE_PGM_RSRC2:TGID_Z_EN: 1
; COMPUTE_PGM_RSRC2:TIDIG_COMP_CNT: 1
	.section	.text._ZL29rocblas_internal_gemmt_kernelIiLi16ELi32ELi8ELc67ELc84ELc76ELb1ELb0E19rocblas_complex_numIdEPKS1_S3_PS1_EviT_T9_T10_S5_lS7_S5_lS6_T11_S5_li,"axG",@progbits,_ZL29rocblas_internal_gemmt_kernelIiLi16ELi32ELi8ELc67ELc84ELc76ELb1ELb0E19rocblas_complex_numIdEPKS1_S3_PS1_EviT_T9_T10_S5_lS7_S5_lS6_T11_S5_li,comdat
	.globl	_ZL29rocblas_internal_gemmt_kernelIiLi16ELi32ELi8ELc67ELc84ELc76ELb1ELb0E19rocblas_complex_numIdEPKS1_S3_PS1_EviT_T9_T10_S5_lS7_S5_lS6_T11_S5_li ; -- Begin function _ZL29rocblas_internal_gemmt_kernelIiLi16ELi32ELi8ELc67ELc84ELc76ELb1ELb0E19rocblas_complex_numIdEPKS1_S3_PS1_EviT_T9_T10_S5_lS7_S5_lS6_T11_S5_li
	.p2align	8
	.type	_ZL29rocblas_internal_gemmt_kernelIiLi16ELi32ELi8ELc67ELc84ELc76ELb1ELb0E19rocblas_complex_numIdEPKS1_S3_PS1_EviT_T9_T10_S5_lS7_S5_lS6_T11_S5_li,@function
_ZL29rocblas_internal_gemmt_kernelIiLi16ELi32ELi8ELc67ELc84ELc76ELb1ELb0E19rocblas_complex_numIdEPKS1_S3_PS1_EviT_T9_T10_S5_lS7_S5_lS6_T11_S5_li: ; @_ZL29rocblas_internal_gemmt_kernelIiLi16ELi32ELi8ELc67ELc84ELc76ELb1ELb0E19rocblas_complex_numIdEPKS1_S3_PS1_EviT_T9_T10_S5_lS7_S5_lS6_T11_S5_li
; %bb.0:
	s_load_b128 s[16:19], s[0:1], 0x38
	s_wait_kmcnt 0x0
	s_load_b128 s[8:11], s[18:19], 0x0
	s_load_b128 s[4:7], s[0:1], 0x8
	s_wait_xcnt 0x0
	s_load_b64 s[18:19], s[0:1], 0x0
	s_wait_kmcnt 0x0
	v_cmp_eq_f64_e64 s2, s[8:9], 1.0
	v_cmp_eq_f64_e64 s33, s[10:11], 0
	s_load_b128 s[12:15], s[4:5], 0x0
	s_and_b32 s2, s2, s33
	s_delay_alu instid0(SALU_CYCLE_1)
	s_and_not1_b32 vcc_lo, exec_lo, s2
	s_mov_b32 s2, -1
	s_cbranch_vccnz .LBB124_3
; %bb.1:
	s_cmp_lg_u32 s19, 0
	s_cbranch_scc0 .LBB124_36
; %bb.2:
	s_wait_kmcnt 0x0
	v_cmp_neq_f64_e64 s2, s[12:13], 0
	v_cmp_neq_f64_e64 s3, s[14:15], 0
	s_or_b32 s2, s2, s3
.LBB124_3:
	s_delay_alu instid0(SALU_CYCLE_1)
	s_and_b32 vcc_lo, exec_lo, s2
	s_cbranch_vccz .LBB124_37
; %bb.4:
	s_load_b32 s27, s[0:1], 0x60
	s_bfe_u32 s2, ttmp6, 0x40014
	s_lshr_b32 s3, ttmp7, 16
	s_add_co_i32 s2, s2, 1
	s_wait_xcnt 0x0
	s_bfe_u32 s5, ttmp6, 0x40008
	s_mul_i32 s2, s3, s2
	s_getreg_b32 s4, hwreg(HW_REG_IB_STS2, 6, 4)
	s_add_co_i32 s5, s5, s2
	s_cmp_eq_u32 s4, 0
	s_mov_b32 s29, 0
	s_cselect_b32 s28, s3, s5
	s_wait_kmcnt 0x0
	s_cmp_ge_u32 s28, s27
	s_cbranch_scc1 .LBB124_37
; %bb.5:
	s_clause 0x3
	s_load_b32 s2, s[0:1], 0x18
	s_load_b32 s34, s[0:1], 0x30
	s_load_b96 s[24:26], s[0:1], 0x48
	s_load_b128 s[20:23], s[0:1], 0x20
	v_and_b32_e32 v1, 0x3ff, v0
	v_bfe_u32 v9, v0, 10, 10
	s_bfe_u32 s3, ttmp6, 0x4000c
	s_bfe_u32 s5, ttmp6, 0x40010
	s_and_b32 s37, ttmp7, 0xffff
	s_add_co_i32 s3, s3, 1
	s_add_co_i32 s5, s5, 1
	v_lshl_add_u32 v3, v9, 4, v1
	s_load_b64 s[30:31], s[0:1], 0x58
	s_wait_xcnt 0x0
	s_and_b32 s0, ttmp6, 15
	s_mul_i32 s38, ttmp9, s3
	s_mul_i32 s39, s37, s5
	s_bfe_u32 s40, ttmp6, 0x40004
	s_add_co_i32 s0, s0, s38
	s_add_co_i32 s40, s40, s39
	v_dual_lshrrev_b32 v40, 5, v3 :: v_dual_bitop2_b32 v5, 31, v3 bitop3:0x40
	s_wait_kmcnt 0x0
	s_ashr_i32 s3, s2, 31
	s_ashr_i32 s35, s34, 31
	;; [unrolled: 1-line block ×3, first 2 shown]
	s_cmp_eq_u32 s4, 0
	v_cmp_neq_f64_e64 s1, s[12:13], 0
	s_cselect_b32 s0, ttmp9, s0
	s_cselect_b32 s37, s37, s40
	s_lshl_b32 s38, s0, 5
	s_delay_alu instid0(SALU_CYCLE_1) | instskip(SKIP_3) | instid1(VALU_DEP_3)
	v_dual_lshrrev_b32 v8, 3, v3 :: v_dual_bitop2_b32 v2, s38, v5 bitop3:0x54
	v_and_b32_e32 v6, 7, v0
	s_lshl_b32 s0, s37, 5
	v_cmp_neq_f64_e64 s36, s[14:15], 0
	v_dual_add_nc_u32 v4, s0, v8 :: v_dual_mov_b32 v0, 0
	v_dual_ashrrev_i32 v3, 31, v2 :: v_dual_add_nc_u32 v18, s0, v9
	v_lshlrev_b32_e32 v5, 4, v5
	v_cmp_gt_i32_e64 s0, s18, v2
	s_delay_alu instid0(VALU_DEP_4) | instskip(NEXT) | instid1(VALU_DEP_4)
	v_mov_b32_e32 v7, v0
	v_mul_u64_e32 v[16:17], s[2:3], v[2:3]
	v_lshlrev_b32_e32 v3, 4, v6
	v_add_nc_u32_e32 v2, 16, v18
	s_mov_b32 s4, s26
	v_mul_u64_e32 v[20:21], s[34:35], v[6:7]
	v_cmp_neq_f64_e64 s26, s[8:9], 0
	v_lshl_or_b32 v3, v8, 7, v3
	v_lshl_or_b32 v7, v40, 9, v5
	v_dual_ashrrev_i32 v5, 31, v4 :: v_dual_add_nc_u32 v8, s38, v1
	v_lshlrev_b32_e32 v42, 4, v1
	s_delay_alu instid0(VALU_DEP_4) | instskip(SKIP_1) | instid1(VALU_DEP_4)
	v_add_nc_u32_e32 v41, 0x1000, v3
	v_ashrrev_i32_e32 v3, 31, v2
	v_dual_ashrrev_i32 v19, 31, v18 :: v_dual_add_nc_u32 v14, 16, v8
	v_dual_mov_b32 v23, v0 :: v_dual_lshlrev_b32 v22, 4, v40
	s_delay_alu instid0(VALU_DEP_3) | instskip(NEXT) | instid1(VALU_DEP_3)
	v_mul_u64_e32 v[12:13], s[4:5], v[2:3]
	v_mul_u64_e32 v[10:11], s[4:5], v[18:19]
	v_cmp_gt_i32_e32 vcc_lo, s18, v4
	v_lshlrev_b64_e32 v[4:5], 4, v[4:5]
	v_ashrrev_i32_e32 v15, 31, v14
	v_cmp_gt_i32_e64 s2, s18, v8
	v_cmp_le_i32_e64 s4, v2, v8
	s_or_b32 s37, s1, s36
	v_cmp_le_i32_e64 s1, v18, v8
	v_cmp_le_i32_e64 s5, v2, v14
	s_cmp_gt_i32 s19, 0
	v_lshl_add_u32 v43, v9, 7, 0x1000
	s_cselect_b32 s39, -1, 0
	s_xor_b32 s3, s33, -1
	s_and_b32 s33, s1, s2
	v_lshl_add_u64 v[16:17], v[16:17], 4, v[22:23]
	v_cmp_le_i32_e64 s1, v18, v14
	v_ashrrev_i32_e32 v9, 31, v8
	v_lshl_add_u64 v[2:3], v[20:21], 4, v[4:5]
	s_delay_alu instid0(VALU_DEP_4)
	v_add_nc_u64_e32 v[16:17], s[6:7], v[16:17]
	s_or_b32 s26, s26, s3
	v_cmp_gt_i32_e64 s3, s18, v14
	s_and_b32 s18, s4, s2
	v_add_nc_u64_e32 v[18:19], s[22:23], v[2:3]
	s_lshl_b64 s[6:7], s[34:35], 7
	v_add_nc_u64_e32 v[16:17], 8, v[16:17]
	s_and_b32 s1, s1, s3
	s_and_b32 s36, s5, s3
	s_lshl_b64 s[2:3], s[20:21], 4
	s_and_b32 s20, s37, s39
	s_lshl_b64 s[4:5], s[16:17], 4
	s_xor_b32 s21, vcc_lo, -1
	s_branch .LBB124_7
.LBB124_6:                              ;   in Loop: Header=BB124_7 Depth=1
	s_wait_xcnt 0x0
	s_or_b32 exec_lo, exec_lo, s16
	s_add_co_i32 s28, s28, 0x10000
	s_delay_alu instid0(SALU_CYCLE_1)
	s_cmp_lt_u32 s28, s27
	s_cbranch_scc0 .LBB124_37
.LBB124_7:                              ; =>This Loop Header: Depth=1
                                        ;     Child Loop BB124_10 Depth 2
	v_mov_b64_e32 v[36:37], 0
	v_mov_b64_e32 v[38:39], 0
	v_mov_b64_e32 v[32:33], 0
	v_mov_b64_e32 v[34:35], 0
	v_mov_b64_e32 v[28:29], 0
	v_mov_b64_e32 v[30:31], 0
	v_mov_b64_e32 v[22:23], 0
	v_mov_b64_e32 v[20:21], 0
	s_and_not1_b32 vcc_lo, exec_lo, s20
	s_cbranch_vccnz .LBB124_16
; %bb.8:                                ;   in Loop: Header=BB124_7 Depth=1
	v_mad_nc_u64_u32 v[24:25], s2, s28, v[16:17]
	v_mad_nc_u64_u32 v[26:27], s4, s28, v[18:19]
	v_mov_b64_e32 v[20:21], 0
	v_mov_b64_e32 v[22:23], 0
	;; [unrolled: 1-line block ×8, first 2 shown]
	s_mov_b32 s16, 0
	v_mad_u32 v25, s3, s28, v25
	v_mad_u32 v27, s5, s28, v27
	s_branch .LBB124_10
.LBB124_9:                              ;   in Loop: Header=BB124_10 Depth=2
	s_wait_xcnt 0x0
	s_or_b32 exec_lo, exec_lo, s17
	s_wait_dscnt 0x0
	s_barrier_signal -1
	s_barrier_wait -1
	ds_load_b128 v[2:5], v43
	ds_load_b128 v[44:47], v42
	ds_load_b128 v[48:51], v42 offset:256
	ds_load_b128 v[52:55], v43 offset:2048
	;; [unrolled: 1-line block ×10, first 2 shown]
	v_add_nc_u64_e32 v[24:25], 0x80, v[24:25]
	v_add_nc_u64_e32 v[26:27], s[6:7], v[26:27]
	s_add_co_i32 s16, s16, 8
	s_delay_alu instid0(SALU_CYCLE_1)
	s_cmp_lt_i32 s16, s19
	s_wait_dscnt 0xa
	v_mul_f64_e32 v[88:89], v[4:5], v[46:47]
	v_mul_f64_e32 v[90:91], v[2:3], v[46:47]
	s_wait_dscnt 0x9
	v_mul_f64_e32 v[92:93], v[4:5], v[50:51]
	v_mul_f64_e32 v[94:95], v[2:3], v[50:51]
	s_wait_dscnt 0x8
	v_mul_f64_e32 v[96:97], v[54:55], v[46:47]
	v_mul_f64_e32 v[98:99], v[52:53], v[46:47]
	v_mul_f64_e32 v[46:47], v[54:55], v[50:51]
	v_mul_f64_e32 v[100:101], v[52:53], v[50:51]
	s_wait_dscnt 0x6
	v_mul_f64_e32 v[102:103], v[58:59], v[62:63]
	v_mul_f64_e32 v[104:105], v[56:57], v[62:63]
	s_wait_dscnt 0x5
	v_mul_f64_e32 v[106:107], v[58:59], v[66:67]
	v_mul_f64_e32 v[108:109], v[56:57], v[66:67]
	s_wait_dscnt 0x4
	v_mul_f64_e32 v[110:111], v[70:71], v[62:63]
	v_mul_f64_e32 v[62:63], v[68:69], v[62:63]
	v_mul_f64_e32 v[112:113], v[70:71], v[66:67]
	v_mul_f64_e32 v[66:67], v[68:69], v[66:67]
	;; [unrolled: 11-line block ×3, first 2 shown]
	v_fma_f64 v[88:89], v[2:3], v[44:45], -v[88:89]
	v_fmac_f64_e32 v[90:91], v[4:5], v[44:45]
	v_fma_f64 v[92:93], v[2:3], v[48:49], -v[92:93]
	v_fmac_f64_e32 v[94:95], v[4:5], v[48:49]
	;; [unrolled: 2-line block ×8, first 2 shown]
	ds_load_b128 v[2:5], v43 offset:48
	ds_load_b128 v[44:47], v43 offset:2096
	;; [unrolled: 1-line block ×4, first 2 shown]
	v_fma_f64 v[116:117], v[72:73], v[76:77], -v[116:117]
	v_fmac_f64_e32 v[118:119], v[74:75], v[76:77]
	v_fma_f64 v[72:73], v[72:73], v[80:81], -v[120:121]
	v_fmac_f64_e32 v[122:123], v[74:75], v[80:81]
	;; [unrolled: 2-line block ×4, first 2 shown]
	v_add_f64_e32 v[64:65], v[36:37], v[88:89]
	v_add_f64_e32 v[68:69], v[90:91], v[38:39]
	v_add_f64_e32 v[70:71], v[32:33], v[92:93]
	v_add_f64_e32 v[88:89], v[94:95], v[34:35]
	v_add_f64_e32 v[90:91], v[28:29], v[96:97]
	v_add_f64_e32 v[92:93], v[98:99], v[30:31]
	v_add_f64_e32 v[94:95], v[22:23], v[114:115]
	v_add_f64_e32 v[96:97], v[100:101], v[20:21]
	s_wait_dscnt 0x1
	v_mul_f64_e32 v[98:99], v[4:5], v[50:51]
	v_mul_f64_e32 v[100:101], v[2:3], v[50:51]
	s_wait_dscnt 0x0
	v_mul_f64_e32 v[106:107], v[4:5], v[54:55]
	v_mul_f64_e32 v[110:111], v[2:3], v[54:55]
	;; [unrolled: 1-line block ×6, first 2 shown]
	ds_load_b128 v[20:23], v43 offset:64
	ds_load_b128 v[28:31], v42 offset:2048
	;; [unrolled: 1-line block ×4, first 2 shown]
	v_add_f64_e32 v[80:81], v[64:65], v[102:103]
	v_add_f64_e32 v[84:85], v[104:105], v[68:69]
	;; [unrolled: 1-line block ×8, first 2 shown]
	s_wait_dscnt 0x2
	v_mul_f64_e32 v[96:97], v[22:23], v[30:31]
	v_mul_f64_e32 v[102:103], v[20:21], v[30:31]
	s_wait_dscnt 0x1
	v_mul_f64_e32 v[104:105], v[22:23], v[34:35]
	v_mul_f64_e32 v[108:109], v[20:21], v[34:35]
	;; [unrolled: 3-line block ×3, first 2 shown]
	v_mul_f64_e32 v[30:31], v[38:39], v[34:35]
	v_mul_f64_e32 v[126:127], v[36:37], v[34:35]
	v_fma_f64 v[34:35], v[2:3], v[48:49], -v[98:99]
	v_fmac_f64_e32 v[100:101], v[4:5], v[48:49]
	v_fma_f64 v[98:99], v[2:3], v[52:53], -v[106:107]
	v_fmac_f64_e32 v[110:111], v[4:5], v[52:53]
	v_fma_f64 v[106:107], v[44:45], v[48:49], -v[112:113]
	v_fmac_f64_e32 v[114:115], v[46:47], v[48:49]
	v_fma_f64 v[112:113], v[44:45], v[52:53], -v[50:51]
	v_fmac_f64_e32 v[128:129], v[46:47], v[52:53]
	ds_load_b128 v[54:57], v43 offset:80
	ds_load_b128 v[58:61], v43 offset:2128
	;; [unrolled: 1-line block ×4, first 2 shown]
	v_add_f64_e32 v[52:53], v[80:81], v[116:117]
	v_add_f64_e32 v[80:81], v[118:119], v[84:85]
	;; [unrolled: 1-line block ×8, first 2 shown]
	v_fma_f64 v[96:97], v[20:21], v[28:29], -v[96:97]
	v_fmac_f64_e32 v[102:103], v[22:23], v[28:29]
	v_fma_f64 v[104:105], v[20:21], v[32:33], -v[104:105]
	s_wait_dscnt 0x1
	v_mul_f64_e32 v[88:89], v[56:57], v[64:65]
	v_mul_f64_e32 v[90:91], v[54:55], v[64:65]
	s_wait_dscnt 0x0
	v_mul_f64_e32 v[92:93], v[56:57], v[68:69]
	v_mul_f64_e32 v[94:95], v[54:55], v[68:69]
	;; [unrolled: 1-line block ×6, first 2 shown]
	v_fmac_f64_e32 v[108:109], v[22:23], v[32:33]
	v_fma_f64 v[120:121], v[36:37], v[28:29], -v[120:121]
	v_fmac_f64_e32 v[124:125], v[38:39], v[28:29]
	v_fma_f64 v[122:123], v[36:37], v[32:33], -v[30:31]
	v_fmac_f64_e32 v[126:127], v[38:39], v[32:33]
	ds_load_b128 v[2:5], v43 offset:96
	ds_load_b128 v[44:47], v42 offset:3072
	;; [unrolled: 1-line block ×4, first 2 shown]
	v_add_f64_e32 v[52:53], v[52:53], v[34:35]
	v_add_f64_e32 v[80:81], v[100:101], v[80:81]
	;; [unrolled: 1-line block ×8, first 2 shown]
	ds_load_b128 v[20:23], v43 offset:112
	ds_load_b128 v[28:31], v43 offset:2160
	;; [unrolled: 1-line block ×4, first 2 shown]
	s_wait_dscnt 0x0
	v_mul_f64_e32 v[98:99], v[4:5], v[46:47]
	v_mul_f64_e32 v[100:101], v[2:3], v[46:47]
	v_mul_f64_e32 v[106:107], v[4:5], v[50:51]
	v_mul_f64_e32 v[110:111], v[2:3], v[50:51]
	v_mul_f64_e32 v[112:113], v[72:73], v[46:47]
	v_mul_f64_e32 v[46:47], v[70:71], v[46:47]
	v_mul_f64_e32 v[114:115], v[72:73], v[50:51]
	v_mul_f64_e32 v[50:51], v[70:71], v[50:51]
	v_fma_f64 v[88:89], v[54:55], v[62:63], -v[88:89]
	v_fmac_f64_e32 v[90:91], v[56:57], v[62:63]
	v_fma_f64 v[54:55], v[54:55], v[66:67], -v[92:93]
	v_fmac_f64_e32 v[94:95], v[56:57], v[66:67]
	v_fma_f64 v[56:57], v[58:59], v[62:63], -v[116:117]
	v_fmac_f64_e32 v[64:65], v[60:61], v[62:63]
	v_fma_f64 v[58:59], v[58:59], v[66:67], -v[118:119]
	v_fmac_f64_e32 v[68:69], v[60:61], v[66:67]
	s_barrier_signal -1
	s_barrier_wait -1
	v_mul_f64_e32 v[92:93], v[20:21], v[38:39]
	v_add_f64_e32 v[52:53], v[52:53], v[96:97]
	v_add_f64_e32 v[60:61], v[102:103], v[80:81]
	v_add_f64_e32 v[62:63], v[84:85], v[104:105]
	v_add_f64_e32 v[66:67], v[108:109], v[86:87]
	v_add_f64_e32 v[74:75], v[74:75], v[120:121]
	v_add_f64_e32 v[78:79], v[124:125], v[78:79]
	v_add_f64_e32 v[76:77], v[76:77], v[122:123]
	v_add_f64_e32 v[80:81], v[126:127], v[82:83]
	v_mul_f64_e32 v[82:83], v[22:23], v[34:35]
	v_mul_f64_e32 v[84:85], v[20:21], v[34:35]
	;; [unrolled: 1-line block ×7, first 2 shown]
	v_fma_f64 v[38:39], v[2:3], v[44:45], -v[98:99]
	v_fmac_f64_e32 v[100:101], v[4:5], v[44:45]
	v_fma_f64 v[2:3], v[2:3], v[48:49], -v[106:107]
	v_fmac_f64_e32 v[110:111], v[4:5], v[48:49]
	;; [unrolled: 2-line block ×4, first 2 shown]
	v_fmac_f64_e32 v[92:93], v[22:23], v[36:37]
	v_add_f64_e32 v[48:49], v[52:53], v[88:89]
	v_add_f64_e32 v[52:53], v[90:91], v[60:61]
	;; [unrolled: 1-line block ×8, first 2 shown]
	v_fma_f64 v[66:67], v[20:21], v[32:33], -v[82:83]
	v_fmac_f64_e32 v[84:85], v[22:23], v[32:33]
	v_fma_f64 v[20:21], v[20:21], v[36:37], -v[86:87]
	v_fma_f64 v[22:23], v[28:29], v[32:33], -v[96:97]
	v_fmac_f64_e32 v[102:103], v[30:31], v[32:33]
	v_fma_f64 v[68:69], v[28:29], v[36:37], -v[34:35]
	v_fmac_f64_e32 v[104:105], v[30:31], v[36:37]
	v_add_f64_e32 v[28:29], v[48:49], v[38:39]
	v_add_f64_e32 v[30:31], v[100:101], v[52:53]
	;; [unrolled: 1-line block ×16, first 2 shown]
	s_cbranch_scc0 .LBB124_16
.LBB124_10:                             ;   Parent Loop BB124_7 Depth=1
                                        ; =>  This Inner Loop Header: Depth=2
	v_add_nc_u32_e32 v1, s16, v40
	v_mov_b64_e32 v[2:3], 0
	v_mov_b64_e32 v[4:5], 0
	s_delay_alu instid0(VALU_DEP_3) | instskip(SKIP_1) | instid1(SALU_CYCLE_1)
	v_cmp_gt_i32_e32 vcc_lo, s19, v1
	s_and_b32 s22, s0, vcc_lo
	s_and_saveexec_b32 s17, s22
	s_cbranch_execz .LBB124_12
; %bb.11:                               ;   in Loop: Header=BB124_10 Depth=2
	global_load_b128 v[2:5], v[24:25], off offset:-8
	s_wait_loadcnt 0x0
	v_xor_b32_e32 v5, 0x80000000, v5
.LBB124_12:                             ;   in Loop: Header=BB124_10 Depth=2
	s_wait_xcnt 0x0
	s_or_b32 exec_lo, exec_lo, s17
	v_add_nc_u32_e32 v1, s16, v6
	ds_store_b128 v7, v[2:5]
	v_cmp_le_i32_e32 vcc_lo, s19, v1
	s_or_b32 s17, vcc_lo, s21
	s_delay_alu instid0(SALU_CYCLE_1) | instskip(NEXT) | instid1(SALU_CYCLE_1)
	s_and_saveexec_b32 s22, s17
	s_xor_b32 s17, exec_lo, s22
; %bb.13:                               ;   in Loop: Header=BB124_10 Depth=2
	v_dual_mov_b32 v1, v0 :: v_dual_mov_b32 v2, v0
	v_mov_b32_e32 v3, v0
	ds_store_b128 v41, v[0:3]
; %bb.14:                               ;   in Loop: Header=BB124_10 Depth=2
	s_and_not1_saveexec_b32 s17, s17
	s_cbranch_execz .LBB124_9
; %bb.15:                               ;   in Loop: Header=BB124_10 Depth=2
	global_load_b128 v[2:5], v[26:27], off
	s_wait_loadcnt 0x0
	ds_store_2addr_b64 v41, v[2:3], v[4:5] offset1:1
	s_branch .LBB124_9
.LBB124_16:                             ;   in Loop: Header=BB124_7 Depth=1
	s_mul_u64 s[16:17], s[30:31], s[28:29]
	s_delay_alu instid0(SALU_CYCLE_1) | instskip(NEXT) | instid1(SALU_CYCLE_1)
	s_lshl_b64 s[16:17], s[16:17], 4
	s_add_nc_u64 s[16:17], s[24:25], s[16:17]
	s_delay_alu instid0(SALU_CYCLE_1)
	v_lshl_add_u64 v[24:25], v[10:11], 4, s[16:17]
	s_and_saveexec_b32 s22, s33
	s_cbranch_execz .LBB124_21
; %bb.17:                               ;   in Loop: Header=BB124_7 Depth=1
	v_mul_f64_e32 v[2:3], s[14:15], v[38:39]
	v_mul_f64_e32 v[4:5], s[12:13], v[38:39]
	v_lshl_add_u64 v[26:27], v[8:9], 4, v[24:25]
	s_and_b32 vcc_lo, exec_lo, s26
	s_mov_b32 s23, -1
	s_delay_alu instid0(VALU_DEP_3) | instskip(NEXT) | instid1(VALU_DEP_3)
	v_fma_f64 v[2:3], s[12:13], v[36:37], -v[2:3]
	v_fmac_f64_e32 v[4:5], s[14:15], v[36:37]
	s_cbranch_vccz .LBB124_19
; %bb.18:                               ;   in Loop: Header=BB124_7 Depth=1
	global_load_b128 v[36:39], v[26:27], off
	s_mov_b32 s23, 0
	s_wait_loadcnt 0x0
	v_mul_f64_e32 v[44:45], s[10:11], v[38:39]
	v_mul_f64_e32 v[38:39], s[8:9], v[38:39]
	s_delay_alu instid0(VALU_DEP_2) | instskip(NEXT) | instid1(VALU_DEP_2)
	v_fma_f64 v[44:45], s[8:9], v[36:37], -v[44:45]
	v_fmac_f64_e32 v[38:39], s[10:11], v[36:37]
	s_delay_alu instid0(VALU_DEP_2) | instskip(NEXT) | instid1(VALU_DEP_2)
	v_add_f64_e32 v[36:37], v[2:3], v[44:45]
	v_add_f64_e32 v[38:39], v[4:5], v[38:39]
	global_store_b128 v[26:27], v[36:39], off
.LBB124_19:                             ;   in Loop: Header=BB124_7 Depth=1
	s_and_not1_b32 vcc_lo, exec_lo, s23
	s_cbranch_vccnz .LBB124_21
; %bb.20:                               ;   in Loop: Header=BB124_7 Depth=1
	global_store_b128 v[26:27], v[2:5], off
.LBB124_21:                             ;   in Loop: Header=BB124_7 Depth=1
	s_wait_xcnt 0x0
	s_or_b32 exec_lo, exec_lo, s22
	s_and_saveexec_b32 s22, s1
	s_cbranch_execz .LBB124_26
; %bb.22:                               ;   in Loop: Header=BB124_7 Depth=1
	v_mul_f64_e32 v[2:3], s[14:15], v[34:35]
	v_mul_f64_e32 v[4:5], s[12:13], v[34:35]
	v_lshl_add_u64 v[24:25], v[14:15], 4, v[24:25]
	s_and_not1_b32 vcc_lo, exec_lo, s26
	s_mov_b32 s23, -1
	s_delay_alu instid0(VALU_DEP_3) | instskip(NEXT) | instid1(VALU_DEP_3)
	v_fma_f64 v[2:3], s[12:13], v[32:33], -v[2:3]
	v_fmac_f64_e32 v[4:5], s[14:15], v[32:33]
	s_cbranch_vccnz .LBB124_24
; %bb.23:                               ;   in Loop: Header=BB124_7 Depth=1
	global_load_b128 v[32:35], v[24:25], off
	s_mov_b32 s23, 0
	s_wait_loadcnt 0x0
	v_mul_f64_e32 v[26:27], s[10:11], v[34:35]
	v_mul_f64_e32 v[34:35], s[8:9], v[34:35]
	s_delay_alu instid0(VALU_DEP_2) | instskip(NEXT) | instid1(VALU_DEP_2)
	v_fma_f64 v[26:27], s[8:9], v[32:33], -v[26:27]
	v_fmac_f64_e32 v[34:35], s[10:11], v[32:33]
	s_delay_alu instid0(VALU_DEP_2) | instskip(NEXT) | instid1(VALU_DEP_2)
	v_add_f64_e32 v[32:33], v[2:3], v[26:27]
	v_add_f64_e32 v[34:35], v[4:5], v[34:35]
	global_store_b128 v[24:25], v[32:35], off
.LBB124_24:                             ;   in Loop: Header=BB124_7 Depth=1
	s_and_not1_b32 vcc_lo, exec_lo, s23
	s_cbranch_vccnz .LBB124_26
; %bb.25:                               ;   in Loop: Header=BB124_7 Depth=1
	global_store_b128 v[24:25], v[2:5], off
.LBB124_26:                             ;   in Loop: Header=BB124_7 Depth=1
	s_wait_xcnt 0x0
	s_or_b32 exec_lo, exec_lo, s22
	v_lshl_add_u64 v[24:25], v[12:13], 4, s[16:17]
	s_and_saveexec_b32 s16, s18
	s_cbranch_execz .LBB124_31
; %bb.27:                               ;   in Loop: Header=BB124_7 Depth=1
	v_mul_f64_e32 v[2:3], s[14:15], v[30:31]
	v_mul_f64_e32 v[4:5], s[12:13], v[30:31]
	v_lshl_add_u64 v[26:27], v[8:9], 4, v[24:25]
	s_and_not1_b32 vcc_lo, exec_lo, s26
	s_mov_b32 s17, -1
	s_delay_alu instid0(VALU_DEP_3) | instskip(NEXT) | instid1(VALU_DEP_3)
	v_fma_f64 v[2:3], s[12:13], v[28:29], -v[2:3]
	v_fmac_f64_e32 v[4:5], s[14:15], v[28:29]
	s_cbranch_vccnz .LBB124_29
; %bb.28:                               ;   in Loop: Header=BB124_7 Depth=1
	global_load_b128 v[28:31], v[26:27], off
	s_mov_b32 s17, 0
	s_wait_loadcnt 0x0
	v_mul_f64_e32 v[32:33], s[10:11], v[30:31]
	v_mul_f64_e32 v[30:31], s[8:9], v[30:31]
	s_delay_alu instid0(VALU_DEP_2) | instskip(NEXT) | instid1(VALU_DEP_2)
	v_fma_f64 v[32:33], s[8:9], v[28:29], -v[32:33]
	v_fmac_f64_e32 v[30:31], s[10:11], v[28:29]
	s_delay_alu instid0(VALU_DEP_2) | instskip(NEXT) | instid1(VALU_DEP_2)
	v_add_f64_e32 v[28:29], v[2:3], v[32:33]
	v_add_f64_e32 v[30:31], v[4:5], v[30:31]
	global_store_b128 v[26:27], v[28:31], off
.LBB124_29:                             ;   in Loop: Header=BB124_7 Depth=1
	s_and_not1_b32 vcc_lo, exec_lo, s17
	s_cbranch_vccnz .LBB124_31
; %bb.30:                               ;   in Loop: Header=BB124_7 Depth=1
	global_store_b128 v[26:27], v[2:5], off
.LBB124_31:                             ;   in Loop: Header=BB124_7 Depth=1
	s_wait_xcnt 0x0
	s_or_b32 exec_lo, exec_lo, s16
	s_and_saveexec_b32 s16, s36
	s_cbranch_execz .LBB124_6
; %bb.32:                               ;   in Loop: Header=BB124_7 Depth=1
	s_delay_alu instid0(VALU_DEP_3) | instskip(SKIP_4) | instid1(VALU_DEP_3)
	v_mul_f64_e32 v[2:3], s[14:15], v[20:21]
	v_mul_f64_e32 v[4:5], s[12:13], v[20:21]
	v_lshl_add_u64 v[20:21], v[14:15], 4, v[24:25]
	s_and_not1_b32 vcc_lo, exec_lo, s26
	s_mov_b32 s17, -1
	v_fma_f64 v[2:3], s[12:13], v[22:23], -v[2:3]
	s_delay_alu instid0(VALU_DEP_3)
	v_fmac_f64_e32 v[4:5], s[14:15], v[22:23]
	s_cbranch_vccnz .LBB124_34
; %bb.33:                               ;   in Loop: Header=BB124_7 Depth=1
	global_load_b128 v[22:25], v[20:21], off
	s_mov_b32 s17, 0
	s_wait_loadcnt 0x0
	v_mul_f64_e32 v[26:27], s[10:11], v[24:25]
	v_mul_f64_e32 v[24:25], s[8:9], v[24:25]
	s_delay_alu instid0(VALU_DEP_2) | instskip(NEXT) | instid1(VALU_DEP_2)
	v_fma_f64 v[26:27], s[8:9], v[22:23], -v[26:27]
	v_fmac_f64_e32 v[24:25], s[10:11], v[22:23]
	s_delay_alu instid0(VALU_DEP_2) | instskip(NEXT) | instid1(VALU_DEP_2)
	v_add_f64_e32 v[22:23], v[2:3], v[26:27]
	v_add_f64_e32 v[24:25], v[4:5], v[24:25]
	global_store_b128 v[20:21], v[22:25], off
.LBB124_34:                             ;   in Loop: Header=BB124_7 Depth=1
	s_and_not1_b32 vcc_lo, exec_lo, s17
	s_cbranch_vccnz .LBB124_6
; %bb.35:                               ;   in Loop: Header=BB124_7 Depth=1
	global_store_b128 v[20:21], v[2:5], off
	s_branch .LBB124_6
.LBB124_36:
.LBB124_37:
	s_sendmsg sendmsg(MSG_DEALLOC_VGPRS)
	s_endpgm
	.section	.rodata,"a",@progbits
	.p2align	6, 0x0
	.amdhsa_kernel _ZL29rocblas_internal_gemmt_kernelIiLi16ELi32ELi8ELc67ELc84ELc76ELb1ELb0E19rocblas_complex_numIdEPKS1_S3_PS1_EviT_T9_T10_S5_lS7_S5_lS6_T11_S5_li
		.amdhsa_group_segment_fixed_size 8192
		.amdhsa_private_segment_fixed_size 0
		.amdhsa_kernarg_size 100
		.amdhsa_user_sgpr_count 2
		.amdhsa_user_sgpr_dispatch_ptr 0
		.amdhsa_user_sgpr_queue_ptr 0
		.amdhsa_user_sgpr_kernarg_segment_ptr 1
		.amdhsa_user_sgpr_dispatch_id 0
		.amdhsa_user_sgpr_kernarg_preload_length 0
		.amdhsa_user_sgpr_kernarg_preload_offset 0
		.amdhsa_user_sgpr_private_segment_size 0
		.amdhsa_wavefront_size32 1
		.amdhsa_uses_dynamic_stack 0
		.amdhsa_enable_private_segment 0
		.amdhsa_system_sgpr_workgroup_id_x 1
		.amdhsa_system_sgpr_workgroup_id_y 1
		.amdhsa_system_sgpr_workgroup_id_z 1
		.amdhsa_system_sgpr_workgroup_info 0
		.amdhsa_system_vgpr_workitem_id 1
		.amdhsa_next_free_vgpr 130
		.amdhsa_next_free_sgpr 41
		.amdhsa_named_barrier_count 0
		.amdhsa_reserve_vcc 1
		.amdhsa_float_round_mode_32 0
		.amdhsa_float_round_mode_16_64 0
		.amdhsa_float_denorm_mode_32 3
		.amdhsa_float_denorm_mode_16_64 3
		.amdhsa_fp16_overflow 0
		.amdhsa_memory_ordered 1
		.amdhsa_forward_progress 1
		.amdhsa_inst_pref_size 23
		.amdhsa_round_robin_scheduling 0
		.amdhsa_exception_fp_ieee_invalid_op 0
		.amdhsa_exception_fp_denorm_src 0
		.amdhsa_exception_fp_ieee_div_zero 0
		.amdhsa_exception_fp_ieee_overflow 0
		.amdhsa_exception_fp_ieee_underflow 0
		.amdhsa_exception_fp_ieee_inexact 0
		.amdhsa_exception_int_div_zero 0
	.end_amdhsa_kernel
	.section	.text._ZL29rocblas_internal_gemmt_kernelIiLi16ELi32ELi8ELc67ELc84ELc76ELb1ELb0E19rocblas_complex_numIdEPKS1_S3_PS1_EviT_T9_T10_S5_lS7_S5_lS6_T11_S5_li,"axG",@progbits,_ZL29rocblas_internal_gemmt_kernelIiLi16ELi32ELi8ELc67ELc84ELc76ELb1ELb0E19rocblas_complex_numIdEPKS1_S3_PS1_EviT_T9_T10_S5_lS7_S5_lS6_T11_S5_li,comdat
.Lfunc_end124:
	.size	_ZL29rocblas_internal_gemmt_kernelIiLi16ELi32ELi8ELc67ELc84ELc76ELb1ELb0E19rocblas_complex_numIdEPKS1_S3_PS1_EviT_T9_T10_S5_lS7_S5_lS6_T11_S5_li, .Lfunc_end124-_ZL29rocblas_internal_gemmt_kernelIiLi16ELi32ELi8ELc67ELc84ELc76ELb1ELb0E19rocblas_complex_numIdEPKS1_S3_PS1_EviT_T9_T10_S5_lS7_S5_lS6_T11_S5_li
                                        ; -- End function
	.set _ZL29rocblas_internal_gemmt_kernelIiLi16ELi32ELi8ELc67ELc84ELc76ELb1ELb0E19rocblas_complex_numIdEPKS1_S3_PS1_EviT_T9_T10_S5_lS7_S5_lS6_T11_S5_li.num_vgpr, 130
	.set _ZL29rocblas_internal_gemmt_kernelIiLi16ELi32ELi8ELc67ELc84ELc76ELb1ELb0E19rocblas_complex_numIdEPKS1_S3_PS1_EviT_T9_T10_S5_lS7_S5_lS6_T11_S5_li.num_agpr, 0
	.set _ZL29rocblas_internal_gemmt_kernelIiLi16ELi32ELi8ELc67ELc84ELc76ELb1ELb0E19rocblas_complex_numIdEPKS1_S3_PS1_EviT_T9_T10_S5_lS7_S5_lS6_T11_S5_li.numbered_sgpr, 41
	.set _ZL29rocblas_internal_gemmt_kernelIiLi16ELi32ELi8ELc67ELc84ELc76ELb1ELb0E19rocblas_complex_numIdEPKS1_S3_PS1_EviT_T9_T10_S5_lS7_S5_lS6_T11_S5_li.num_named_barrier, 0
	.set _ZL29rocblas_internal_gemmt_kernelIiLi16ELi32ELi8ELc67ELc84ELc76ELb1ELb0E19rocblas_complex_numIdEPKS1_S3_PS1_EviT_T9_T10_S5_lS7_S5_lS6_T11_S5_li.private_seg_size, 0
	.set _ZL29rocblas_internal_gemmt_kernelIiLi16ELi32ELi8ELc67ELc84ELc76ELb1ELb0E19rocblas_complex_numIdEPKS1_S3_PS1_EviT_T9_T10_S5_lS7_S5_lS6_T11_S5_li.uses_vcc, 1
	.set _ZL29rocblas_internal_gemmt_kernelIiLi16ELi32ELi8ELc67ELc84ELc76ELb1ELb0E19rocblas_complex_numIdEPKS1_S3_PS1_EviT_T9_T10_S5_lS7_S5_lS6_T11_S5_li.uses_flat_scratch, 0
	.set _ZL29rocblas_internal_gemmt_kernelIiLi16ELi32ELi8ELc67ELc84ELc76ELb1ELb0E19rocblas_complex_numIdEPKS1_S3_PS1_EviT_T9_T10_S5_lS7_S5_lS6_T11_S5_li.has_dyn_sized_stack, 0
	.set _ZL29rocblas_internal_gemmt_kernelIiLi16ELi32ELi8ELc67ELc84ELc76ELb1ELb0E19rocblas_complex_numIdEPKS1_S3_PS1_EviT_T9_T10_S5_lS7_S5_lS6_T11_S5_li.has_recursion, 0
	.set _ZL29rocblas_internal_gemmt_kernelIiLi16ELi32ELi8ELc67ELc84ELc76ELb1ELb0E19rocblas_complex_numIdEPKS1_S3_PS1_EviT_T9_T10_S5_lS7_S5_lS6_T11_S5_li.has_indirect_call, 0
	.section	.AMDGPU.csdata,"",@progbits
; Kernel info:
; codeLenInByte = 2944
; TotalNumSgprs: 43
; NumVgprs: 130
; ScratchSize: 0
; MemoryBound: 1
; FloatMode: 240
; IeeeMode: 1
; LDSByteSize: 8192 bytes/workgroup (compile time only)
; SGPRBlocks: 0
; VGPRBlocks: 8
; NumSGPRsForWavesPerEU: 43
; NumVGPRsForWavesPerEU: 130
; NamedBarCnt: 0
; Occupancy: 7
; WaveLimiterHint : 0
; COMPUTE_PGM_RSRC2:SCRATCH_EN: 0
; COMPUTE_PGM_RSRC2:USER_SGPR: 2
; COMPUTE_PGM_RSRC2:TRAP_HANDLER: 0
; COMPUTE_PGM_RSRC2:TGID_X_EN: 1
; COMPUTE_PGM_RSRC2:TGID_Y_EN: 1
; COMPUTE_PGM_RSRC2:TGID_Z_EN: 1
; COMPUTE_PGM_RSRC2:TIDIG_COMP_CNT: 1
	.section	.text._ZL29rocblas_internal_gemmt_kernelIiLi16ELi32ELi8ELc67ELc67ELc76ELb1ELb1E19rocblas_complex_numIdEPKS1_S3_PS1_EviT_T9_T10_S5_lS7_S5_lS6_T11_S5_li,"axG",@progbits,_ZL29rocblas_internal_gemmt_kernelIiLi16ELi32ELi8ELc67ELc67ELc76ELb1ELb1E19rocblas_complex_numIdEPKS1_S3_PS1_EviT_T9_T10_S5_lS7_S5_lS6_T11_S5_li,comdat
	.globl	_ZL29rocblas_internal_gemmt_kernelIiLi16ELi32ELi8ELc67ELc67ELc76ELb1ELb1E19rocblas_complex_numIdEPKS1_S3_PS1_EviT_T9_T10_S5_lS7_S5_lS6_T11_S5_li ; -- Begin function _ZL29rocblas_internal_gemmt_kernelIiLi16ELi32ELi8ELc67ELc67ELc76ELb1ELb1E19rocblas_complex_numIdEPKS1_S3_PS1_EviT_T9_T10_S5_lS7_S5_lS6_T11_S5_li
	.p2align	8
	.type	_ZL29rocblas_internal_gemmt_kernelIiLi16ELi32ELi8ELc67ELc67ELc76ELb1ELb1E19rocblas_complex_numIdEPKS1_S3_PS1_EviT_T9_T10_S5_lS7_S5_lS6_T11_S5_li,@function
_ZL29rocblas_internal_gemmt_kernelIiLi16ELi32ELi8ELc67ELc67ELc76ELb1ELb1E19rocblas_complex_numIdEPKS1_S3_PS1_EviT_T9_T10_S5_lS7_S5_lS6_T11_S5_li: ; @_ZL29rocblas_internal_gemmt_kernelIiLi16ELi32ELi8ELc67ELc67ELc76ELb1ELb1E19rocblas_complex_numIdEPKS1_S3_PS1_EviT_T9_T10_S5_lS7_S5_lS6_T11_S5_li
; %bb.0:
	s_load_b128 s[16:19], s[0:1], 0x38
	s_wait_kmcnt 0x0
	s_load_b128 s[8:11], s[18:19], 0x0
	s_load_b128 s[4:7], s[0:1], 0x8
	s_wait_xcnt 0x0
	s_load_b64 s[18:19], s[0:1], 0x0
	s_wait_kmcnt 0x0
	v_cmp_eq_f64_e64 s2, s[8:9], 1.0
	v_cmp_eq_f64_e64 s33, s[10:11], 0
	s_load_b128 s[12:15], s[4:5], 0x0
	s_and_b32 s2, s2, s33
	s_delay_alu instid0(SALU_CYCLE_1)
	s_and_not1_b32 vcc_lo, exec_lo, s2
	s_mov_b32 s2, -1
	s_cbranch_vccnz .LBB125_3
; %bb.1:
	s_cmp_lg_u32 s19, 0
	s_cbranch_scc0 .LBB125_34
; %bb.2:
	s_wait_kmcnt 0x0
	v_cmp_neq_f64_e64 s2, s[12:13], 0
	v_cmp_neq_f64_e64 s3, s[14:15], 0
	s_or_b32 s2, s2, s3
.LBB125_3:
	s_delay_alu instid0(SALU_CYCLE_1)
	s_and_b32 vcc_lo, exec_lo, s2
	s_cbranch_vccz .LBB125_35
; %bb.4:
	s_load_b32 s27, s[0:1], 0x60
	s_bfe_u32 s2, ttmp6, 0x40014
	s_lshr_b32 s3, ttmp7, 16
	s_add_co_i32 s2, s2, 1
	s_wait_xcnt 0x0
	s_bfe_u32 s5, ttmp6, 0x40008
	s_mul_i32 s2, s3, s2
	s_getreg_b32 s4, hwreg(HW_REG_IB_STS2, 6, 4)
	s_add_co_i32 s5, s5, s2
	s_cmp_eq_u32 s4, 0
	s_mov_b32 s29, 0
	s_cselect_b32 s28, s3, s5
	s_wait_kmcnt 0x0
	s_cmp_ge_u32 s28, s27
	s_cbranch_scc1 .LBB125_35
; %bb.5:
	s_clause 0x3
	s_load_b32 s2, s[0:1], 0x18
	s_load_b32 s34, s[0:1], 0x30
	s_load_b96 s[24:26], s[0:1], 0x48
	s_load_b128 s[20:23], s[0:1], 0x20
	v_and_b32_e32 v11, 0x3ff, v0
	v_bfe_u32 v17, v0, 10, 10
	s_load_b64 s[30:31], s[0:1], 0x58
	s_wait_xcnt 0x0
	s_bfe_u32 s1, ttmp6, 0x4000c
	s_bfe_u32 s3, ttmp6, 0x40010
	s_and_b32 s36, ttmp7, 0xffff
	s_add_co_i32 s1, s1, 1
	s_add_co_i32 s3, s3, 1
	v_lshl_add_u32 v3, v17, 4, v11
	s_and_b32 s0, ttmp6, 15
	s_mul_i32 s1, ttmp9, s1
	s_mul_i32 s39, s36, s3
	s_bfe_u32 s40, ttmp6, 0x40004
	s_add_co_i32 s0, s0, s1
	s_add_co_i32 s40, s40, s39
	v_dual_mov_b32 v1, 0 :: v_dual_bitop2_b32 v10, 31, v3 bitop3:0x40
	s_wait_kmcnt 0x0
	s_ashr_i32 s3, s2, 31
	s_ashr_i32 s35, s34, 31
	s_ashr_i32 s5, s26, 31
	s_cmp_eq_u32 s4, 0
	v_dual_lshrrev_b32 v0, 3, v3 :: v_dual_bitop2_b32 v8, 7, v0 bitop3:0x40
	s_cselect_b32 s0, ttmp9, s0
	s_cselect_b32 s1, s36, s40
	s_lshl_b32 s36, s0, 5
	s_delay_alu instid0(SALU_CYCLE_1) | instskip(SKIP_3) | instid1(VALU_DEP_3)
	v_dual_lshrrev_b32 v42, 5, v3 :: v_dual_bitop2_b32 v2, s36, v10 bitop3:0x54
	s_lshl_b32 s0, s1, 5
	v_cmp_neq_f64_e64 s37, s[12:13], 0
	v_dual_mov_b32 v9, v1 :: v_dual_add_nc_u32 v18, s0, v0
	v_dual_add_nc_u32 v20, s0, v17 :: v_dual_ashrrev_i32 v3, 31, v2
	v_cmp_neq_f64_e64 s38, s[14:15], 0
	s_delay_alu instid0(VALU_DEP_3)
	v_mul_u64_e32 v[6:7], s[34:35], v[8:9]
	v_cmp_gt_i32_e64 s0, s18, v2
	v_cmp_neq_f64_e64 s39, s[8:9], 0
	v_mul_u64_e32 v[4:5], s[2:3], v[2:3]
	v_dual_lshlrev_b32 v3, 4, v8 :: v_dual_lshlrev_b32 v9, 4, v10
	v_dual_add_nc_u32 v2, 16, v20 :: v_dual_ashrrev_i32 v21, 31, v20
	s_mov_b32 s4, s26
	s_delay_alu instid0(VALU_DEP_2) | instskip(NEXT) | instid1(VALU_DEP_2)
	v_lshl_or_b32 v0, v0, 7, v3
	v_dual_add_nc_u32 v10, s36, v11 :: v_dual_ashrrev_i32 v3, 31, v2
	s_delay_alu instid0(VALU_DEP_3) | instskip(SKIP_2) | instid1(VALU_DEP_4)
	v_mul_u64_e32 v[12:13], s[4:5], v[20:21]
	v_dual_ashrrev_i32 v19, 31, v18 :: v_dual_lshlrev_b32 v44, 4, v11
	v_cmp_gt_i32_e64 s1, s18, v18
	v_mul_u64_e32 v[14:15], s[4:5], v[2:3]
	v_add_nc_u32_e32 v43, 0x1000, v0
	s_delay_alu instid0(VALU_DEP_4) | instskip(SKIP_4) | instid1(VALU_DEP_4)
	v_lshlrev_b64_e32 v[18:19], 4, v[18:19]
	v_dual_add_nc_u32 v16, 16, v10 :: v_dual_ashrrev_i32 v11, 31, v10
	v_lshlrev_b32_e32 v0, 4, v42
	v_lshl_add_u32 v45, v17, 7, 0x1000
	v_cmp_le_i32_e64 s4, v2, v10
	v_ashrrev_i32_e32 v17, 31, v16
	v_cmp_le_i32_e64 s5, v2, v16
	v_cmp_le_i32_e32 vcc_lo, v20, v10
	v_cmp_gt_i32_e64 s2, s18, v10
	v_lshl_or_b32 v9, v42, 9, v9
	s_or_b32 s37, s37, s38
	s_cmp_gt_i32 s19, 0
	s_cselect_b32 s38, -1, 0
	v_lshl_add_u64 v[0:1], v[4:5], 4, v[0:1]
	v_lshl_add_u64 v[4:5], v[6:7], 4, v[18:19]
	s_xor_b32 s3, s33, -1
	s_and_b32 s33, vcc_lo, s2
	s_or_b32 s26, s39, s3
	v_add_nc_u64_e32 v[0:1], s[6:7], v[0:1]
	v_add_nc_u64_e32 v[2:3], s[22:23], v[4:5]
	v_cmp_le_i32_e32 vcc_lo, v20, v16
	v_cmp_gt_i32_e64 s3, s18, v16
	s_and_b32 s22, s4, s2
	s_and_b32 s36, s37, s38
	s_lshl_b64 s[6:7], s[34:35], 7
	v_add_nc_u64_e32 v[18:19], 8, v[0:1]
	v_add_nc_u64_e32 v[20:21], 8, v[2:3]
	s_and_b32 s18, vcc_lo, s3
	s_and_b32 s23, s5, s3
	s_lshl_b64 s[2:3], s[20:21], 4
	s_lshl_b64 s[4:5], s[16:17], 4
	s_branch .LBB125_7
.LBB125_6:                              ;   in Loop: Header=BB125_7 Depth=1
	s_wait_xcnt 0x0
	s_or_b32 exec_lo, exec_lo, s16
	s_add_co_i32 s28, s28, 0x10000
	s_delay_alu instid0(SALU_CYCLE_1)
	s_cmp_lt_u32 s28, s27
	s_cbranch_scc0 .LBB125_35
.LBB125_7:                              ; =>This Loop Header: Depth=1
                                        ;     Child Loop BB125_10 Depth 2
	v_mov_b64_e32 v[38:39], 0
	v_mov_b64_e32 v[40:41], 0
	;; [unrolled: 1-line block ×8, first 2 shown]
	s_and_not1_b32 vcc_lo, exec_lo, s36
	s_cbranch_vccnz .LBB125_14
; %bb.8:                                ;   in Loop: Header=BB125_7 Depth=1
	v_mad_nc_u64_u32 v[26:27], s2, s28, v[18:19]
	v_mad_nc_u64_u32 v[28:29], s4, s28, v[20:21]
	v_mov_b64_e32 v[22:23], 0
	v_mov_b64_e32 v[24:25], 0
	;; [unrolled: 1-line block ×8, first 2 shown]
	s_mov_b32 s16, 0
	v_mad_u32 v27, s3, s28, v27
	v_mad_u32 v29, s5, s28, v29
	s_branch .LBB125_10
.LBB125_9:                              ;   in Loop: Header=BB125_10 Depth=2
	s_wait_xcnt 0x0
	s_or_b32 exec_lo, exec_lo, s17
	ds_store_b128 v43, v[4:7]
	s_wait_dscnt 0x0
	s_barrier_signal -1
	s_barrier_wait -1
	ds_load_b128 v[0:3], v45
	ds_load_b128 v[4:7], v44
	ds_load_b128 v[46:49], v44 offset:256
	ds_load_b128 v[50:53], v45 offset:2048
	;; [unrolled: 1-line block ×10, first 2 shown]
	v_add_nc_u64_e32 v[26:27], 0x80, v[26:27]
	v_add_nc_u64_e32 v[28:29], s[6:7], v[28:29]
	s_add_co_i32 s16, s16, 8
	s_delay_alu instid0(SALU_CYCLE_1)
	s_cmp_lt_i32 s16, s19
	s_wait_dscnt 0xa
	v_mul_f64_e32 v[86:87], v[2:3], v[6:7]
	v_mul_f64_e32 v[88:89], v[0:1], v[6:7]
	s_wait_dscnt 0x9
	v_mul_f64_e32 v[90:91], v[2:3], v[48:49]
	v_mul_f64_e32 v[92:93], v[0:1], v[48:49]
	s_wait_dscnt 0x8
	v_mul_f64_e32 v[94:95], v[52:53], v[6:7]
	v_mul_f64_e32 v[96:97], v[50:51], v[6:7]
	v_mul_f64_e32 v[6:7], v[52:53], v[48:49]
	v_mul_f64_e32 v[98:99], v[50:51], v[48:49]
	s_wait_dscnt 0x6
	v_mul_f64_e32 v[100:101], v[56:57], v[60:61]
	v_mul_f64_e32 v[102:103], v[54:55], v[60:61]
	s_wait_dscnt 0x5
	v_mul_f64_e32 v[104:105], v[56:57], v[64:65]
	v_mul_f64_e32 v[106:107], v[54:55], v[64:65]
	s_wait_dscnt 0x4
	v_mul_f64_e32 v[108:109], v[68:69], v[60:61]
	v_mul_f64_e32 v[60:61], v[66:67], v[60:61]
	v_mul_f64_e32 v[110:111], v[68:69], v[64:65]
	v_mul_f64_e32 v[64:65], v[66:67], v[64:65]
	;; [unrolled: 11-line block ×3, first 2 shown]
	v_fma_f64 v[86:87], v[0:1], v[4:5], -v[86:87]
	v_fmac_f64_e32 v[88:89], v[2:3], v[4:5]
	v_fma_f64 v[90:91], v[0:1], v[46:47], -v[90:91]
	v_fmac_f64_e32 v[92:93], v[2:3], v[46:47]
	;; [unrolled: 2-line block ×8, first 2 shown]
	ds_load_b128 v[0:3], v45 offset:48
	ds_load_b128 v[4:7], v45 offset:2096
	;; [unrolled: 1-line block ×4, first 2 shown]
	v_fma_f64 v[114:115], v[70:71], v[74:75], -v[114:115]
	v_fmac_f64_e32 v[116:117], v[72:73], v[74:75]
	v_fma_f64 v[70:71], v[70:71], v[78:79], -v[118:119]
	v_fmac_f64_e32 v[120:121], v[72:73], v[78:79]
	;; [unrolled: 2-line block ×4, first 2 shown]
	v_add_f64_e32 v[62:63], v[38:39], v[86:87]
	v_add_f64_e32 v[66:67], v[88:89], v[40:41]
	;; [unrolled: 1-line block ×8, first 2 shown]
	s_wait_dscnt 0x1
	v_mul_f64_e32 v[96:97], v[2:3], v[48:49]
	v_mul_f64_e32 v[98:99], v[0:1], v[48:49]
	s_wait_dscnt 0x0
	v_mul_f64_e32 v[104:105], v[2:3], v[52:53]
	v_mul_f64_e32 v[108:109], v[0:1], v[52:53]
	;; [unrolled: 1-line block ×6, first 2 shown]
	ds_load_b128 v[22:25], v45 offset:64
	ds_load_b128 v[30:33], v44 offset:2048
	;; [unrolled: 1-line block ×4, first 2 shown]
	v_add_f64_e32 v[78:79], v[62:63], v[100:101]
	v_add_f64_e32 v[82:83], v[102:103], v[66:67]
	;; [unrolled: 1-line block ×8, first 2 shown]
	s_wait_dscnt 0x2
	v_mul_f64_e32 v[94:95], v[24:25], v[32:33]
	v_mul_f64_e32 v[100:101], v[22:23], v[32:33]
	s_wait_dscnt 0x1
	v_mul_f64_e32 v[102:103], v[24:25], v[36:37]
	v_mul_f64_e32 v[106:107], v[22:23], v[36:37]
	s_wait_dscnt 0x0
	v_mul_f64_e32 v[118:119], v[40:41], v[32:33]
	v_mul_f64_e32 v[122:123], v[38:39], v[32:33]
	v_mul_f64_e32 v[32:33], v[40:41], v[36:37]
	v_mul_f64_e32 v[124:125], v[38:39], v[36:37]
	v_fma_f64 v[36:37], v[0:1], v[46:47], -v[96:97]
	v_fmac_f64_e32 v[98:99], v[2:3], v[46:47]
	v_fma_f64 v[96:97], v[0:1], v[50:51], -v[104:105]
	v_fmac_f64_e32 v[108:109], v[2:3], v[50:51]
	;; [unrolled: 2-line block ×4, first 2 shown]
	ds_load_b128 v[52:55], v45 offset:80
	ds_load_b128 v[56:59], v45 offset:2128
	;; [unrolled: 1-line block ×4, first 2 shown]
	v_add_f64_e32 v[50:51], v[78:79], v[114:115]
	v_add_f64_e32 v[78:79], v[116:117], v[82:83]
	;; [unrolled: 1-line block ×8, first 2 shown]
	v_fma_f64 v[94:95], v[22:23], v[30:31], -v[94:95]
	v_fmac_f64_e32 v[100:101], v[24:25], v[30:31]
	v_fma_f64 v[102:103], v[22:23], v[34:35], -v[102:103]
	s_wait_dscnt 0x1
	v_mul_f64_e32 v[86:87], v[54:55], v[62:63]
	v_mul_f64_e32 v[88:89], v[52:53], v[62:63]
	s_wait_dscnt 0x0
	v_mul_f64_e32 v[90:91], v[54:55], v[66:67]
	v_mul_f64_e32 v[92:93], v[52:53], v[66:67]
	;; [unrolled: 1-line block ×6, first 2 shown]
	v_fmac_f64_e32 v[106:107], v[24:25], v[34:35]
	v_fma_f64 v[118:119], v[38:39], v[30:31], -v[118:119]
	v_fmac_f64_e32 v[122:123], v[40:41], v[30:31]
	v_fma_f64 v[120:121], v[38:39], v[34:35], -v[32:33]
	v_fmac_f64_e32 v[124:125], v[40:41], v[34:35]
	ds_load_b128 v[0:3], v45 offset:96
	ds_load_b128 v[4:7], v44 offset:3072
	;; [unrolled: 1-line block ×4, first 2 shown]
	v_add_f64_e32 v[50:51], v[50:51], v[36:37]
	v_add_f64_e32 v[78:79], v[98:99], v[78:79]
	v_add_f64_e32 v[82:83], v[82:83], v[96:97]
	v_add_f64_e32 v[84:85], v[108:109], v[84:85]
	v_add_f64_e32 v[72:73], v[72:73], v[104:105]
	v_add_f64_e32 v[76:77], v[112:113], v[76:77]
	v_add_f64_e32 v[74:75], v[74:75], v[110:111]
	v_add_f64_e32 v[80:81], v[126:127], v[80:81]
	ds_load_b128 v[22:25], v45 offset:112
	ds_load_b128 v[30:33], v45 offset:2160
	;; [unrolled: 1-line block ×4, first 2 shown]
	s_wait_dscnt 0x0
	v_mul_f64_e32 v[96:97], v[2:3], v[6:7]
	v_mul_f64_e32 v[98:99], v[0:1], v[6:7]
	;; [unrolled: 1-line block ×8, first 2 shown]
	v_fma_f64 v[86:87], v[52:53], v[60:61], -v[86:87]
	v_fmac_f64_e32 v[88:89], v[54:55], v[60:61]
	v_fma_f64 v[52:53], v[52:53], v[64:65], -v[90:91]
	v_fmac_f64_e32 v[92:93], v[54:55], v[64:65]
	;; [unrolled: 2-line block ×4, first 2 shown]
	s_barrier_signal -1
	s_barrier_wait -1
	v_mul_f64_e32 v[90:91], v[22:23], v[40:41]
	v_add_f64_e32 v[50:51], v[50:51], v[94:95]
	v_add_f64_e32 v[58:59], v[100:101], v[78:79]
	;; [unrolled: 1-line block ×8, first 2 shown]
	v_mul_f64_e32 v[80:81], v[24:25], v[36:37]
	v_mul_f64_e32 v[82:83], v[22:23], v[36:37]
	;; [unrolled: 1-line block ×7, first 2 shown]
	v_fma_f64 v[40:41], v[0:1], v[4:5], -v[96:97]
	v_fmac_f64_e32 v[98:99], v[2:3], v[4:5]
	v_fma_f64 v[0:1], v[0:1], v[46:47], -v[104:105]
	v_fmac_f64_e32 v[108:109], v[2:3], v[46:47]
	;; [unrolled: 2-line block ×4, first 2 shown]
	v_fmac_f64_e32 v[90:91], v[24:25], v[38:39]
	v_add_f64_e32 v[46:47], v[50:51], v[86:87]
	v_add_f64_e32 v[50:51], v[88:89], v[58:59]
	;; [unrolled: 1-line block ×8, first 2 shown]
	v_fma_f64 v[64:65], v[22:23], v[34:35], -v[80:81]
	v_fmac_f64_e32 v[82:83], v[24:25], v[34:35]
	v_fma_f64 v[22:23], v[22:23], v[38:39], -v[84:85]
	v_fma_f64 v[24:25], v[30:31], v[34:35], -v[94:95]
	v_fmac_f64_e32 v[100:101], v[32:33], v[34:35]
	v_fma_f64 v[66:67], v[30:31], v[38:39], -v[36:37]
	v_fmac_f64_e32 v[102:103], v[32:33], v[38:39]
	v_add_f64_e32 v[30:31], v[46:47], v[40:41]
	v_add_f64_e32 v[32:33], v[98:99], v[50:51]
	;; [unrolled: 1-line block ×16, first 2 shown]
	s_cbranch_scc0 .LBB125_14
.LBB125_10:                             ;   Parent Loop BB125_7 Depth=1
                                        ; =>  This Inner Loop Header: Depth=2
	v_add_nc_u32_e32 v2, s16, v42
	v_mov_b64_e32 v[0:1], 0
	s_delay_alu instid0(VALU_DEP_2) | instskip(SKIP_2) | instid1(SALU_CYCLE_1)
	v_cmp_gt_i32_e32 vcc_lo, s19, v2
	v_mov_b64_e32 v[2:3], 0
	s_and_b32 s20, s0, vcc_lo
	s_and_saveexec_b32 s17, s20
	s_cbranch_execz .LBB125_12
; %bb.11:                               ;   in Loop: Header=BB125_10 Depth=2
	global_load_b128 v[0:3], v[26:27], off offset:-8
	s_wait_loadcnt 0x0
	v_xor_b32_e32 v3, 0x80000000, v3
.LBB125_12:                             ;   in Loop: Header=BB125_10 Depth=2
	s_wait_xcnt 0x0
	s_or_b32 exec_lo, exec_lo, s17
	v_add_nc_u32_e32 v6, s16, v8
	v_mov_b64_e32 v[4:5], 0
	ds_store_b128 v9, v[0:3]
	v_cmp_gt_i32_e32 vcc_lo, s19, v6
	v_mov_b64_e32 v[6:7], 0
	s_and_b32 s20, vcc_lo, s1
	s_delay_alu instid0(SALU_CYCLE_1)
	s_and_saveexec_b32 s17, s20
	s_cbranch_execz .LBB125_9
; %bb.13:                               ;   in Loop: Header=BB125_10 Depth=2
	global_load_b128 v[4:7], v[28:29], off offset:-8
	s_wait_loadcnt 0x0
	v_xor_b32_e32 v7, 0x80000000, v7
	s_branch .LBB125_9
.LBB125_14:                             ;   in Loop: Header=BB125_7 Depth=1
	s_mul_u64 s[16:17], s[30:31], s[28:29]
	s_delay_alu instid0(SALU_CYCLE_1) | instskip(NEXT) | instid1(SALU_CYCLE_1)
	s_lshl_b64 s[16:17], s[16:17], 4
	s_add_nc_u64 s[16:17], s[24:25], s[16:17]
	s_delay_alu instid0(SALU_CYCLE_1)
	v_lshl_add_u64 v[4:5], v[12:13], 4, s[16:17]
	s_and_saveexec_b32 s20, s33
	s_cbranch_execz .LBB125_19
; %bb.15:                               ;   in Loop: Header=BB125_7 Depth=1
	v_mul_f64_e32 v[0:1], s[14:15], v[40:41]
	v_mul_f64_e32 v[2:3], s[12:13], v[40:41]
	v_lshl_add_u64 v[6:7], v[10:11], 4, v[4:5]
	s_and_b32 vcc_lo, exec_lo, s26
	s_mov_b32 s21, -1
	s_delay_alu instid0(VALU_DEP_3) | instskip(NEXT) | instid1(VALU_DEP_3)
	v_fma_f64 v[0:1], s[12:13], v[38:39], -v[0:1]
	v_fmac_f64_e32 v[2:3], s[14:15], v[38:39]
	s_cbranch_vccz .LBB125_17
; %bb.16:                               ;   in Loop: Header=BB125_7 Depth=1
	global_load_b128 v[26:29], v[6:7], off
	s_mov_b32 s21, 0
	s_wait_loadcnt 0x0
	v_mul_f64_e32 v[38:39], s[10:11], v[28:29]
	v_mul_f64_e32 v[28:29], s[8:9], v[28:29]
	s_delay_alu instid0(VALU_DEP_2) | instskip(NEXT) | instid1(VALU_DEP_2)
	v_fma_f64 v[38:39], s[8:9], v[26:27], -v[38:39]
	v_fmac_f64_e32 v[28:29], s[10:11], v[26:27]
	s_delay_alu instid0(VALU_DEP_2) | instskip(NEXT) | instid1(VALU_DEP_2)
	v_add_f64_e32 v[26:27], v[0:1], v[38:39]
	v_add_f64_e32 v[28:29], v[2:3], v[28:29]
	global_store_b128 v[6:7], v[26:29], off
.LBB125_17:                             ;   in Loop: Header=BB125_7 Depth=1
	s_and_not1_b32 vcc_lo, exec_lo, s21
	s_cbranch_vccnz .LBB125_19
; %bb.18:                               ;   in Loop: Header=BB125_7 Depth=1
	global_store_b128 v[6:7], v[0:3], off
.LBB125_19:                             ;   in Loop: Header=BB125_7 Depth=1
	s_wait_xcnt 0x0
	s_or_b32 exec_lo, exec_lo, s20
	s_and_saveexec_b32 s20, s18
	s_cbranch_execz .LBB125_24
; %bb.20:                               ;   in Loop: Header=BB125_7 Depth=1
	v_mul_f64_e32 v[0:1], s[14:15], v[36:37]
	v_mul_f64_e32 v[2:3], s[12:13], v[36:37]
	v_lshl_add_u64 v[4:5], v[16:17], 4, v[4:5]
	s_and_not1_b32 vcc_lo, exec_lo, s26
	s_mov_b32 s21, -1
	s_delay_alu instid0(VALU_DEP_3) | instskip(NEXT) | instid1(VALU_DEP_3)
	v_fma_f64 v[0:1], s[12:13], v[34:35], -v[0:1]
	v_fmac_f64_e32 v[2:3], s[14:15], v[34:35]
	s_cbranch_vccnz .LBB125_22
; %bb.21:                               ;   in Loop: Header=BB125_7 Depth=1
	global_load_b128 v[26:29], v[4:5], off
	s_mov_b32 s21, 0
	s_wait_loadcnt 0x0
	v_mul_f64_e32 v[6:7], s[10:11], v[28:29]
	v_mul_f64_e32 v[28:29], s[8:9], v[28:29]
	s_delay_alu instid0(VALU_DEP_2) | instskip(NEXT) | instid1(VALU_DEP_2)
	v_fma_f64 v[6:7], s[8:9], v[26:27], -v[6:7]
	v_fmac_f64_e32 v[28:29], s[10:11], v[26:27]
	s_delay_alu instid0(VALU_DEP_2) | instskip(NEXT) | instid1(VALU_DEP_2)
	v_add_f64_e32 v[26:27], v[0:1], v[6:7]
	v_add_f64_e32 v[28:29], v[2:3], v[28:29]
	global_store_b128 v[4:5], v[26:29], off
.LBB125_22:                             ;   in Loop: Header=BB125_7 Depth=1
	s_and_not1_b32 vcc_lo, exec_lo, s21
	s_cbranch_vccnz .LBB125_24
; %bb.23:                               ;   in Loop: Header=BB125_7 Depth=1
	global_store_b128 v[4:5], v[0:3], off
.LBB125_24:                             ;   in Loop: Header=BB125_7 Depth=1
	s_wait_xcnt 0x0
	s_or_b32 exec_lo, exec_lo, s20
	v_lshl_add_u64 v[4:5], v[14:15], 4, s[16:17]
	s_and_saveexec_b32 s16, s22
	s_cbranch_execz .LBB125_29
; %bb.25:                               ;   in Loop: Header=BB125_7 Depth=1
	v_mul_f64_e32 v[0:1], s[14:15], v[32:33]
	v_mul_f64_e32 v[2:3], s[12:13], v[32:33]
	v_lshl_add_u64 v[6:7], v[10:11], 4, v[4:5]
	s_and_not1_b32 vcc_lo, exec_lo, s26
	s_mov_b32 s17, -1
	s_delay_alu instid0(VALU_DEP_3) | instskip(NEXT) | instid1(VALU_DEP_3)
	v_fma_f64 v[0:1], s[12:13], v[30:31], -v[0:1]
	v_fmac_f64_e32 v[2:3], s[14:15], v[30:31]
	s_cbranch_vccnz .LBB125_27
; %bb.26:                               ;   in Loop: Header=BB125_7 Depth=1
	global_load_b128 v[26:29], v[6:7], off
	s_mov_b32 s17, 0
	s_wait_loadcnt 0x0
	v_mul_f64_e32 v[30:31], s[10:11], v[28:29]
	v_mul_f64_e32 v[28:29], s[8:9], v[28:29]
	s_delay_alu instid0(VALU_DEP_2) | instskip(NEXT) | instid1(VALU_DEP_2)
	v_fma_f64 v[30:31], s[8:9], v[26:27], -v[30:31]
	v_fmac_f64_e32 v[28:29], s[10:11], v[26:27]
	s_delay_alu instid0(VALU_DEP_2) | instskip(NEXT) | instid1(VALU_DEP_2)
	v_add_f64_e32 v[26:27], v[0:1], v[30:31]
	v_add_f64_e32 v[28:29], v[2:3], v[28:29]
	global_store_b128 v[6:7], v[26:29], off
.LBB125_27:                             ;   in Loop: Header=BB125_7 Depth=1
	s_and_not1_b32 vcc_lo, exec_lo, s17
	s_cbranch_vccnz .LBB125_29
; %bb.28:                               ;   in Loop: Header=BB125_7 Depth=1
	global_store_b128 v[6:7], v[0:3], off
.LBB125_29:                             ;   in Loop: Header=BB125_7 Depth=1
	s_wait_xcnt 0x0
	s_or_b32 exec_lo, exec_lo, s16
	s_and_saveexec_b32 s16, s23
	s_cbranch_execz .LBB125_6
; %bb.30:                               ;   in Loop: Header=BB125_7 Depth=1
	s_delay_alu instid0(VALU_DEP_3) | instskip(SKIP_4) | instid1(VALU_DEP_3)
	v_mul_f64_e32 v[0:1], s[14:15], v[22:23]
	v_mul_f64_e32 v[2:3], s[12:13], v[22:23]
	v_lshl_add_u64 v[4:5], v[16:17], 4, v[4:5]
	s_and_not1_b32 vcc_lo, exec_lo, s26
	s_mov_b32 s17, -1
	v_fma_f64 v[0:1], s[12:13], v[24:25], -v[0:1]
	s_delay_alu instid0(VALU_DEP_3)
	v_fmac_f64_e32 v[2:3], s[14:15], v[24:25]
	s_cbranch_vccnz .LBB125_32
; %bb.31:                               ;   in Loop: Header=BB125_7 Depth=1
	global_load_b128 v[22:25], v[4:5], off
	s_mov_b32 s17, 0
	s_wait_loadcnt 0x0
	v_mul_f64_e32 v[6:7], s[10:11], v[24:25]
	v_mul_f64_e32 v[24:25], s[8:9], v[24:25]
	s_delay_alu instid0(VALU_DEP_2) | instskip(NEXT) | instid1(VALU_DEP_2)
	v_fma_f64 v[6:7], s[8:9], v[22:23], -v[6:7]
	v_fmac_f64_e32 v[24:25], s[10:11], v[22:23]
	s_delay_alu instid0(VALU_DEP_2) | instskip(NEXT) | instid1(VALU_DEP_2)
	v_add_f64_e32 v[22:23], v[0:1], v[6:7]
	v_add_f64_e32 v[24:25], v[2:3], v[24:25]
	global_store_b128 v[4:5], v[22:25], off
.LBB125_32:                             ;   in Loop: Header=BB125_7 Depth=1
	s_and_not1_b32 vcc_lo, exec_lo, s17
	s_cbranch_vccnz .LBB125_6
; %bb.33:                               ;   in Loop: Header=BB125_7 Depth=1
	global_store_b128 v[4:5], v[0:3], off
	s_branch .LBB125_6
.LBB125_34:
.LBB125_35:
	s_sendmsg sendmsg(MSG_DEALLOC_VGPRS)
	s_endpgm
	.section	.rodata,"a",@progbits
	.p2align	6, 0x0
	.amdhsa_kernel _ZL29rocblas_internal_gemmt_kernelIiLi16ELi32ELi8ELc67ELc67ELc76ELb1ELb1E19rocblas_complex_numIdEPKS1_S3_PS1_EviT_T9_T10_S5_lS7_S5_lS6_T11_S5_li
		.amdhsa_group_segment_fixed_size 8192
		.amdhsa_private_segment_fixed_size 0
		.amdhsa_kernarg_size 100
		.amdhsa_user_sgpr_count 2
		.amdhsa_user_sgpr_dispatch_ptr 0
		.amdhsa_user_sgpr_queue_ptr 0
		.amdhsa_user_sgpr_kernarg_segment_ptr 1
		.amdhsa_user_sgpr_dispatch_id 0
		.amdhsa_user_sgpr_kernarg_preload_length 0
		.amdhsa_user_sgpr_kernarg_preload_offset 0
		.amdhsa_user_sgpr_private_segment_size 0
		.amdhsa_wavefront_size32 1
		.amdhsa_uses_dynamic_stack 0
		.amdhsa_enable_private_segment 0
		.amdhsa_system_sgpr_workgroup_id_x 1
		.amdhsa_system_sgpr_workgroup_id_y 1
		.amdhsa_system_sgpr_workgroup_id_z 1
		.amdhsa_system_sgpr_workgroup_info 0
		.amdhsa_system_vgpr_workitem_id 1
		.amdhsa_next_free_vgpr 128
		.amdhsa_next_free_sgpr 41
		.amdhsa_named_barrier_count 0
		.amdhsa_reserve_vcc 1
		.amdhsa_float_round_mode_32 0
		.amdhsa_float_round_mode_16_64 0
		.amdhsa_float_denorm_mode_32 3
		.amdhsa_float_denorm_mode_16_64 3
		.amdhsa_fp16_overflow 0
		.amdhsa_memory_ordered 1
		.amdhsa_forward_progress 1
		.amdhsa_inst_pref_size 23
		.amdhsa_round_robin_scheduling 0
		.amdhsa_exception_fp_ieee_invalid_op 0
		.amdhsa_exception_fp_denorm_src 0
		.amdhsa_exception_fp_ieee_div_zero 0
		.amdhsa_exception_fp_ieee_overflow 0
		.amdhsa_exception_fp_ieee_underflow 0
		.amdhsa_exception_fp_ieee_inexact 0
		.amdhsa_exception_int_div_zero 0
	.end_amdhsa_kernel
	.section	.text._ZL29rocblas_internal_gemmt_kernelIiLi16ELi32ELi8ELc67ELc67ELc76ELb1ELb1E19rocblas_complex_numIdEPKS1_S3_PS1_EviT_T9_T10_S5_lS7_S5_lS6_T11_S5_li,"axG",@progbits,_ZL29rocblas_internal_gemmt_kernelIiLi16ELi32ELi8ELc67ELc67ELc76ELb1ELb1E19rocblas_complex_numIdEPKS1_S3_PS1_EviT_T9_T10_S5_lS7_S5_lS6_T11_S5_li,comdat
.Lfunc_end125:
	.size	_ZL29rocblas_internal_gemmt_kernelIiLi16ELi32ELi8ELc67ELc67ELc76ELb1ELb1E19rocblas_complex_numIdEPKS1_S3_PS1_EviT_T9_T10_S5_lS7_S5_lS6_T11_S5_li, .Lfunc_end125-_ZL29rocblas_internal_gemmt_kernelIiLi16ELi32ELi8ELc67ELc67ELc76ELb1ELb1E19rocblas_complex_numIdEPKS1_S3_PS1_EviT_T9_T10_S5_lS7_S5_lS6_T11_S5_li
                                        ; -- End function
	.set _ZL29rocblas_internal_gemmt_kernelIiLi16ELi32ELi8ELc67ELc67ELc76ELb1ELb1E19rocblas_complex_numIdEPKS1_S3_PS1_EviT_T9_T10_S5_lS7_S5_lS6_T11_S5_li.num_vgpr, 128
	.set _ZL29rocblas_internal_gemmt_kernelIiLi16ELi32ELi8ELc67ELc67ELc76ELb1ELb1E19rocblas_complex_numIdEPKS1_S3_PS1_EviT_T9_T10_S5_lS7_S5_lS6_T11_S5_li.num_agpr, 0
	.set _ZL29rocblas_internal_gemmt_kernelIiLi16ELi32ELi8ELc67ELc67ELc76ELb1ELb1E19rocblas_complex_numIdEPKS1_S3_PS1_EviT_T9_T10_S5_lS7_S5_lS6_T11_S5_li.numbered_sgpr, 41
	.set _ZL29rocblas_internal_gemmt_kernelIiLi16ELi32ELi8ELc67ELc67ELc76ELb1ELb1E19rocblas_complex_numIdEPKS1_S3_PS1_EviT_T9_T10_S5_lS7_S5_lS6_T11_S5_li.num_named_barrier, 0
	.set _ZL29rocblas_internal_gemmt_kernelIiLi16ELi32ELi8ELc67ELc67ELc76ELb1ELb1E19rocblas_complex_numIdEPKS1_S3_PS1_EviT_T9_T10_S5_lS7_S5_lS6_T11_S5_li.private_seg_size, 0
	.set _ZL29rocblas_internal_gemmt_kernelIiLi16ELi32ELi8ELc67ELc67ELc76ELb1ELb1E19rocblas_complex_numIdEPKS1_S3_PS1_EviT_T9_T10_S5_lS7_S5_lS6_T11_S5_li.uses_vcc, 1
	.set _ZL29rocblas_internal_gemmt_kernelIiLi16ELi32ELi8ELc67ELc67ELc76ELb1ELb1E19rocblas_complex_numIdEPKS1_S3_PS1_EviT_T9_T10_S5_lS7_S5_lS6_T11_S5_li.uses_flat_scratch, 0
	.set _ZL29rocblas_internal_gemmt_kernelIiLi16ELi32ELi8ELc67ELc67ELc76ELb1ELb1E19rocblas_complex_numIdEPKS1_S3_PS1_EviT_T9_T10_S5_lS7_S5_lS6_T11_S5_li.has_dyn_sized_stack, 0
	.set _ZL29rocblas_internal_gemmt_kernelIiLi16ELi32ELi8ELc67ELc67ELc76ELb1ELb1E19rocblas_complex_numIdEPKS1_S3_PS1_EviT_T9_T10_S5_lS7_S5_lS6_T11_S5_li.has_recursion, 0
	.set _ZL29rocblas_internal_gemmt_kernelIiLi16ELi32ELi8ELc67ELc67ELc76ELb1ELb1E19rocblas_complex_numIdEPKS1_S3_PS1_EviT_T9_T10_S5_lS7_S5_lS6_T11_S5_li.has_indirect_call, 0
	.section	.AMDGPU.csdata,"",@progbits
; Kernel info:
; codeLenInByte = 2936
; TotalNumSgprs: 43
; NumVgprs: 128
; ScratchSize: 0
; MemoryBound: 1
; FloatMode: 240
; IeeeMode: 1
; LDSByteSize: 8192 bytes/workgroup (compile time only)
; SGPRBlocks: 0
; VGPRBlocks: 7
; NumSGPRsForWavesPerEU: 43
; NumVGPRsForWavesPerEU: 128
; NamedBarCnt: 0
; Occupancy: 8
; WaveLimiterHint : 0
; COMPUTE_PGM_RSRC2:SCRATCH_EN: 0
; COMPUTE_PGM_RSRC2:USER_SGPR: 2
; COMPUTE_PGM_RSRC2:TRAP_HANDLER: 0
; COMPUTE_PGM_RSRC2:TGID_X_EN: 1
; COMPUTE_PGM_RSRC2:TGID_Y_EN: 1
; COMPUTE_PGM_RSRC2:TGID_Z_EN: 1
; COMPUTE_PGM_RSRC2:TIDIG_COMP_CNT: 1
	.section	.text._ZL29rocblas_internal_gemmt_kernelIiLi16ELi32ELi8ELc78ELc78ELc85ELb0ELb0E19rocblas_complex_numIdES1_PKS1_PS1_EviT_T9_T10_S5_lS7_S5_lS6_T11_S5_li,"axG",@progbits,_ZL29rocblas_internal_gemmt_kernelIiLi16ELi32ELi8ELc78ELc78ELc85ELb0ELb0E19rocblas_complex_numIdES1_PKS1_PS1_EviT_T9_T10_S5_lS7_S5_lS6_T11_S5_li,comdat
	.globl	_ZL29rocblas_internal_gemmt_kernelIiLi16ELi32ELi8ELc78ELc78ELc85ELb0ELb0E19rocblas_complex_numIdES1_PKS1_PS1_EviT_T9_T10_S5_lS7_S5_lS6_T11_S5_li ; -- Begin function _ZL29rocblas_internal_gemmt_kernelIiLi16ELi32ELi8ELc78ELc78ELc85ELb0ELb0E19rocblas_complex_numIdES1_PKS1_PS1_EviT_T9_T10_S5_lS7_S5_lS6_T11_S5_li
	.p2align	8
	.type	_ZL29rocblas_internal_gemmt_kernelIiLi16ELi32ELi8ELc78ELc78ELc85ELb0ELb0E19rocblas_complex_numIdES1_PKS1_PS1_EviT_T9_T10_S5_lS7_S5_lS6_T11_S5_li,@function
_ZL29rocblas_internal_gemmt_kernelIiLi16ELi32ELi8ELc78ELc78ELc85ELb0ELb0E19rocblas_complex_numIdES1_PKS1_PS1_EviT_T9_T10_S5_lS7_S5_lS6_T11_S5_li: ; @_ZL29rocblas_internal_gemmt_kernelIiLi16ELi32ELi8ELc78ELc78ELc85ELb0ELb0E19rocblas_complex_numIdES1_PKS1_PS1_EviT_T9_T10_S5_lS7_S5_lS6_T11_S5_li
; %bb.0:
	s_clause 0x2
	s_load_b256 s[4:11], s[0:1], 0x40
	s_load_b64 s[24:25], s[0:1], 0x0
	s_load_b128 s[12:15], s[0:1], 0x8
	s_wait_kmcnt 0x0
	v_cmp_eq_f64_e64 s2, s[6:7], 1.0
	v_cmp_eq_f64_e64 s34, s[8:9], 0
	s_and_b32 s2, s2, s34
	s_delay_alu instid0(SALU_CYCLE_1)
	s_and_not1_b32 vcc_lo, exec_lo, s2
	s_mov_b32 s2, -1
	s_cbranch_vccnz .LBB126_3
; %bb.1:
	s_cmp_lg_u32 s25, 0
	s_cbranch_scc0 .LBB126_38
; %bb.2:
	v_cmp_neq_f64_e64 s2, s[12:13], 0
	v_cmp_neq_f64_e64 s3, s[14:15], 0
	s_or_b32 s2, s2, s3
.LBB126_3:
	s_delay_alu instid0(SALU_CYCLE_1)
	s_and_b32 vcc_lo, exec_lo, s2
	s_cbranch_vccz .LBB126_39
; %bb.4:
	s_load_b32 s33, s[0:1], 0x70
	s_bfe_u32 s2, ttmp6, 0x40014
	s_lshr_b32 s3, ttmp7, 16
	s_add_co_i32 s2, s2, 1
	s_bfe_u32 s16, ttmp6, 0x40008
	s_mul_i32 s2, s3, s2
	s_getreg_b32 s35, hwreg(HW_REG_IB_STS2, 6, 4)
	s_add_co_i32 s16, s16, s2
	s_cmp_eq_u32 s35, 0
	s_mov_b32 s27, 0
	s_cselect_b32 s26, s3, s16
	s_wait_kmcnt 0x0
	s_cmp_ge_u32 s26, s33
	s_cbranch_scc1 .LBB126_39
; %bb.5:
	s_clause 0x2
	s_load_b96 s[20:22], s[0:1], 0x18
	s_load_b32 s2, s[0:1], 0x38
	s_load_b32 s30, s[0:1], 0x60
	v_and_b32_e32 v1, 0x3ff, v0
	v_bfe_u32 v5, v0, 10, 10
	s_clause 0x1
	s_load_b128 s[16:19], s[0:1], 0x28
	s_load_b64 s[28:29], s[0:1], 0x68
	s_wait_xcnt 0x0
	s_bfe_u32 s1, ttmp6, 0x4000c
	s_bfe_u32 s38, ttmp6, 0x40010
	s_add_co_i32 s1, s1, 1
	s_and_b32 s39, ttmp7, 0xffff
	s_add_co_i32 s38, s38, 1
	v_and_b32_e32 v38, 7, v0
	v_lshl_add_u32 v0, v5, 4, v1
	s_and_b32 s0, ttmp6, 15
	s_mul_i32 s1, ttmp9, s1
	s_mul_i32 s38, s39, s38
	s_bfe_u32 s40, ttmp6, 0x40004
	s_add_co_i32 s0, s0, s1
	s_add_co_i32 s40, s40, s38
	v_dual_lshrrev_b32 v8, 3, v0 :: v_dual_bitop2_b32 v9, 31, v0 bitop3:0x40
	s_wait_kmcnt 0x0
	s_ashr_i32 s23, s22, 31
	s_ashr_i32 s3, s2, 31
	;; [unrolled: 1-line block ×3, first 2 shown]
	s_cmp_eq_u32 s35, 0
	v_lshrrev_b32_e32 v6, 5, v0
	s_cselect_b32 s0, ttmp9, s0
	s_cselect_b32 s1, s39, s40
	s_lshl_b32 s35, s0, 5
	s_lshl_b32 s0, s1, 5
	s_delay_alu instid0(SALU_CYCLE_1) | instskip(SKIP_2) | instid1(VALU_DEP_3)
	v_dual_mov_b32 v0, 0 :: v_dual_add_nc_u32 v2, s0, v8
	v_or_b32_e32 v4, s35, v9
	v_cmp_neq_f64_e64 s36, s[12:13], 0
	v_dual_mov_b32 v7, v0 :: v_dual_add_nc_u32 v16, s0, v5
	s_delay_alu instid0(VALU_DEP_4) | instskip(SKIP_1) | instid1(VALU_DEP_3)
	v_ashrrev_i32_e32 v3, 31, v2
	v_cmp_neq_f64_e64 s37, s[14:15], 0
	v_dual_lshlrev_b32 v20, 4, v38 :: v_dual_add_nc_u32 v24, 16, v16
	v_ashrrev_i32_e32 v17, 31, v16
	v_mul_u64_e32 v[18:19], s[22:23], v[6:7]
	v_mul_u64_e32 v[22:23], s[2:3], v[2:3]
	v_cmp_neq_f64_e64 s38, s[6:7], 0
	v_dual_ashrrev_i32 v25, 31, v24 :: v_dual_lshlrev_b32 v7, 4, v9
	v_lshl_or_b32 v3, v8, 7, v20
	v_add_nc_u32_e32 v8, s35, v1
	v_mul_u64_e32 v[10:11], s[30:31], v[16:17]
	s_delay_alu instid0(VALU_DEP_4)
	v_mul_u64_e32 v[12:13], s[30:31], v[24:25]
	v_lshl_add_u32 v41, v5, 7, 0x1000
	v_dual_ashrrev_i32 v5, 31, v4 :: v_dual_mov_b32 v21, v0
	v_cmp_gt_i32_e64 s0, s24, v2
	v_add_nc_u32_e32 v39, 0x1000, v3
	v_dual_lshlrev_b32 v40, 4, v1 :: v_dual_add_nc_u32 v14, 16, v8
	s_delay_alu instid0(VALU_DEP_4)
	v_lshlrev_b64_e32 v[2:3], 4, v[4:5]
	v_cmp_gt_i32_e32 vcc_lo, s24, v4
	v_cmp_gt_i32_e64 s1, s24, v16
	v_cmp_le_i32_e64 s2, v8, v16
	v_cmp_le_i32_e64 s3, v14, v16
	v_lshl_or_b32 v7, v6, 9, v7
	v_dual_ashrrev_i32 v9, 31, v8 :: v_dual_ashrrev_i32 v15, 31, v14
	s_or_b32 s36, s36, s37
	s_cmp_gt_i32 s25, 0
	s_cselect_b32 s37, -1, 0
	v_lshl_add_u64 v[2:3], v[18:19], 4, v[2:3]
	v_lshl_add_u64 v[4:5], v[22:23], 4, v[20:21]
	s_xor_b32 s30, s34, -1
	s_and_b32 s31, s1, s2
	s_and_b32 s34, s1, s3
	v_cmp_gt_i32_e64 s1, s24, v24
	v_cmp_le_i32_e64 s2, v8, v24
	v_cmp_le_i32_e64 s3, v14, v24
	v_add_nc_u64_e32 v[16:17], s[20:21], v[2:3]
	v_add_nc_u64_e32 v[18:19], s[18:19], v[4:5]
	s_or_b32 s30, s38, s30
	s_and_b32 s24, s1, s2
	s_and_b32 s35, s1, s3
	s_lshl_b64 s[2:3], s[16:17], 4
	s_lshl_b64 s[16:17], s[22:23], 7
	s_and_b32 s18, s36, s37
	s_lshl_b64 s[4:5], s[4:5], 4
	s_xor_b32 s19, vcc_lo, -1
	s_xor_b32 s20, s0, -1
	s_branch .LBB126_7
.LBB126_6:                              ;   in Loop: Header=BB126_7 Depth=1
	s_wait_xcnt 0x0
	s_or_b32 exec_lo, exec_lo, s0
	s_add_co_i32 s26, s26, 0x10000
	s_delay_alu instid0(SALU_CYCLE_1)
	s_cmp_lt_u32 s26, s33
	s_cbranch_scc0 .LBB126_39
.LBB126_7:                              ; =>This Loop Header: Depth=1
                                        ;     Child Loop BB126_10 Depth 2
	v_mov_b64_e32 v[30:31], 0
	v_mov_b64_e32 v[32:33], 0
	;; [unrolled: 1-line block ×8, first 2 shown]
	s_and_not1_b32 vcc_lo, exec_lo, s18
	s_cbranch_vccnz .LBB126_18
; %bb.8:                                ;   in Loop: Header=BB126_7 Depth=1
	v_mad_nc_u64_u32 v[4:5], s2, s26, v[16:17]
	v_mad_nc_u64_u32 v[20:21], s4, s26, v[18:19]
	v_mov_b64_e32 v[34:35], 0
	v_mov_b64_e32 v[36:37], 0
	;; [unrolled: 1-line block ×8, first 2 shown]
	s_mov_b32 s0, 0
	v_mad_u32 v5, s3, s26, v5
	v_mad_u32 v21, s5, s26, v21
	s_branch .LBB126_10
.LBB126_9:                              ;   in Loop: Header=BB126_10 Depth=2
	s_wait_xcnt 0x0
	s_or_b32 exec_lo, exec_lo, s1
	s_wait_dscnt 0x0
	s_barrier_signal -1
	s_barrier_wait -1
	ds_load_b128 v[42:45], v41
	ds_load_b128 v[46:49], v41 offset:16
	ds_load_b128 v[50:53], v41 offset:32
	;; [unrolled: 1-line block ×3, first 2 shown]
	ds_load_b128 v[58:61], v40
	v_add_nc_u64_e32 v[4:5], s[16:17], v[4:5]
	v_add_nc_u64_e32 v[20:21], 0x80, v[20:21]
	s_add_co_i32 s0, s0, 8
	s_delay_alu instid0(SALU_CYCLE_1) | instskip(SKIP_3) | instid1(VALU_DEP_2)
	s_cmp_lt_i32 s0, s25
	s_wait_dscnt 0x0
	v_mul_f64_e32 v[2:3], v[44:45], v[60:61]
	v_mul_f64_e32 v[62:63], v[42:43], v[60:61]
	v_fma_f64 v[2:3], v[42:43], v[58:59], -v[2:3]
	s_delay_alu instid0(VALU_DEP_2) | instskip(NEXT) | instid1(VALU_DEP_2)
	v_fmac_f64_e32 v[62:63], v[44:45], v[58:59]
	v_add_f64_e32 v[2:3], v[30:31], v[2:3]
	s_delay_alu instid0(VALU_DEP_2) | instskip(SKIP_3) | instid1(VALU_DEP_1)
	v_add_f64_e32 v[62:63], v[62:63], v[32:33]
	ds_load_b128 v[30:33], v40 offset:256
	s_wait_dscnt 0x0
	v_mul_f64_e32 v[64:65], v[44:45], v[32:33]
	v_fma_f64 v[64:65], v[42:43], v[30:31], -v[64:65]
	v_mul_f64_e32 v[42:43], v[42:43], v[32:33]
	s_delay_alu instid0(VALU_DEP_1) | instskip(NEXT) | instid1(VALU_DEP_3)
	v_fmac_f64_e32 v[42:43], v[44:45], v[30:31]
	v_add_f64_e32 v[44:45], v[22:23], v[64:65]
	s_delay_alu instid0(VALU_DEP_2) | instskip(SKIP_4) | instid1(VALU_DEP_2)
	v_add_f64_e32 v[42:43], v[42:43], v[24:25]
	ds_load_b128 v[22:25], v41 offset:2048
	s_wait_dscnt 0x0
	v_mul_f64_e32 v[64:65], v[24:25], v[60:61]
	v_mul_f64_e32 v[60:61], v[22:23], v[60:61]
	v_fma_f64 v[64:65], v[22:23], v[58:59], -v[64:65]
	s_delay_alu instid0(VALU_DEP_2) | instskip(NEXT) | instid1(VALU_DEP_2)
	v_fmac_f64_e32 v[60:61], v[24:25], v[58:59]
	v_add_f64_e32 v[58:59], v[26:27], v[64:65]
	v_mul_f64_e32 v[26:27], v[24:25], v[32:33]
	s_delay_alu instid0(VALU_DEP_3) | instskip(NEXT) | instid1(VALU_DEP_2)
	v_add_f64_e32 v[60:61], v[60:61], v[28:29]
	v_fma_f64 v[26:27], v[22:23], v[30:31], -v[26:27]
	v_mul_f64_e32 v[22:23], v[22:23], v[32:33]
	s_delay_alu instid0(VALU_DEP_2) | instskip(NEXT) | instid1(VALU_DEP_2)
	v_add_f64_e32 v[36:37], v[36:37], v[26:27]
	v_fmac_f64_e32 v[22:23], v[24:25], v[30:31]
	s_delay_alu instid0(VALU_DEP_1) | instskip(SKIP_4) | instid1(VALU_DEP_2)
	v_add_f64_e32 v[34:35], v[22:23], v[34:35]
	ds_load_b128 v[22:25], v40 offset:512
	s_wait_dscnt 0x0
	v_mul_f64_e32 v[26:27], v[48:49], v[24:25]
	v_mul_f64_e32 v[28:29], v[46:47], v[24:25]
	v_fma_f64 v[26:27], v[46:47], v[22:23], -v[26:27]
	s_delay_alu instid0(VALU_DEP_2) | instskip(NEXT) | instid1(VALU_DEP_2)
	v_fmac_f64_e32 v[28:29], v[48:49], v[22:23]
	v_add_f64_e32 v[2:3], v[2:3], v[26:27]
	s_delay_alu instid0(VALU_DEP_2) | instskip(SKIP_4) | instid1(VALU_DEP_2)
	v_add_f64_e32 v[62:63], v[28:29], v[62:63]
	ds_load_b128 v[26:29], v40 offset:768
	s_wait_dscnt 0x0
	v_mul_f64_e32 v[30:31], v[48:49], v[28:29]
	v_mul_f64_e32 v[32:33], v[46:47], v[28:29]
	v_fma_f64 v[30:31], v[46:47], v[26:27], -v[30:31]
	s_delay_alu instid0(VALU_DEP_2) | instskip(NEXT) | instid1(VALU_DEP_2)
	v_fmac_f64_e32 v[32:33], v[48:49], v[26:27]
	v_add_f64_e32 v[44:45], v[44:45], v[30:31]
	s_delay_alu instid0(VALU_DEP_2) | instskip(SKIP_4) | instid1(VALU_DEP_2)
	v_add_f64_e32 v[42:43], v[32:33], v[42:43]
	ds_load_b128 v[30:33], v41 offset:2064
	s_wait_dscnt 0x0
	v_mul_f64_e32 v[46:47], v[32:33], v[24:25]
	v_mul_f64_e32 v[24:25], v[30:31], v[24:25]
	v_fma_f64 v[46:47], v[30:31], v[22:23], -v[46:47]
	s_delay_alu instid0(VALU_DEP_2) | instskip(SKIP_1) | instid1(VALU_DEP_3)
	v_fmac_f64_e32 v[24:25], v[32:33], v[22:23]
	v_mul_f64_e32 v[22:23], v[32:33], v[28:29]
	v_add_f64_e32 v[46:47], v[58:59], v[46:47]
	s_delay_alu instid0(VALU_DEP_3) | instskip(SKIP_1) | instid1(VALU_DEP_4)
	v_add_f64_e32 v[48:49], v[24:25], v[60:61]
	v_mul_f64_e32 v[24:25], v[30:31], v[28:29]
	v_fma_f64 v[22:23], v[30:31], v[26:27], -v[22:23]
	s_delay_alu instid0(VALU_DEP_2) | instskip(NEXT) | instid1(VALU_DEP_2)
	v_fmac_f64_e32 v[24:25], v[32:33], v[26:27]
	v_add_f64_e32 v[36:37], v[36:37], v[22:23]
	s_delay_alu instid0(VALU_DEP_2) | instskip(SKIP_4) | instid1(VALU_DEP_2)
	v_add_f64_e32 v[34:35], v[24:25], v[34:35]
	ds_load_b128 v[22:25], v40 offset:1024
	s_wait_dscnt 0x0
	v_mul_f64_e32 v[26:27], v[52:53], v[24:25]
	v_mul_f64_e32 v[28:29], v[50:51], v[24:25]
	v_fma_f64 v[26:27], v[50:51], v[22:23], -v[26:27]
	s_delay_alu instid0(VALU_DEP_2) | instskip(NEXT) | instid1(VALU_DEP_2)
	v_fmac_f64_e32 v[28:29], v[52:53], v[22:23]
	v_add_f64_e32 v[2:3], v[2:3], v[26:27]
	s_delay_alu instid0(VALU_DEP_2) | instskip(SKIP_4) | instid1(VALU_DEP_2)
	v_add_f64_e32 v[58:59], v[28:29], v[62:63]
	ds_load_b128 v[26:29], v40 offset:1280
	s_wait_dscnt 0x0
	v_mul_f64_e32 v[30:31], v[52:53], v[28:29]
	;; [unrolled: 10-line block ×3, first 2 shown]
	v_mul_f64_e32 v[24:25], v[30:31], v[24:25]
	v_fma_f64 v[50:51], v[30:31], v[22:23], -v[50:51]
	s_delay_alu instid0(VALU_DEP_2) | instskip(SKIP_1) | instid1(VALU_DEP_3)
	v_fmac_f64_e32 v[24:25], v[32:33], v[22:23]
	v_mul_f64_e32 v[22:23], v[32:33], v[28:29]
	v_add_f64_e32 v[46:47], v[46:47], v[50:51]
	s_delay_alu instid0(VALU_DEP_3) | instskip(SKIP_1) | instid1(VALU_DEP_4)
	v_add_f64_e32 v[48:49], v[24:25], v[48:49]
	v_mul_f64_e32 v[24:25], v[30:31], v[28:29]
	v_fma_f64 v[22:23], v[30:31], v[26:27], -v[22:23]
	s_delay_alu instid0(VALU_DEP_2) | instskip(NEXT) | instid1(VALU_DEP_2)
	v_fmac_f64_e32 v[24:25], v[32:33], v[26:27]
	v_add_f64_e32 v[36:37], v[36:37], v[22:23]
	s_delay_alu instid0(VALU_DEP_2) | instskip(SKIP_4) | instid1(VALU_DEP_2)
	v_add_f64_e32 v[34:35], v[24:25], v[34:35]
	ds_load_b128 v[22:25], v40 offset:1536
	s_wait_dscnt 0x0
	v_mul_f64_e32 v[26:27], v[56:57], v[24:25]
	v_mul_f64_e32 v[28:29], v[54:55], v[24:25]
	v_fma_f64 v[26:27], v[54:55], v[22:23], -v[26:27]
	s_delay_alu instid0(VALU_DEP_2) | instskip(NEXT) | instid1(VALU_DEP_2)
	v_fmac_f64_e32 v[28:29], v[56:57], v[22:23]
	v_add_f64_e32 v[2:3], v[2:3], v[26:27]
	s_delay_alu instid0(VALU_DEP_2) | instskip(SKIP_4) | instid1(VALU_DEP_2)
	v_add_f64_e32 v[50:51], v[28:29], v[58:59]
	ds_load_b128 v[26:29], v40 offset:1792
	s_wait_dscnt 0x0
	v_mul_f64_e32 v[30:31], v[56:57], v[28:29]
	;; [unrolled: 10-line block ×3, first 2 shown]
	v_mul_f64_e32 v[24:25], v[30:31], v[24:25]
	v_fma_f64 v[52:53], v[30:31], v[22:23], -v[52:53]
	s_delay_alu instid0(VALU_DEP_2) | instskip(SKIP_1) | instid1(VALU_DEP_3)
	v_fmac_f64_e32 v[24:25], v[32:33], v[22:23]
	v_mul_f64_e32 v[22:23], v[32:33], v[28:29]
	v_add_f64_e32 v[46:47], v[46:47], v[52:53]
	s_delay_alu instid0(VALU_DEP_3) | instskip(SKIP_1) | instid1(VALU_DEP_4)
	v_add_f64_e32 v[48:49], v[24:25], v[48:49]
	v_mul_f64_e32 v[24:25], v[30:31], v[28:29]
	v_fma_f64 v[22:23], v[30:31], v[26:27], -v[22:23]
	s_delay_alu instid0(VALU_DEP_2) | instskip(NEXT) | instid1(VALU_DEP_2)
	v_fmac_f64_e32 v[24:25], v[32:33], v[26:27]
	v_add_f64_e32 v[36:37], v[36:37], v[22:23]
	s_delay_alu instid0(VALU_DEP_2)
	v_add_f64_e32 v[34:35], v[24:25], v[34:35]
	ds_load_b128 v[22:25], v41 offset:64
	ds_load_b128 v[26:29], v40 offset:2048
	s_wait_dscnt 0x0
	v_mul_f64_e32 v[30:31], v[24:25], v[28:29]
	v_mul_f64_e32 v[32:33], v[22:23], v[28:29]
	s_delay_alu instid0(VALU_DEP_2) | instskip(NEXT) | instid1(VALU_DEP_2)
	v_fma_f64 v[30:31], v[22:23], v[26:27], -v[30:31]
	v_fmac_f64_e32 v[32:33], v[24:25], v[26:27]
	s_delay_alu instid0(VALU_DEP_2) | instskip(NEXT) | instid1(VALU_DEP_2)
	v_add_f64_e32 v[2:3], v[2:3], v[30:31]
	v_add_f64_e32 v[50:51], v[32:33], v[50:51]
	ds_load_b128 v[30:33], v40 offset:2304
	s_wait_dscnt 0x0
	v_mul_f64_e32 v[52:53], v[24:25], v[32:33]
	s_delay_alu instid0(VALU_DEP_1) | instskip(SKIP_1) | instid1(VALU_DEP_2)
	v_fma_f64 v[52:53], v[22:23], v[30:31], -v[52:53]
	v_mul_f64_e32 v[22:23], v[22:23], v[32:33]
	v_add_f64_e32 v[44:45], v[44:45], v[52:53]
	s_delay_alu instid0(VALU_DEP_2) | instskip(NEXT) | instid1(VALU_DEP_1)
	v_fmac_f64_e32 v[22:23], v[24:25], v[30:31]
	v_add_f64_e32 v[42:43], v[22:23], v[42:43]
	ds_load_b128 v[22:25], v41 offset:2112
	s_wait_dscnt 0x0
	v_mul_f64_e32 v[52:53], v[24:25], v[28:29]
	v_mul_f64_e32 v[28:29], v[22:23], v[28:29]
	s_delay_alu instid0(VALU_DEP_2) | instskip(NEXT) | instid1(VALU_DEP_2)
	v_fma_f64 v[52:53], v[22:23], v[26:27], -v[52:53]
	v_fmac_f64_e32 v[28:29], v[24:25], v[26:27]
	v_mul_f64_e32 v[26:27], v[24:25], v[32:33]
	s_delay_alu instid0(VALU_DEP_3) | instskip(NEXT) | instid1(VALU_DEP_3)
	v_add_f64_e32 v[46:47], v[46:47], v[52:53]
	v_add_f64_e32 v[48:49], v[28:29], v[48:49]
	s_delay_alu instid0(VALU_DEP_3) | instskip(SKIP_1) | instid1(VALU_DEP_2)
	v_fma_f64 v[26:27], v[22:23], v[30:31], -v[26:27]
	v_mul_f64_e32 v[22:23], v[22:23], v[32:33]
	v_add_f64_e32 v[36:37], v[36:37], v[26:27]
	s_delay_alu instid0(VALU_DEP_2) | instskip(NEXT) | instid1(VALU_DEP_1)
	v_fmac_f64_e32 v[22:23], v[24:25], v[30:31]
	v_add_f64_e32 v[34:35], v[22:23], v[34:35]
	ds_load_b128 v[22:25], v41 offset:80
	ds_load_b128 v[26:29], v40 offset:2560
	s_wait_dscnt 0x0
	v_mul_f64_e32 v[30:31], v[24:25], v[28:29]
	v_mul_f64_e32 v[32:33], v[22:23], v[28:29]
	s_delay_alu instid0(VALU_DEP_2) | instskip(NEXT) | instid1(VALU_DEP_2)
	v_fma_f64 v[30:31], v[22:23], v[26:27], -v[30:31]
	v_fmac_f64_e32 v[32:33], v[24:25], v[26:27]
	s_delay_alu instid0(VALU_DEP_2) | instskip(NEXT) | instid1(VALU_DEP_2)
	v_add_f64_e32 v[2:3], v[2:3], v[30:31]
	v_add_f64_e32 v[50:51], v[32:33], v[50:51]
	ds_load_b128 v[30:33], v40 offset:2816
	s_wait_dscnt 0x0
	v_mul_f64_e32 v[52:53], v[24:25], v[32:33]
	s_delay_alu instid0(VALU_DEP_1) | instskip(SKIP_1) | instid1(VALU_DEP_2)
	v_fma_f64 v[52:53], v[22:23], v[30:31], -v[52:53]
	v_mul_f64_e32 v[22:23], v[22:23], v[32:33]
	v_add_f64_e32 v[44:45], v[44:45], v[52:53]
	s_delay_alu instid0(VALU_DEP_2) | instskip(NEXT) | instid1(VALU_DEP_1)
	v_fmac_f64_e32 v[22:23], v[24:25], v[30:31]
	v_add_f64_e32 v[42:43], v[22:23], v[42:43]
	ds_load_b128 v[22:25], v41 offset:2128
	s_wait_dscnt 0x0
	v_mul_f64_e32 v[52:53], v[24:25], v[28:29]
	v_mul_f64_e32 v[28:29], v[22:23], v[28:29]
	s_delay_alu instid0(VALU_DEP_2) | instskip(NEXT) | instid1(VALU_DEP_2)
	v_fma_f64 v[52:53], v[22:23], v[26:27], -v[52:53]
	v_fmac_f64_e32 v[28:29], v[24:25], v[26:27]
	v_mul_f64_e32 v[26:27], v[24:25], v[32:33]
	s_delay_alu instid0(VALU_DEP_3) | instskip(NEXT) | instid1(VALU_DEP_3)
	v_add_f64_e32 v[46:47], v[46:47], v[52:53]
	v_add_f64_e32 v[48:49], v[28:29], v[48:49]
	s_delay_alu instid0(VALU_DEP_3) | instskip(SKIP_1) | instid1(VALU_DEP_2)
	v_fma_f64 v[26:27], v[22:23], v[30:31], -v[26:27]
	v_mul_f64_e32 v[22:23], v[22:23], v[32:33]
	v_add_f64_e32 v[36:37], v[36:37], v[26:27]
	s_delay_alu instid0(VALU_DEP_2) | instskip(NEXT) | instid1(VALU_DEP_1)
	v_fmac_f64_e32 v[22:23], v[24:25], v[30:31]
	;; [unrolled: 39-line block ×3, first 2 shown]
	v_add_f64_e32 v[54:55], v[22:23], v[34:35]
	ds_load_b128 v[22:25], v41 offset:112
	ds_load_b128 v[26:29], v40 offset:3584
	;; [unrolled: 1-line block ×3, first 2 shown]
	s_wait_dscnt 0x1
	v_mul_f64_e32 v[30:31], v[24:25], v[28:29]
	v_mul_f64_e32 v[32:33], v[22:23], v[28:29]
	s_delay_alu instid0(VALU_DEP_2) | instskip(NEXT) | instid1(VALU_DEP_2)
	v_fma_f64 v[30:31], v[22:23], v[26:27], -v[30:31]
	v_fmac_f64_e32 v[32:33], v[24:25], v[26:27]
	s_delay_alu instid0(VALU_DEP_2) | instskip(NEXT) | instid1(VALU_DEP_2)
	v_add_f64_e32 v[30:31], v[2:3], v[30:31]
	v_add_f64_e32 v[32:33], v[32:33], v[50:51]
	s_wait_dscnt 0x0
	v_mul_f64_e32 v[2:3], v[24:25], v[36:37]
	v_mul_f64_e32 v[50:51], v[22:23], v[36:37]
	s_delay_alu instid0(VALU_DEP_2) | instskip(NEXT) | instid1(VALU_DEP_2)
	v_fma_f64 v[2:3], v[22:23], v[34:35], -v[2:3]
	v_fmac_f64_e32 v[50:51], v[24:25], v[34:35]
	s_delay_alu instid0(VALU_DEP_2) | instskip(NEXT) | instid1(VALU_DEP_2)
	v_add_f64_e32 v[22:23], v[44:45], v[2:3]
	v_add_f64_e32 v[24:25], v[50:51], v[42:43]
	ds_load_b128 v[42:45], v41 offset:2160
	s_wait_dscnt 0x0
	s_barrier_signal -1
	s_barrier_wait -1
	v_mul_f64_e32 v[2:3], v[44:45], v[28:29]
	v_mul_f64_e32 v[28:29], v[42:43], v[28:29]
	s_delay_alu instid0(VALU_DEP_2) | instskip(NEXT) | instid1(VALU_DEP_2)
	v_fma_f64 v[2:3], v[42:43], v[26:27], -v[2:3]
	v_fmac_f64_e32 v[28:29], v[44:45], v[26:27]
	s_delay_alu instid0(VALU_DEP_2) | instskip(SKIP_1) | instid1(VALU_DEP_3)
	v_add_f64_e32 v[26:27], v[46:47], v[2:3]
	v_mul_f64_e32 v[2:3], v[44:45], v[36:37]
	v_add_f64_e32 v[28:29], v[28:29], v[48:49]
	s_delay_alu instid0(VALU_DEP_2) | instskip(SKIP_1) | instid1(VALU_DEP_2)
	v_fma_f64 v[2:3], v[42:43], v[34:35], -v[2:3]
	v_mul_f64_e32 v[42:43], v[42:43], v[36:37]
	v_add_f64_e32 v[36:37], v[52:53], v[2:3]
	s_delay_alu instid0(VALU_DEP_2) | instskip(NEXT) | instid1(VALU_DEP_1)
	v_fmac_f64_e32 v[42:43], v[44:45], v[34:35]
	v_add_f64_e32 v[34:35], v[42:43], v[54:55]
	s_cbranch_scc0 .LBB126_18
.LBB126_10:                             ;   Parent Loop BB126_7 Depth=1
                                        ; =>  This Inner Loop Header: Depth=2
	v_add_nc_u32_e32 v1, s0, v6
	s_delay_alu instid0(VALU_DEP_1) | instskip(SKIP_1) | instid1(SALU_CYCLE_1)
	v_cmp_le_i32_e32 vcc_lo, s25, v1
	s_or_b32 s1, s19, vcc_lo
	s_and_saveexec_b32 s21, s1
	s_delay_alu instid0(SALU_CYCLE_1)
	s_xor_b32 s1, exec_lo, s21
; %bb.11:                               ;   in Loop: Header=BB126_10 Depth=2
	v_dual_mov_b32 v1, v0 :: v_dual_mov_b32 v2, v0
	v_mov_b32_e32 v3, v0
	ds_store_b128 v7, v[0:3]
; %bb.12:                               ;   in Loop: Header=BB126_10 Depth=2
	s_and_not1_saveexec_b32 s1, s1
	s_cbranch_execz .LBB126_14
; %bb.13:                               ;   in Loop: Header=BB126_10 Depth=2
	global_load_b128 v[42:45], v[4:5], off
	s_wait_loadcnt 0x0
	ds_store_2addr_b64 v7, v[42:43], v[44:45] offset1:1
.LBB126_14:                             ;   in Loop: Header=BB126_10 Depth=2
	s_wait_xcnt 0x0
	s_or_b32 exec_lo, exec_lo, s1
	v_add_nc_u32_e32 v1, s0, v38
	s_delay_alu instid0(VALU_DEP_1) | instskip(SKIP_1) | instid1(SALU_CYCLE_1)
	v_cmp_le_i32_e32 vcc_lo, s25, v1
	s_or_b32 s1, vcc_lo, s20
	s_and_saveexec_b32 s21, s1
	s_delay_alu instid0(SALU_CYCLE_1)
	s_xor_b32 s1, exec_lo, s21
; %bb.15:                               ;   in Loop: Header=BB126_10 Depth=2
	v_dual_mov_b32 v1, v0 :: v_dual_mov_b32 v2, v0
	v_mov_b32_e32 v3, v0
	ds_store_b128 v39, v[0:3]
; %bb.16:                               ;   in Loop: Header=BB126_10 Depth=2
	s_and_not1_saveexec_b32 s1, s1
	s_cbranch_execz .LBB126_9
; %bb.17:                               ;   in Loop: Header=BB126_10 Depth=2
	global_load_b128 v[42:45], v[20:21], off
	s_wait_loadcnt 0x0
	ds_store_2addr_b64 v39, v[42:43], v[44:45] offset1:1
	s_branch .LBB126_9
.LBB126_18:                             ;   in Loop: Header=BB126_7 Depth=1
	s_mul_u64 s[0:1], s[28:29], s[26:27]
	s_delay_alu instid0(SALU_CYCLE_1) | instskip(NEXT) | instid1(SALU_CYCLE_1)
	s_lshl_b64 s[0:1], s[0:1], 4
	s_add_nc_u64 s[0:1], s[10:11], s[0:1]
	s_delay_alu instid0(SALU_CYCLE_1)
	v_lshl_add_u64 v[20:21], v[10:11], 4, s[0:1]
	s_and_saveexec_b32 s21, s31
	s_cbranch_execz .LBB126_23
; %bb.19:                               ;   in Loop: Header=BB126_7 Depth=1
	v_mul_f64_e32 v[2:3], s[14:15], v[32:33]
	v_mul_f64_e32 v[4:5], s[12:13], v[32:33]
	s_and_b32 vcc_lo, exec_lo, s30
	s_mov_b32 s22, -1
	s_delay_alu instid0(VALU_DEP_2) | instskip(NEXT) | instid1(VALU_DEP_2)
	v_fma_f64 v[2:3], s[12:13], v[30:31], -v[2:3]
	v_fmac_f64_e32 v[4:5], s[14:15], v[30:31]
	v_lshl_add_u64 v[30:31], v[8:9], 4, v[20:21]
	s_cbranch_vccz .LBB126_21
; %bb.20:                               ;   in Loop: Header=BB126_7 Depth=1
	global_load_b128 v[42:45], v[30:31], off
	s_mov_b32 s22, 0
	s_wait_loadcnt 0x0
	v_mul_f64_e32 v[32:33], s[8:9], v[44:45]
	v_mul_f64_e32 v[44:45], s[6:7], v[44:45]
	s_delay_alu instid0(VALU_DEP_2) | instskip(NEXT) | instid1(VALU_DEP_2)
	v_fma_f64 v[32:33], s[6:7], v[42:43], -v[32:33]
	v_fmac_f64_e32 v[44:45], s[8:9], v[42:43]
	s_delay_alu instid0(VALU_DEP_2) | instskip(NEXT) | instid1(VALU_DEP_2)
	v_add_f64_e32 v[42:43], v[2:3], v[32:33]
	v_add_f64_e32 v[44:45], v[4:5], v[44:45]
	global_store_b128 v[30:31], v[42:45], off
.LBB126_21:                             ;   in Loop: Header=BB126_7 Depth=1
	s_and_not1_b32 vcc_lo, exec_lo, s22
	s_cbranch_vccnz .LBB126_23
; %bb.22:                               ;   in Loop: Header=BB126_7 Depth=1
	global_store_b128 v[30:31], v[2:5], off
.LBB126_23:                             ;   in Loop: Header=BB126_7 Depth=1
	s_wait_xcnt 0x0
	s_or_b32 exec_lo, exec_lo, s21
	s_and_saveexec_b32 s21, s34
	s_cbranch_execz .LBB126_28
; %bb.24:                               ;   in Loop: Header=BB126_7 Depth=1
	v_mul_f64_e32 v[2:3], s[14:15], v[24:25]
	v_mul_f64_e32 v[4:5], s[12:13], v[24:25]
	v_lshl_add_u64 v[20:21], v[14:15], 4, v[20:21]
	s_and_not1_b32 vcc_lo, exec_lo, s30
	s_mov_b32 s22, -1
	s_delay_alu instid0(VALU_DEP_3) | instskip(NEXT) | instid1(VALU_DEP_3)
	v_fma_f64 v[2:3], s[12:13], v[22:23], -v[2:3]
	v_fmac_f64_e32 v[4:5], s[14:15], v[22:23]
	s_cbranch_vccnz .LBB126_26
; %bb.25:                               ;   in Loop: Header=BB126_7 Depth=1
	global_load_b128 v[22:25], v[20:21], off
	s_mov_b32 s22, 0
	s_wait_loadcnt 0x0
	v_mul_f64_e32 v[30:31], s[8:9], v[24:25]
	v_mul_f64_e32 v[24:25], s[6:7], v[24:25]
	s_delay_alu instid0(VALU_DEP_2) | instskip(NEXT) | instid1(VALU_DEP_2)
	v_fma_f64 v[30:31], s[6:7], v[22:23], -v[30:31]
	v_fmac_f64_e32 v[24:25], s[8:9], v[22:23]
	s_delay_alu instid0(VALU_DEP_2) | instskip(NEXT) | instid1(VALU_DEP_2)
	v_add_f64_e32 v[22:23], v[2:3], v[30:31]
	v_add_f64_e32 v[24:25], v[4:5], v[24:25]
	global_store_b128 v[20:21], v[22:25], off
.LBB126_26:                             ;   in Loop: Header=BB126_7 Depth=1
	s_and_not1_b32 vcc_lo, exec_lo, s22
	s_cbranch_vccnz .LBB126_28
; %bb.27:                               ;   in Loop: Header=BB126_7 Depth=1
	global_store_b128 v[20:21], v[2:5], off
.LBB126_28:                             ;   in Loop: Header=BB126_7 Depth=1
	s_wait_xcnt 0x0
	s_or_b32 exec_lo, exec_lo, s21
	v_lshl_add_u64 v[20:21], v[12:13], 4, s[0:1]
	s_and_saveexec_b32 s0, s24
	s_cbranch_execz .LBB126_33
; %bb.29:                               ;   in Loop: Header=BB126_7 Depth=1
	v_mul_f64_e32 v[2:3], s[14:15], v[28:29]
	v_mul_f64_e32 v[4:5], s[12:13], v[28:29]
	v_lshl_add_u64 v[22:23], v[8:9], 4, v[20:21]
	s_and_not1_b32 vcc_lo, exec_lo, s30
	s_mov_b32 s1, -1
	s_delay_alu instid0(VALU_DEP_3) | instskip(NEXT) | instid1(VALU_DEP_3)
	v_fma_f64 v[2:3], s[12:13], v[26:27], -v[2:3]
	v_fmac_f64_e32 v[4:5], s[14:15], v[26:27]
	s_cbranch_vccnz .LBB126_31
; %bb.30:                               ;   in Loop: Header=BB126_7 Depth=1
	global_load_b128 v[24:27], v[22:23], off
	s_mov_b32 s1, 0
	s_wait_loadcnt 0x0
	v_mul_f64_e32 v[28:29], s[8:9], v[26:27]
	v_mul_f64_e32 v[26:27], s[6:7], v[26:27]
	s_delay_alu instid0(VALU_DEP_2) | instskip(NEXT) | instid1(VALU_DEP_2)
	v_fma_f64 v[28:29], s[6:7], v[24:25], -v[28:29]
	v_fmac_f64_e32 v[26:27], s[8:9], v[24:25]
	s_delay_alu instid0(VALU_DEP_2) | instskip(NEXT) | instid1(VALU_DEP_2)
	v_add_f64_e32 v[24:25], v[2:3], v[28:29]
	v_add_f64_e32 v[26:27], v[4:5], v[26:27]
	global_store_b128 v[22:23], v[24:27], off
.LBB126_31:                             ;   in Loop: Header=BB126_7 Depth=1
	s_and_not1_b32 vcc_lo, exec_lo, s1
	s_cbranch_vccnz .LBB126_33
; %bb.32:                               ;   in Loop: Header=BB126_7 Depth=1
	global_store_b128 v[22:23], v[2:5], off
.LBB126_33:                             ;   in Loop: Header=BB126_7 Depth=1
	s_wait_xcnt 0x0
	s_or_b32 exec_lo, exec_lo, s0
	s_and_saveexec_b32 s0, s35
	s_cbranch_execz .LBB126_6
; %bb.34:                               ;   in Loop: Header=BB126_7 Depth=1
	s_delay_alu instid0(VALU_DEP_3) | instskip(SKIP_4) | instid1(VALU_DEP_3)
	v_mul_f64_e32 v[2:3], s[14:15], v[34:35]
	v_mul_f64_e32 v[4:5], s[12:13], v[34:35]
	v_lshl_add_u64 v[20:21], v[14:15], 4, v[20:21]
	s_and_not1_b32 vcc_lo, exec_lo, s30
	s_mov_b32 s1, -1
	v_fma_f64 v[2:3], s[12:13], v[36:37], -v[2:3]
	s_delay_alu instid0(VALU_DEP_3)
	v_fmac_f64_e32 v[4:5], s[14:15], v[36:37]
	s_cbranch_vccnz .LBB126_36
; %bb.35:                               ;   in Loop: Header=BB126_7 Depth=1
	global_load_b128 v[22:25], v[20:21], off
	s_mov_b32 s1, 0
	s_wait_loadcnt 0x0
	v_mul_f64_e32 v[26:27], s[8:9], v[24:25]
	v_mul_f64_e32 v[24:25], s[6:7], v[24:25]
	s_delay_alu instid0(VALU_DEP_2) | instskip(NEXT) | instid1(VALU_DEP_2)
	v_fma_f64 v[26:27], s[6:7], v[22:23], -v[26:27]
	v_fmac_f64_e32 v[24:25], s[8:9], v[22:23]
	s_delay_alu instid0(VALU_DEP_2) | instskip(NEXT) | instid1(VALU_DEP_2)
	v_add_f64_e32 v[22:23], v[2:3], v[26:27]
	v_add_f64_e32 v[24:25], v[4:5], v[24:25]
	global_store_b128 v[20:21], v[22:25], off
.LBB126_36:                             ;   in Loop: Header=BB126_7 Depth=1
	s_and_not1_b32 vcc_lo, exec_lo, s1
	s_cbranch_vccnz .LBB126_6
; %bb.37:                               ;   in Loop: Header=BB126_7 Depth=1
	global_store_b128 v[20:21], v[2:5], off
	s_branch .LBB126_6
.LBB126_38:
.LBB126_39:
	s_sendmsg sendmsg(MSG_DEALLOC_VGPRS)
	s_endpgm
	.section	.rodata,"a",@progbits
	.p2align	6, 0x0
	.amdhsa_kernel _ZL29rocblas_internal_gemmt_kernelIiLi16ELi32ELi8ELc78ELc78ELc85ELb0ELb0E19rocblas_complex_numIdES1_PKS1_PS1_EviT_T9_T10_S5_lS7_S5_lS6_T11_S5_li
		.amdhsa_group_segment_fixed_size 8192
		.amdhsa_private_segment_fixed_size 0
		.amdhsa_kernarg_size 116
		.amdhsa_user_sgpr_count 2
		.amdhsa_user_sgpr_dispatch_ptr 0
		.amdhsa_user_sgpr_queue_ptr 0
		.amdhsa_user_sgpr_kernarg_segment_ptr 1
		.amdhsa_user_sgpr_dispatch_id 0
		.amdhsa_user_sgpr_kernarg_preload_length 0
		.amdhsa_user_sgpr_kernarg_preload_offset 0
		.amdhsa_user_sgpr_private_segment_size 0
		.amdhsa_wavefront_size32 1
		.amdhsa_uses_dynamic_stack 0
		.amdhsa_enable_private_segment 0
		.amdhsa_system_sgpr_workgroup_id_x 1
		.amdhsa_system_sgpr_workgroup_id_y 1
		.amdhsa_system_sgpr_workgroup_id_z 1
		.amdhsa_system_sgpr_workgroup_info 0
		.amdhsa_system_vgpr_workitem_id 1
		.amdhsa_next_free_vgpr 66
		.amdhsa_next_free_sgpr 41
		.amdhsa_named_barrier_count 0
		.amdhsa_reserve_vcc 1
		.amdhsa_float_round_mode_32 0
		.amdhsa_float_round_mode_16_64 0
		.amdhsa_float_denorm_mode_32 3
		.amdhsa_float_denorm_mode_16_64 3
		.amdhsa_fp16_overflow 0
		.amdhsa_memory_ordered 1
		.amdhsa_forward_progress 1
		.amdhsa_inst_pref_size 26
		.amdhsa_round_robin_scheduling 0
		.amdhsa_exception_fp_ieee_invalid_op 0
		.amdhsa_exception_fp_denorm_src 0
		.amdhsa_exception_fp_ieee_div_zero 0
		.amdhsa_exception_fp_ieee_overflow 0
		.amdhsa_exception_fp_ieee_underflow 0
		.amdhsa_exception_fp_ieee_inexact 0
		.amdhsa_exception_int_div_zero 0
	.end_amdhsa_kernel
	.section	.text._ZL29rocblas_internal_gemmt_kernelIiLi16ELi32ELi8ELc78ELc78ELc85ELb0ELb0E19rocblas_complex_numIdES1_PKS1_PS1_EviT_T9_T10_S5_lS7_S5_lS6_T11_S5_li,"axG",@progbits,_ZL29rocblas_internal_gemmt_kernelIiLi16ELi32ELi8ELc78ELc78ELc85ELb0ELb0E19rocblas_complex_numIdES1_PKS1_PS1_EviT_T9_T10_S5_lS7_S5_lS6_T11_S5_li,comdat
.Lfunc_end126:
	.size	_ZL29rocblas_internal_gemmt_kernelIiLi16ELi32ELi8ELc78ELc78ELc85ELb0ELb0E19rocblas_complex_numIdES1_PKS1_PS1_EviT_T9_T10_S5_lS7_S5_lS6_T11_S5_li, .Lfunc_end126-_ZL29rocblas_internal_gemmt_kernelIiLi16ELi32ELi8ELc78ELc78ELc85ELb0ELb0E19rocblas_complex_numIdES1_PKS1_PS1_EviT_T9_T10_S5_lS7_S5_lS6_T11_S5_li
                                        ; -- End function
	.set _ZL29rocblas_internal_gemmt_kernelIiLi16ELi32ELi8ELc78ELc78ELc85ELb0ELb0E19rocblas_complex_numIdES1_PKS1_PS1_EviT_T9_T10_S5_lS7_S5_lS6_T11_S5_li.num_vgpr, 66
	.set _ZL29rocblas_internal_gemmt_kernelIiLi16ELi32ELi8ELc78ELc78ELc85ELb0ELb0E19rocblas_complex_numIdES1_PKS1_PS1_EviT_T9_T10_S5_lS7_S5_lS6_T11_S5_li.num_agpr, 0
	.set _ZL29rocblas_internal_gemmt_kernelIiLi16ELi32ELi8ELc78ELc78ELc85ELb0ELb0E19rocblas_complex_numIdES1_PKS1_PS1_EviT_T9_T10_S5_lS7_S5_lS6_T11_S5_li.numbered_sgpr, 41
	.set _ZL29rocblas_internal_gemmt_kernelIiLi16ELi32ELi8ELc78ELc78ELc85ELb0ELb0E19rocblas_complex_numIdES1_PKS1_PS1_EviT_T9_T10_S5_lS7_S5_lS6_T11_S5_li.num_named_barrier, 0
	.set _ZL29rocblas_internal_gemmt_kernelIiLi16ELi32ELi8ELc78ELc78ELc85ELb0ELb0E19rocblas_complex_numIdES1_PKS1_PS1_EviT_T9_T10_S5_lS7_S5_lS6_T11_S5_li.private_seg_size, 0
	.set _ZL29rocblas_internal_gemmt_kernelIiLi16ELi32ELi8ELc78ELc78ELc85ELb0ELb0E19rocblas_complex_numIdES1_PKS1_PS1_EviT_T9_T10_S5_lS7_S5_lS6_T11_S5_li.uses_vcc, 1
	.set _ZL29rocblas_internal_gemmt_kernelIiLi16ELi32ELi8ELc78ELc78ELc85ELb0ELb0E19rocblas_complex_numIdES1_PKS1_PS1_EviT_T9_T10_S5_lS7_S5_lS6_T11_S5_li.uses_flat_scratch, 0
	.set _ZL29rocblas_internal_gemmt_kernelIiLi16ELi32ELi8ELc78ELc78ELc85ELb0ELb0E19rocblas_complex_numIdES1_PKS1_PS1_EviT_T9_T10_S5_lS7_S5_lS6_T11_S5_li.has_dyn_sized_stack, 0
	.set _ZL29rocblas_internal_gemmt_kernelIiLi16ELi32ELi8ELc78ELc78ELc85ELb0ELb0E19rocblas_complex_numIdES1_PKS1_PS1_EviT_T9_T10_S5_lS7_S5_lS6_T11_S5_li.has_recursion, 0
	.set _ZL29rocblas_internal_gemmt_kernelIiLi16ELi32ELi8ELc78ELc78ELc85ELb0ELb0E19rocblas_complex_numIdES1_PKS1_PS1_EviT_T9_T10_S5_lS7_S5_lS6_T11_S5_li.has_indirect_call, 0
	.section	.AMDGPU.csdata,"",@progbits
; Kernel info:
; codeLenInByte = 3216
; TotalNumSgprs: 43
; NumVgprs: 66
; ScratchSize: 0
; MemoryBound: 0
; FloatMode: 240
; IeeeMode: 1
; LDSByteSize: 8192 bytes/workgroup (compile time only)
; SGPRBlocks: 0
; VGPRBlocks: 4
; NumSGPRsForWavesPerEU: 43
; NumVGPRsForWavesPerEU: 66
; NamedBarCnt: 0
; Occupancy: 12
; WaveLimiterHint : 0
; COMPUTE_PGM_RSRC2:SCRATCH_EN: 0
; COMPUTE_PGM_RSRC2:USER_SGPR: 2
; COMPUTE_PGM_RSRC2:TRAP_HANDLER: 0
; COMPUTE_PGM_RSRC2:TGID_X_EN: 1
; COMPUTE_PGM_RSRC2:TGID_Y_EN: 1
; COMPUTE_PGM_RSRC2:TGID_Z_EN: 1
; COMPUTE_PGM_RSRC2:TIDIG_COMP_CNT: 1
	.section	.text._ZL29rocblas_internal_gemmt_kernelIiLi16ELi32ELi8ELc78ELc84ELc85ELb0ELb0E19rocblas_complex_numIdES1_PKS1_PS1_EviT_T9_T10_S5_lS7_S5_lS6_T11_S5_li,"axG",@progbits,_ZL29rocblas_internal_gemmt_kernelIiLi16ELi32ELi8ELc78ELc84ELc85ELb0ELb0E19rocblas_complex_numIdES1_PKS1_PS1_EviT_T9_T10_S5_lS7_S5_lS6_T11_S5_li,comdat
	.globl	_ZL29rocblas_internal_gemmt_kernelIiLi16ELi32ELi8ELc78ELc84ELc85ELb0ELb0E19rocblas_complex_numIdES1_PKS1_PS1_EviT_T9_T10_S5_lS7_S5_lS6_T11_S5_li ; -- Begin function _ZL29rocblas_internal_gemmt_kernelIiLi16ELi32ELi8ELc78ELc84ELc85ELb0ELb0E19rocblas_complex_numIdES1_PKS1_PS1_EviT_T9_T10_S5_lS7_S5_lS6_T11_S5_li
	.p2align	8
	.type	_ZL29rocblas_internal_gemmt_kernelIiLi16ELi32ELi8ELc78ELc84ELc85ELb0ELb0E19rocblas_complex_numIdES1_PKS1_PS1_EviT_T9_T10_S5_lS7_S5_lS6_T11_S5_li,@function
_ZL29rocblas_internal_gemmt_kernelIiLi16ELi32ELi8ELc78ELc84ELc85ELb0ELb0E19rocblas_complex_numIdES1_PKS1_PS1_EviT_T9_T10_S5_lS7_S5_lS6_T11_S5_li: ; @_ZL29rocblas_internal_gemmt_kernelIiLi16ELi32ELi8ELc78ELc84ELc85ELb0ELb0E19rocblas_complex_numIdES1_PKS1_PS1_EviT_T9_T10_S5_lS7_S5_lS6_T11_S5_li
; %bb.0:
	s_clause 0x2
	s_load_b256 s[8:15], s[0:1], 0x40
	s_load_b64 s[4:5], s[0:1], 0x0
	s_load_b128 s[16:19], s[0:1], 0x8
	s_wait_kmcnt 0x0
	v_cmp_eq_f64_e64 s2, s[10:11], 1.0
	v_cmp_eq_f64_e64 s34, s[12:13], 0
	s_and_b32 s2, s2, s34
	s_delay_alu instid0(SALU_CYCLE_1)
	s_and_not1_b32 vcc_lo, exec_lo, s2
	s_mov_b32 s2, -1
	s_cbranch_vccnz .LBB127_3
; %bb.1:
	s_cmp_lg_u32 s5, 0
	s_cbranch_scc0 .LBB127_38
; %bb.2:
	v_cmp_neq_f64_e64 s2, s[16:17], 0
	v_cmp_neq_f64_e64 s3, s[18:19], 0
	s_or_b32 s2, s2, s3
.LBB127_3:
	s_delay_alu instid0(SALU_CYCLE_1)
	s_and_b32 vcc_lo, exec_lo, s2
	s_cbranch_vccz .LBB127_39
; %bb.4:
	s_load_b32 s33, s[0:1], 0x70
	s_bfe_u32 s2, ttmp6, 0x40014
	s_lshr_b32 s3, ttmp7, 16
	s_add_co_i32 s2, s2, 1
	s_bfe_u32 s6, ttmp6, 0x40008
	s_mul_i32 s2, s3, s2
	s_getreg_b32 s35, hwreg(HW_REG_IB_STS2, 6, 4)
	s_add_co_i32 s6, s6, s2
	s_cmp_eq_u32 s35, 0
	s_mov_b32 s7, 0
	s_cselect_b32 s6, s3, s6
	s_wait_kmcnt 0x0
	s_cmp_ge_u32 s6, s33
	s_cbranch_scc1 .LBB127_39
; %bb.5:
	s_clause 0x4
	s_load_b96 s[24:26], s[0:1], 0x18
	s_load_b32 s30, s[0:1], 0x38
	s_load_b32 s2, s[0:1], 0x60
	s_load_b128 s[20:23], s[0:1], 0x28
	s_load_b64 s[28:29], s[0:1], 0x68
	s_wait_xcnt 0x0
	s_bfe_u32 s1, ttmp6, 0x4000c
	s_bfe_u32 s38, ttmp6, 0x40010
	v_and_b32_e32 v1, 0x3ff, v0
	v_bfe_u32 v11, v0, 10, 10
	s_add_co_i32 s1, s1, 1
	s_and_b32 s39, ttmp7, 0xffff
	s_add_co_i32 s38, s38, 1
	s_and_b32 s0, ttmp6, 15
	s_mul_i32 s1, ttmp9, s1
	s_mul_i32 s38, s39, s38
	s_bfe_u32 s40, ttmp6, 0x40004
	v_and_b32_e32 v6, 7, v0
	v_lshl_add_u32 v0, v11, 4, v1
	s_add_co_i32 s0, s0, s1
	s_add_co_i32 s40, s40, s38
	v_cmp_neq_f64_e64 s36, s[16:17], 0
	s_wait_kmcnt 0x0
	s_ashr_i32 s27, s26, 31
	s_ashr_i32 s31, s30, 31
	;; [unrolled: 1-line block ×3, first 2 shown]
	s_cmp_eq_u32 s35, 0
	v_lshrrev_b32_e32 v8, 5, v0
	s_cselect_b32 s0, ttmp9, s0
	v_dual_lshrrev_b32 v3, 3, v0 :: v_dual_bitop2_b32 v5, 31, v0 bitop3:0x40
	s_cselect_b32 s1, s39, s40
	s_lshl_b32 s35, s0, 5
	v_mov_b32_e32 v0, 0
	s_lshl_b32 s0, s1, 5
	s_delay_alu instid0(SALU_CYCLE_1) | instskip(NEXT) | instid1(VALU_DEP_2)
	v_dual_add_nc_u32 v4, s0, v3 :: v_dual_bitop2_b32 v2, s35, v5 bitop3:0x54
	v_dual_mov_b32 v7, v0 :: v_dual_lshlrev_b32 v10, 4, v6
	v_mov_b32_e32 v9, v0
	v_cmp_neq_f64_e64 s37, s[18:19], 0
	v_dual_lshlrev_b32 v5, 4, v5 :: v_dual_add_nc_u32 v20, s0, v11
	s_delay_alu instid0(VALU_DEP_4) | instskip(NEXT) | instid1(VALU_DEP_4)
	v_mul_u64_e32 v[22:23], s[30:31], v[6:7]
	v_mul_u64_e32 v[18:19], s[26:27], v[8:9]
	v_cmp_neq_f64_e64 s38, s[10:11], 0
	v_lshl_or_b32 v3, v3, 7, v10
	v_dual_add_nc_u32 v24, 16, v20 :: v_dual_ashrrev_i32 v21, 31, v20
	v_add_nc_u32_e32 v10, s35, v1
	v_lshl_or_b32 v7, v8, 9, v5
	s_delay_alu instid0(VALU_DEP_4) | instskip(NEXT) | instid1(VALU_DEP_4)
	v_add_nc_u32_e32 v9, 0x1000, v3
	v_ashrrev_i32_e32 v25, 31, v24
	v_mul_u64_e32 v[12:13], s[2:3], v[20:21]
	v_dual_ashrrev_i32 v5, 31, v4 :: v_dual_lshlrev_b32 v40, 4, v1
	v_add_nc_u32_e32 v16, 16, v10
	s_delay_alu instid0(VALU_DEP_4) | instskip(SKIP_2) | instid1(VALU_DEP_4)
	v_mul_u64_e32 v[14:15], s[2:3], v[24:25]
	v_lshl_add_u32 v41, v11, 7, 0x1000
	v_ashrrev_i32_e32 v11, 31, v10
	v_dual_ashrrev_i32 v3, 31, v2 :: v_dual_ashrrev_i32 v17, 31, v16
	v_cmp_gt_i32_e32 vcc_lo, s4, v2
	v_cmp_gt_i32_e64 s0, s4, v4
	v_lshlrev_b64_e32 v[4:5], 4, v[4:5]
	s_delay_alu instid0(VALU_DEP_4)
	v_lshlrev_b64_e32 v[2:3], 4, v[2:3]
	v_cmp_gt_i32_e64 s1, s4, v20
	v_cmp_le_i32_e64 s2, v10, v20
	v_cmp_gt_i32_e64 s3, s4, v24
	v_cmp_le_i32_e64 s4, v10, v24
	s_or_b32 s39, s36, s37
	s_cmp_gt_i32 s5, 0
	s_cselect_b32 s40, -1, 0
	s_and_b32 s35, s1, s2
	v_cmp_le_i32_e64 s2, v16, v20
	v_lshl_add_u64 v[2:3], v[18:19], 4, v[2:3]
	v_lshl_add_u64 v[4:5], v[22:23], 4, v[4:5]
	s_xor_b32 s34, s34, -1
	s_and_b32 s4, s3, s4
	s_and_b32 s36, s1, s2
	v_cmp_le_i32_e64 s1, v16, v24
	v_add_nc_u64_e32 v[18:19], s[24:25], v[2:3]
	v_add_nc_u64_e32 v[20:21], s[22:23], v[4:5]
	s_or_b32 s34, s38, s34
	s_lshl_b64 s[8:9], s[8:9], 4
	s_and_b32 s37, s3, s1
	s_lshl_b64 s[2:3], s[20:21], 4
	s_lshl_b64 s[20:21], s[26:27], 7
	s_and_b32 s24, s39, s40
	s_lshl_b64 s[22:23], s[30:31], 7
	s_xor_b32 s25, vcc_lo, -1
	s_xor_b32 s26, s0, -1
	s_branch .LBB127_7
.LBB127_6:                              ;   in Loop: Header=BB127_7 Depth=1
	s_wait_xcnt 0x0
	s_or_b32 exec_lo, exec_lo, s0
	s_add_co_i32 s6, s6, 0x10000
	s_delay_alu instid0(SALU_CYCLE_1)
	s_cmp_lt_u32 s6, s33
	s_cbranch_scc0 .LBB127_39
.LBB127_7:                              ; =>This Loop Header: Depth=1
                                        ;     Child Loop BB127_10 Depth 2
	v_mov_b64_e32 v[32:33], 0
	v_mov_b64_e32 v[34:35], 0
	;; [unrolled: 1-line block ×8, first 2 shown]
	s_and_not1_b32 vcc_lo, exec_lo, s24
	s_cbranch_vccnz .LBB127_18
; %bb.8:                                ;   in Loop: Header=BB127_7 Depth=1
	v_mad_nc_u64_u32 v[4:5], s2, s6, v[18:19]
	v_mad_nc_u64_u32 v[22:23], s8, s6, v[20:21]
	v_mov_b64_e32 v[36:37], 0
	v_mov_b64_e32 v[38:39], 0
	;; [unrolled: 1-line block ×8, first 2 shown]
	s_mov_b32 s0, 0
	v_mad_u32 v5, s3, s6, v5
	v_mad_u32 v23, s9, s6, v23
	s_branch .LBB127_10
.LBB127_9:                              ;   in Loop: Header=BB127_10 Depth=2
	s_wait_xcnt 0x0
	s_or_b32 exec_lo, exec_lo, s1
	s_wait_dscnt 0x0
	s_barrier_signal -1
	s_barrier_wait -1
	ds_load_b128 v[42:45], v41
	ds_load_b128 v[46:49], v41 offset:16
	ds_load_b128 v[50:53], v41 offset:32
	;; [unrolled: 1-line block ×3, first 2 shown]
	ds_load_b128 v[58:61], v40
	v_add_nc_u64_e32 v[4:5], s[20:21], v[4:5]
	v_add_nc_u64_e32 v[22:23], s[22:23], v[22:23]
	s_add_co_i32 s0, s0, 8
	s_delay_alu instid0(SALU_CYCLE_1) | instskip(SKIP_3) | instid1(VALU_DEP_2)
	s_cmp_lt_i32 s0, s5
	s_wait_dscnt 0x0
	v_mul_f64_e32 v[2:3], v[44:45], v[60:61]
	v_mul_f64_e32 v[62:63], v[42:43], v[60:61]
	v_fma_f64 v[2:3], v[42:43], v[58:59], -v[2:3]
	s_delay_alu instid0(VALU_DEP_2) | instskip(NEXT) | instid1(VALU_DEP_2)
	v_fmac_f64_e32 v[62:63], v[44:45], v[58:59]
	v_add_f64_e32 v[2:3], v[32:33], v[2:3]
	s_delay_alu instid0(VALU_DEP_2) | instskip(SKIP_3) | instid1(VALU_DEP_1)
	v_add_f64_e32 v[62:63], v[62:63], v[34:35]
	ds_load_b128 v[32:35], v40 offset:256
	s_wait_dscnt 0x0
	v_mul_f64_e32 v[64:65], v[44:45], v[34:35]
	v_fma_f64 v[64:65], v[42:43], v[32:33], -v[64:65]
	v_mul_f64_e32 v[42:43], v[42:43], v[34:35]
	s_delay_alu instid0(VALU_DEP_1) | instskip(NEXT) | instid1(VALU_DEP_3)
	v_fmac_f64_e32 v[42:43], v[44:45], v[32:33]
	v_add_f64_e32 v[44:45], v[24:25], v[64:65]
	s_delay_alu instid0(VALU_DEP_2) | instskip(SKIP_4) | instid1(VALU_DEP_2)
	v_add_f64_e32 v[42:43], v[42:43], v[26:27]
	ds_load_b128 v[24:27], v41 offset:2048
	s_wait_dscnt 0x0
	v_mul_f64_e32 v[64:65], v[26:27], v[60:61]
	v_mul_f64_e32 v[60:61], v[24:25], v[60:61]
	v_fma_f64 v[64:65], v[24:25], v[58:59], -v[64:65]
	s_delay_alu instid0(VALU_DEP_2) | instskip(NEXT) | instid1(VALU_DEP_2)
	v_fmac_f64_e32 v[60:61], v[26:27], v[58:59]
	v_add_f64_e32 v[58:59], v[28:29], v[64:65]
	v_mul_f64_e32 v[28:29], v[26:27], v[34:35]
	s_delay_alu instid0(VALU_DEP_3) | instskip(NEXT) | instid1(VALU_DEP_2)
	v_add_f64_e32 v[60:61], v[60:61], v[30:31]
	v_fma_f64 v[28:29], v[24:25], v[32:33], -v[28:29]
	v_mul_f64_e32 v[24:25], v[24:25], v[34:35]
	s_delay_alu instid0(VALU_DEP_2) | instskip(NEXT) | instid1(VALU_DEP_2)
	v_add_f64_e32 v[38:39], v[38:39], v[28:29]
	v_fmac_f64_e32 v[24:25], v[26:27], v[32:33]
	s_delay_alu instid0(VALU_DEP_1) | instskip(SKIP_4) | instid1(VALU_DEP_2)
	v_add_f64_e32 v[36:37], v[24:25], v[36:37]
	ds_load_b128 v[24:27], v40 offset:512
	s_wait_dscnt 0x0
	v_mul_f64_e32 v[28:29], v[48:49], v[26:27]
	v_mul_f64_e32 v[30:31], v[46:47], v[26:27]
	v_fma_f64 v[28:29], v[46:47], v[24:25], -v[28:29]
	s_delay_alu instid0(VALU_DEP_2) | instskip(NEXT) | instid1(VALU_DEP_2)
	v_fmac_f64_e32 v[30:31], v[48:49], v[24:25]
	v_add_f64_e32 v[2:3], v[2:3], v[28:29]
	s_delay_alu instid0(VALU_DEP_2) | instskip(SKIP_4) | instid1(VALU_DEP_2)
	v_add_f64_e32 v[62:63], v[30:31], v[62:63]
	ds_load_b128 v[28:31], v40 offset:768
	s_wait_dscnt 0x0
	v_mul_f64_e32 v[32:33], v[48:49], v[30:31]
	v_mul_f64_e32 v[34:35], v[46:47], v[30:31]
	v_fma_f64 v[32:33], v[46:47], v[28:29], -v[32:33]
	s_delay_alu instid0(VALU_DEP_2) | instskip(NEXT) | instid1(VALU_DEP_2)
	v_fmac_f64_e32 v[34:35], v[48:49], v[28:29]
	v_add_f64_e32 v[44:45], v[44:45], v[32:33]
	s_delay_alu instid0(VALU_DEP_2) | instskip(SKIP_4) | instid1(VALU_DEP_2)
	v_add_f64_e32 v[42:43], v[34:35], v[42:43]
	ds_load_b128 v[32:35], v41 offset:2064
	s_wait_dscnt 0x0
	v_mul_f64_e32 v[46:47], v[34:35], v[26:27]
	v_mul_f64_e32 v[26:27], v[32:33], v[26:27]
	v_fma_f64 v[46:47], v[32:33], v[24:25], -v[46:47]
	s_delay_alu instid0(VALU_DEP_2) | instskip(SKIP_1) | instid1(VALU_DEP_3)
	v_fmac_f64_e32 v[26:27], v[34:35], v[24:25]
	v_mul_f64_e32 v[24:25], v[34:35], v[30:31]
	v_add_f64_e32 v[46:47], v[58:59], v[46:47]
	s_delay_alu instid0(VALU_DEP_3) | instskip(SKIP_1) | instid1(VALU_DEP_4)
	v_add_f64_e32 v[48:49], v[26:27], v[60:61]
	v_mul_f64_e32 v[26:27], v[32:33], v[30:31]
	v_fma_f64 v[24:25], v[32:33], v[28:29], -v[24:25]
	s_delay_alu instid0(VALU_DEP_2) | instskip(NEXT) | instid1(VALU_DEP_2)
	v_fmac_f64_e32 v[26:27], v[34:35], v[28:29]
	v_add_f64_e32 v[38:39], v[38:39], v[24:25]
	s_delay_alu instid0(VALU_DEP_2) | instskip(SKIP_4) | instid1(VALU_DEP_2)
	v_add_f64_e32 v[36:37], v[26:27], v[36:37]
	ds_load_b128 v[24:27], v40 offset:1024
	s_wait_dscnt 0x0
	v_mul_f64_e32 v[28:29], v[52:53], v[26:27]
	v_mul_f64_e32 v[30:31], v[50:51], v[26:27]
	v_fma_f64 v[28:29], v[50:51], v[24:25], -v[28:29]
	s_delay_alu instid0(VALU_DEP_2) | instskip(NEXT) | instid1(VALU_DEP_2)
	v_fmac_f64_e32 v[30:31], v[52:53], v[24:25]
	v_add_f64_e32 v[2:3], v[2:3], v[28:29]
	s_delay_alu instid0(VALU_DEP_2) | instskip(SKIP_4) | instid1(VALU_DEP_2)
	v_add_f64_e32 v[58:59], v[30:31], v[62:63]
	ds_load_b128 v[28:31], v40 offset:1280
	s_wait_dscnt 0x0
	v_mul_f64_e32 v[32:33], v[52:53], v[30:31]
	;; [unrolled: 10-line block ×3, first 2 shown]
	v_mul_f64_e32 v[26:27], v[32:33], v[26:27]
	v_fma_f64 v[50:51], v[32:33], v[24:25], -v[50:51]
	s_delay_alu instid0(VALU_DEP_2) | instskip(SKIP_1) | instid1(VALU_DEP_3)
	v_fmac_f64_e32 v[26:27], v[34:35], v[24:25]
	v_mul_f64_e32 v[24:25], v[34:35], v[30:31]
	v_add_f64_e32 v[46:47], v[46:47], v[50:51]
	s_delay_alu instid0(VALU_DEP_3) | instskip(SKIP_1) | instid1(VALU_DEP_4)
	v_add_f64_e32 v[48:49], v[26:27], v[48:49]
	v_mul_f64_e32 v[26:27], v[32:33], v[30:31]
	v_fma_f64 v[24:25], v[32:33], v[28:29], -v[24:25]
	s_delay_alu instid0(VALU_DEP_2) | instskip(NEXT) | instid1(VALU_DEP_2)
	v_fmac_f64_e32 v[26:27], v[34:35], v[28:29]
	v_add_f64_e32 v[38:39], v[38:39], v[24:25]
	s_delay_alu instid0(VALU_DEP_2) | instskip(SKIP_4) | instid1(VALU_DEP_2)
	v_add_f64_e32 v[36:37], v[26:27], v[36:37]
	ds_load_b128 v[24:27], v40 offset:1536
	s_wait_dscnt 0x0
	v_mul_f64_e32 v[28:29], v[56:57], v[26:27]
	v_mul_f64_e32 v[30:31], v[54:55], v[26:27]
	v_fma_f64 v[28:29], v[54:55], v[24:25], -v[28:29]
	s_delay_alu instid0(VALU_DEP_2) | instskip(NEXT) | instid1(VALU_DEP_2)
	v_fmac_f64_e32 v[30:31], v[56:57], v[24:25]
	v_add_f64_e32 v[2:3], v[2:3], v[28:29]
	s_delay_alu instid0(VALU_DEP_2) | instskip(SKIP_4) | instid1(VALU_DEP_2)
	v_add_f64_e32 v[50:51], v[30:31], v[58:59]
	ds_load_b128 v[28:31], v40 offset:1792
	s_wait_dscnt 0x0
	v_mul_f64_e32 v[32:33], v[56:57], v[30:31]
	;; [unrolled: 10-line block ×3, first 2 shown]
	v_mul_f64_e32 v[26:27], v[32:33], v[26:27]
	v_fma_f64 v[52:53], v[32:33], v[24:25], -v[52:53]
	s_delay_alu instid0(VALU_DEP_2) | instskip(SKIP_1) | instid1(VALU_DEP_3)
	v_fmac_f64_e32 v[26:27], v[34:35], v[24:25]
	v_mul_f64_e32 v[24:25], v[34:35], v[30:31]
	v_add_f64_e32 v[46:47], v[46:47], v[52:53]
	s_delay_alu instid0(VALU_DEP_3) | instskip(SKIP_1) | instid1(VALU_DEP_4)
	v_add_f64_e32 v[48:49], v[26:27], v[48:49]
	v_mul_f64_e32 v[26:27], v[32:33], v[30:31]
	v_fma_f64 v[24:25], v[32:33], v[28:29], -v[24:25]
	s_delay_alu instid0(VALU_DEP_2) | instskip(NEXT) | instid1(VALU_DEP_2)
	v_fmac_f64_e32 v[26:27], v[34:35], v[28:29]
	v_add_f64_e32 v[38:39], v[38:39], v[24:25]
	s_delay_alu instid0(VALU_DEP_2)
	v_add_f64_e32 v[36:37], v[26:27], v[36:37]
	ds_load_b128 v[24:27], v41 offset:64
	ds_load_b128 v[28:31], v40 offset:2048
	s_wait_dscnt 0x0
	v_mul_f64_e32 v[32:33], v[26:27], v[30:31]
	v_mul_f64_e32 v[34:35], v[24:25], v[30:31]
	s_delay_alu instid0(VALU_DEP_2) | instskip(NEXT) | instid1(VALU_DEP_2)
	v_fma_f64 v[32:33], v[24:25], v[28:29], -v[32:33]
	v_fmac_f64_e32 v[34:35], v[26:27], v[28:29]
	s_delay_alu instid0(VALU_DEP_2) | instskip(NEXT) | instid1(VALU_DEP_2)
	v_add_f64_e32 v[2:3], v[2:3], v[32:33]
	v_add_f64_e32 v[50:51], v[34:35], v[50:51]
	ds_load_b128 v[32:35], v40 offset:2304
	s_wait_dscnt 0x0
	v_mul_f64_e32 v[52:53], v[26:27], v[34:35]
	s_delay_alu instid0(VALU_DEP_1) | instskip(SKIP_1) | instid1(VALU_DEP_2)
	v_fma_f64 v[52:53], v[24:25], v[32:33], -v[52:53]
	v_mul_f64_e32 v[24:25], v[24:25], v[34:35]
	v_add_f64_e32 v[44:45], v[44:45], v[52:53]
	s_delay_alu instid0(VALU_DEP_2) | instskip(NEXT) | instid1(VALU_DEP_1)
	v_fmac_f64_e32 v[24:25], v[26:27], v[32:33]
	v_add_f64_e32 v[42:43], v[24:25], v[42:43]
	ds_load_b128 v[24:27], v41 offset:2112
	s_wait_dscnt 0x0
	v_mul_f64_e32 v[52:53], v[26:27], v[30:31]
	v_mul_f64_e32 v[30:31], v[24:25], v[30:31]
	s_delay_alu instid0(VALU_DEP_2) | instskip(NEXT) | instid1(VALU_DEP_2)
	v_fma_f64 v[52:53], v[24:25], v[28:29], -v[52:53]
	v_fmac_f64_e32 v[30:31], v[26:27], v[28:29]
	v_mul_f64_e32 v[28:29], v[26:27], v[34:35]
	s_delay_alu instid0(VALU_DEP_3) | instskip(NEXT) | instid1(VALU_DEP_3)
	v_add_f64_e32 v[46:47], v[46:47], v[52:53]
	v_add_f64_e32 v[48:49], v[30:31], v[48:49]
	s_delay_alu instid0(VALU_DEP_3) | instskip(SKIP_1) | instid1(VALU_DEP_2)
	v_fma_f64 v[28:29], v[24:25], v[32:33], -v[28:29]
	v_mul_f64_e32 v[24:25], v[24:25], v[34:35]
	v_add_f64_e32 v[38:39], v[38:39], v[28:29]
	s_delay_alu instid0(VALU_DEP_2) | instskip(NEXT) | instid1(VALU_DEP_1)
	v_fmac_f64_e32 v[24:25], v[26:27], v[32:33]
	v_add_f64_e32 v[36:37], v[24:25], v[36:37]
	ds_load_b128 v[24:27], v41 offset:80
	ds_load_b128 v[28:31], v40 offset:2560
	s_wait_dscnt 0x0
	v_mul_f64_e32 v[32:33], v[26:27], v[30:31]
	v_mul_f64_e32 v[34:35], v[24:25], v[30:31]
	s_delay_alu instid0(VALU_DEP_2) | instskip(NEXT) | instid1(VALU_DEP_2)
	v_fma_f64 v[32:33], v[24:25], v[28:29], -v[32:33]
	v_fmac_f64_e32 v[34:35], v[26:27], v[28:29]
	s_delay_alu instid0(VALU_DEP_2) | instskip(NEXT) | instid1(VALU_DEP_2)
	v_add_f64_e32 v[2:3], v[2:3], v[32:33]
	v_add_f64_e32 v[50:51], v[34:35], v[50:51]
	ds_load_b128 v[32:35], v40 offset:2816
	s_wait_dscnt 0x0
	v_mul_f64_e32 v[52:53], v[26:27], v[34:35]
	s_delay_alu instid0(VALU_DEP_1) | instskip(SKIP_1) | instid1(VALU_DEP_2)
	v_fma_f64 v[52:53], v[24:25], v[32:33], -v[52:53]
	v_mul_f64_e32 v[24:25], v[24:25], v[34:35]
	v_add_f64_e32 v[44:45], v[44:45], v[52:53]
	s_delay_alu instid0(VALU_DEP_2) | instskip(NEXT) | instid1(VALU_DEP_1)
	v_fmac_f64_e32 v[24:25], v[26:27], v[32:33]
	v_add_f64_e32 v[42:43], v[24:25], v[42:43]
	ds_load_b128 v[24:27], v41 offset:2128
	s_wait_dscnt 0x0
	v_mul_f64_e32 v[52:53], v[26:27], v[30:31]
	v_mul_f64_e32 v[30:31], v[24:25], v[30:31]
	s_delay_alu instid0(VALU_DEP_2) | instskip(NEXT) | instid1(VALU_DEP_2)
	v_fma_f64 v[52:53], v[24:25], v[28:29], -v[52:53]
	v_fmac_f64_e32 v[30:31], v[26:27], v[28:29]
	v_mul_f64_e32 v[28:29], v[26:27], v[34:35]
	s_delay_alu instid0(VALU_DEP_3) | instskip(NEXT) | instid1(VALU_DEP_3)
	v_add_f64_e32 v[46:47], v[46:47], v[52:53]
	v_add_f64_e32 v[48:49], v[30:31], v[48:49]
	s_delay_alu instid0(VALU_DEP_3) | instskip(SKIP_1) | instid1(VALU_DEP_2)
	v_fma_f64 v[28:29], v[24:25], v[32:33], -v[28:29]
	v_mul_f64_e32 v[24:25], v[24:25], v[34:35]
	v_add_f64_e32 v[38:39], v[38:39], v[28:29]
	s_delay_alu instid0(VALU_DEP_2) | instskip(NEXT) | instid1(VALU_DEP_1)
	v_fmac_f64_e32 v[24:25], v[26:27], v[32:33]
	;; [unrolled: 39-line block ×3, first 2 shown]
	v_add_f64_e32 v[54:55], v[24:25], v[36:37]
	ds_load_b128 v[24:27], v41 offset:112
	ds_load_b128 v[28:31], v40 offset:3584
	ds_load_b128 v[36:39], v40 offset:3840
	s_wait_dscnt 0x1
	v_mul_f64_e32 v[32:33], v[26:27], v[30:31]
	v_mul_f64_e32 v[34:35], v[24:25], v[30:31]
	s_delay_alu instid0(VALU_DEP_2) | instskip(NEXT) | instid1(VALU_DEP_2)
	v_fma_f64 v[32:33], v[24:25], v[28:29], -v[32:33]
	v_fmac_f64_e32 v[34:35], v[26:27], v[28:29]
	s_delay_alu instid0(VALU_DEP_2) | instskip(NEXT) | instid1(VALU_DEP_2)
	v_add_f64_e32 v[32:33], v[2:3], v[32:33]
	v_add_f64_e32 v[34:35], v[34:35], v[50:51]
	s_wait_dscnt 0x0
	v_mul_f64_e32 v[2:3], v[26:27], v[38:39]
	v_mul_f64_e32 v[50:51], v[24:25], v[38:39]
	s_delay_alu instid0(VALU_DEP_2) | instskip(NEXT) | instid1(VALU_DEP_2)
	v_fma_f64 v[2:3], v[24:25], v[36:37], -v[2:3]
	v_fmac_f64_e32 v[50:51], v[26:27], v[36:37]
	s_delay_alu instid0(VALU_DEP_2) | instskip(NEXT) | instid1(VALU_DEP_2)
	v_add_f64_e32 v[24:25], v[44:45], v[2:3]
	v_add_f64_e32 v[26:27], v[50:51], v[42:43]
	ds_load_b128 v[42:45], v41 offset:2160
	s_wait_dscnt 0x0
	s_barrier_signal -1
	s_barrier_wait -1
	v_mul_f64_e32 v[2:3], v[44:45], v[30:31]
	v_mul_f64_e32 v[30:31], v[42:43], v[30:31]
	s_delay_alu instid0(VALU_DEP_2) | instskip(NEXT) | instid1(VALU_DEP_2)
	v_fma_f64 v[2:3], v[42:43], v[28:29], -v[2:3]
	v_fmac_f64_e32 v[30:31], v[44:45], v[28:29]
	s_delay_alu instid0(VALU_DEP_2) | instskip(SKIP_1) | instid1(VALU_DEP_3)
	v_add_f64_e32 v[28:29], v[46:47], v[2:3]
	v_mul_f64_e32 v[2:3], v[44:45], v[38:39]
	v_add_f64_e32 v[30:31], v[30:31], v[48:49]
	s_delay_alu instid0(VALU_DEP_2) | instskip(SKIP_1) | instid1(VALU_DEP_2)
	v_fma_f64 v[2:3], v[42:43], v[36:37], -v[2:3]
	v_mul_f64_e32 v[42:43], v[42:43], v[38:39]
	v_add_f64_e32 v[38:39], v[52:53], v[2:3]
	s_delay_alu instid0(VALU_DEP_2) | instskip(NEXT) | instid1(VALU_DEP_1)
	v_fmac_f64_e32 v[42:43], v[44:45], v[36:37]
	v_add_f64_e32 v[36:37], v[42:43], v[54:55]
	s_cbranch_scc0 .LBB127_18
.LBB127_10:                             ;   Parent Loop BB127_7 Depth=1
                                        ; =>  This Inner Loop Header: Depth=2
	v_add_nc_u32_e32 v1, s0, v8
	s_delay_alu instid0(VALU_DEP_1) | instskip(SKIP_1) | instid1(SALU_CYCLE_1)
	v_cmp_le_i32_e32 vcc_lo, s5, v1
	s_or_b32 s1, s25, vcc_lo
	s_and_saveexec_b32 s27, s1
	s_delay_alu instid0(SALU_CYCLE_1)
	s_xor_b32 s1, exec_lo, s27
; %bb.11:                               ;   in Loop: Header=BB127_10 Depth=2
	v_dual_mov_b32 v1, v0 :: v_dual_mov_b32 v2, v0
	v_mov_b32_e32 v3, v0
	ds_store_b128 v7, v[0:3]
; %bb.12:                               ;   in Loop: Header=BB127_10 Depth=2
	s_and_not1_saveexec_b32 s1, s1
	s_cbranch_execz .LBB127_14
; %bb.13:                               ;   in Loop: Header=BB127_10 Depth=2
	global_load_b128 v[42:45], v[4:5], off
	s_wait_loadcnt 0x0
	ds_store_2addr_b64 v7, v[42:43], v[44:45] offset1:1
.LBB127_14:                             ;   in Loop: Header=BB127_10 Depth=2
	s_wait_xcnt 0x0
	s_or_b32 exec_lo, exec_lo, s1
	v_add_nc_u32_e32 v1, s0, v6
	s_delay_alu instid0(VALU_DEP_1) | instskip(SKIP_1) | instid1(SALU_CYCLE_1)
	v_cmp_le_i32_e32 vcc_lo, s5, v1
	s_or_b32 s1, vcc_lo, s26
	s_and_saveexec_b32 s27, s1
	s_delay_alu instid0(SALU_CYCLE_1)
	s_xor_b32 s1, exec_lo, s27
; %bb.15:                               ;   in Loop: Header=BB127_10 Depth=2
	v_dual_mov_b32 v1, v0 :: v_dual_mov_b32 v2, v0
	v_mov_b32_e32 v3, v0
	ds_store_b128 v9, v[0:3]
; %bb.16:                               ;   in Loop: Header=BB127_10 Depth=2
	s_and_not1_saveexec_b32 s1, s1
	s_cbranch_execz .LBB127_9
; %bb.17:                               ;   in Loop: Header=BB127_10 Depth=2
	global_load_b128 v[42:45], v[22:23], off
	s_wait_loadcnt 0x0
	ds_store_2addr_b64 v9, v[42:43], v[44:45] offset1:1
	s_branch .LBB127_9
.LBB127_18:                             ;   in Loop: Header=BB127_7 Depth=1
	s_mul_u64 s[0:1], s[28:29], s[6:7]
	s_delay_alu instid0(SALU_CYCLE_1) | instskip(NEXT) | instid1(SALU_CYCLE_1)
	s_lshl_b64 s[0:1], s[0:1], 4
	s_add_nc_u64 s[0:1], s[14:15], s[0:1]
	s_delay_alu instid0(SALU_CYCLE_1)
	v_lshl_add_u64 v[22:23], v[12:13], 4, s[0:1]
	s_and_saveexec_b32 s27, s35
	s_cbranch_execz .LBB127_23
; %bb.19:                               ;   in Loop: Header=BB127_7 Depth=1
	v_mul_f64_e32 v[2:3], s[18:19], v[34:35]
	v_mul_f64_e32 v[4:5], s[16:17], v[34:35]
	s_and_b32 vcc_lo, exec_lo, s34
	s_mov_b32 s30, -1
	s_delay_alu instid0(VALU_DEP_2) | instskip(NEXT) | instid1(VALU_DEP_2)
	v_fma_f64 v[2:3], s[16:17], v[32:33], -v[2:3]
	v_fmac_f64_e32 v[4:5], s[18:19], v[32:33]
	v_lshl_add_u64 v[32:33], v[10:11], 4, v[22:23]
	s_cbranch_vccz .LBB127_21
; %bb.20:                               ;   in Loop: Header=BB127_7 Depth=1
	global_load_b128 v[42:45], v[32:33], off
	s_mov_b32 s30, 0
	s_wait_loadcnt 0x0
	v_mul_f64_e32 v[34:35], s[12:13], v[44:45]
	v_mul_f64_e32 v[44:45], s[10:11], v[44:45]
	s_delay_alu instid0(VALU_DEP_2) | instskip(NEXT) | instid1(VALU_DEP_2)
	v_fma_f64 v[34:35], s[10:11], v[42:43], -v[34:35]
	v_fmac_f64_e32 v[44:45], s[12:13], v[42:43]
	s_delay_alu instid0(VALU_DEP_2) | instskip(NEXT) | instid1(VALU_DEP_2)
	v_add_f64_e32 v[42:43], v[2:3], v[34:35]
	v_add_f64_e32 v[44:45], v[4:5], v[44:45]
	global_store_b128 v[32:33], v[42:45], off
.LBB127_21:                             ;   in Loop: Header=BB127_7 Depth=1
	s_and_not1_b32 vcc_lo, exec_lo, s30
	s_cbranch_vccnz .LBB127_23
; %bb.22:                               ;   in Loop: Header=BB127_7 Depth=1
	global_store_b128 v[32:33], v[2:5], off
.LBB127_23:                             ;   in Loop: Header=BB127_7 Depth=1
	s_wait_xcnt 0x0
	s_or_b32 exec_lo, exec_lo, s27
	s_and_saveexec_b32 s27, s36
	s_cbranch_execz .LBB127_28
; %bb.24:                               ;   in Loop: Header=BB127_7 Depth=1
	v_mul_f64_e32 v[2:3], s[18:19], v[26:27]
	v_mul_f64_e32 v[4:5], s[16:17], v[26:27]
	v_lshl_add_u64 v[22:23], v[16:17], 4, v[22:23]
	s_and_not1_b32 vcc_lo, exec_lo, s34
	s_mov_b32 s30, -1
	s_delay_alu instid0(VALU_DEP_3) | instskip(NEXT) | instid1(VALU_DEP_3)
	v_fma_f64 v[2:3], s[16:17], v[24:25], -v[2:3]
	v_fmac_f64_e32 v[4:5], s[18:19], v[24:25]
	s_cbranch_vccnz .LBB127_26
; %bb.25:                               ;   in Loop: Header=BB127_7 Depth=1
	global_load_b128 v[24:27], v[22:23], off
	s_mov_b32 s30, 0
	s_wait_loadcnt 0x0
	v_mul_f64_e32 v[32:33], s[12:13], v[26:27]
	v_mul_f64_e32 v[26:27], s[10:11], v[26:27]
	s_delay_alu instid0(VALU_DEP_2) | instskip(NEXT) | instid1(VALU_DEP_2)
	v_fma_f64 v[32:33], s[10:11], v[24:25], -v[32:33]
	v_fmac_f64_e32 v[26:27], s[12:13], v[24:25]
	s_delay_alu instid0(VALU_DEP_2) | instskip(NEXT) | instid1(VALU_DEP_2)
	v_add_f64_e32 v[24:25], v[2:3], v[32:33]
	v_add_f64_e32 v[26:27], v[4:5], v[26:27]
	global_store_b128 v[22:23], v[24:27], off
.LBB127_26:                             ;   in Loop: Header=BB127_7 Depth=1
	s_and_not1_b32 vcc_lo, exec_lo, s30
	s_cbranch_vccnz .LBB127_28
; %bb.27:                               ;   in Loop: Header=BB127_7 Depth=1
	global_store_b128 v[22:23], v[2:5], off
.LBB127_28:                             ;   in Loop: Header=BB127_7 Depth=1
	s_wait_xcnt 0x0
	s_or_b32 exec_lo, exec_lo, s27
	v_lshl_add_u64 v[22:23], v[14:15], 4, s[0:1]
	s_and_saveexec_b32 s0, s4
	s_cbranch_execz .LBB127_33
; %bb.29:                               ;   in Loop: Header=BB127_7 Depth=1
	v_mul_f64_e32 v[2:3], s[18:19], v[30:31]
	v_mul_f64_e32 v[4:5], s[16:17], v[30:31]
	v_lshl_add_u64 v[24:25], v[10:11], 4, v[22:23]
	s_and_not1_b32 vcc_lo, exec_lo, s34
	s_mov_b32 s1, -1
	s_delay_alu instid0(VALU_DEP_3) | instskip(NEXT) | instid1(VALU_DEP_3)
	v_fma_f64 v[2:3], s[16:17], v[28:29], -v[2:3]
	v_fmac_f64_e32 v[4:5], s[18:19], v[28:29]
	s_cbranch_vccnz .LBB127_31
; %bb.30:                               ;   in Loop: Header=BB127_7 Depth=1
	global_load_b128 v[26:29], v[24:25], off
	s_mov_b32 s1, 0
	s_wait_loadcnt 0x0
	v_mul_f64_e32 v[30:31], s[12:13], v[28:29]
	v_mul_f64_e32 v[28:29], s[10:11], v[28:29]
	s_delay_alu instid0(VALU_DEP_2) | instskip(NEXT) | instid1(VALU_DEP_2)
	v_fma_f64 v[30:31], s[10:11], v[26:27], -v[30:31]
	v_fmac_f64_e32 v[28:29], s[12:13], v[26:27]
	s_delay_alu instid0(VALU_DEP_2) | instskip(NEXT) | instid1(VALU_DEP_2)
	v_add_f64_e32 v[26:27], v[2:3], v[30:31]
	v_add_f64_e32 v[28:29], v[4:5], v[28:29]
	global_store_b128 v[24:25], v[26:29], off
.LBB127_31:                             ;   in Loop: Header=BB127_7 Depth=1
	s_and_not1_b32 vcc_lo, exec_lo, s1
	s_cbranch_vccnz .LBB127_33
; %bb.32:                               ;   in Loop: Header=BB127_7 Depth=1
	global_store_b128 v[24:25], v[2:5], off
.LBB127_33:                             ;   in Loop: Header=BB127_7 Depth=1
	s_wait_xcnt 0x0
	s_or_b32 exec_lo, exec_lo, s0
	s_and_saveexec_b32 s0, s37
	s_cbranch_execz .LBB127_6
; %bb.34:                               ;   in Loop: Header=BB127_7 Depth=1
	s_delay_alu instid0(VALU_DEP_3) | instskip(SKIP_4) | instid1(VALU_DEP_3)
	v_mul_f64_e32 v[2:3], s[18:19], v[36:37]
	v_mul_f64_e32 v[4:5], s[16:17], v[36:37]
	v_lshl_add_u64 v[22:23], v[16:17], 4, v[22:23]
	s_and_not1_b32 vcc_lo, exec_lo, s34
	s_mov_b32 s1, -1
	v_fma_f64 v[2:3], s[16:17], v[38:39], -v[2:3]
	s_delay_alu instid0(VALU_DEP_3)
	v_fmac_f64_e32 v[4:5], s[18:19], v[38:39]
	s_cbranch_vccnz .LBB127_36
; %bb.35:                               ;   in Loop: Header=BB127_7 Depth=1
	global_load_b128 v[24:27], v[22:23], off
	s_mov_b32 s1, 0
	s_wait_loadcnt 0x0
	v_mul_f64_e32 v[28:29], s[12:13], v[26:27]
	v_mul_f64_e32 v[26:27], s[10:11], v[26:27]
	s_delay_alu instid0(VALU_DEP_2) | instskip(NEXT) | instid1(VALU_DEP_2)
	v_fma_f64 v[28:29], s[10:11], v[24:25], -v[28:29]
	v_fmac_f64_e32 v[26:27], s[12:13], v[24:25]
	s_delay_alu instid0(VALU_DEP_2) | instskip(NEXT) | instid1(VALU_DEP_2)
	v_add_f64_e32 v[24:25], v[2:3], v[28:29]
	v_add_f64_e32 v[26:27], v[4:5], v[26:27]
	global_store_b128 v[22:23], v[24:27], off
.LBB127_36:                             ;   in Loop: Header=BB127_7 Depth=1
	s_and_not1_b32 vcc_lo, exec_lo, s1
	s_cbranch_vccnz .LBB127_6
; %bb.37:                               ;   in Loop: Header=BB127_7 Depth=1
	global_store_b128 v[22:23], v[2:5], off
	s_branch .LBB127_6
.LBB127_38:
.LBB127_39:
	s_sendmsg sendmsg(MSG_DEALLOC_VGPRS)
	s_endpgm
	.section	.rodata,"a",@progbits
	.p2align	6, 0x0
	.amdhsa_kernel _ZL29rocblas_internal_gemmt_kernelIiLi16ELi32ELi8ELc78ELc84ELc85ELb0ELb0E19rocblas_complex_numIdES1_PKS1_PS1_EviT_T9_T10_S5_lS7_S5_lS6_T11_S5_li
		.amdhsa_group_segment_fixed_size 8192
		.amdhsa_private_segment_fixed_size 0
		.amdhsa_kernarg_size 116
		.amdhsa_user_sgpr_count 2
		.amdhsa_user_sgpr_dispatch_ptr 0
		.amdhsa_user_sgpr_queue_ptr 0
		.amdhsa_user_sgpr_kernarg_segment_ptr 1
		.amdhsa_user_sgpr_dispatch_id 0
		.amdhsa_user_sgpr_kernarg_preload_length 0
		.amdhsa_user_sgpr_kernarg_preload_offset 0
		.amdhsa_user_sgpr_private_segment_size 0
		.amdhsa_wavefront_size32 1
		.amdhsa_uses_dynamic_stack 0
		.amdhsa_enable_private_segment 0
		.amdhsa_system_sgpr_workgroup_id_x 1
		.amdhsa_system_sgpr_workgroup_id_y 1
		.amdhsa_system_sgpr_workgroup_id_z 1
		.amdhsa_system_sgpr_workgroup_info 0
		.amdhsa_system_vgpr_workitem_id 1
		.amdhsa_next_free_vgpr 66
		.amdhsa_next_free_sgpr 41
		.amdhsa_named_barrier_count 0
		.amdhsa_reserve_vcc 1
		.amdhsa_float_round_mode_32 0
		.amdhsa_float_round_mode_16_64 0
		.amdhsa_float_denorm_mode_32 3
		.amdhsa_float_denorm_mode_16_64 3
		.amdhsa_fp16_overflow 0
		.amdhsa_memory_ordered 1
		.amdhsa_forward_progress 1
		.amdhsa_inst_pref_size 26
		.amdhsa_round_robin_scheduling 0
		.amdhsa_exception_fp_ieee_invalid_op 0
		.amdhsa_exception_fp_denorm_src 0
		.amdhsa_exception_fp_ieee_div_zero 0
		.amdhsa_exception_fp_ieee_overflow 0
		.amdhsa_exception_fp_ieee_underflow 0
		.amdhsa_exception_fp_ieee_inexact 0
		.amdhsa_exception_int_div_zero 0
	.end_amdhsa_kernel
	.section	.text._ZL29rocblas_internal_gemmt_kernelIiLi16ELi32ELi8ELc78ELc84ELc85ELb0ELb0E19rocblas_complex_numIdES1_PKS1_PS1_EviT_T9_T10_S5_lS7_S5_lS6_T11_S5_li,"axG",@progbits,_ZL29rocblas_internal_gemmt_kernelIiLi16ELi32ELi8ELc78ELc84ELc85ELb0ELb0E19rocblas_complex_numIdES1_PKS1_PS1_EviT_T9_T10_S5_lS7_S5_lS6_T11_S5_li,comdat
.Lfunc_end127:
	.size	_ZL29rocblas_internal_gemmt_kernelIiLi16ELi32ELi8ELc78ELc84ELc85ELb0ELb0E19rocblas_complex_numIdES1_PKS1_PS1_EviT_T9_T10_S5_lS7_S5_lS6_T11_S5_li, .Lfunc_end127-_ZL29rocblas_internal_gemmt_kernelIiLi16ELi32ELi8ELc78ELc84ELc85ELb0ELb0E19rocblas_complex_numIdES1_PKS1_PS1_EviT_T9_T10_S5_lS7_S5_lS6_T11_S5_li
                                        ; -- End function
	.set _ZL29rocblas_internal_gemmt_kernelIiLi16ELi32ELi8ELc78ELc84ELc85ELb0ELb0E19rocblas_complex_numIdES1_PKS1_PS1_EviT_T9_T10_S5_lS7_S5_lS6_T11_S5_li.num_vgpr, 66
	.set _ZL29rocblas_internal_gemmt_kernelIiLi16ELi32ELi8ELc78ELc84ELc85ELb0ELb0E19rocblas_complex_numIdES1_PKS1_PS1_EviT_T9_T10_S5_lS7_S5_lS6_T11_S5_li.num_agpr, 0
	.set _ZL29rocblas_internal_gemmt_kernelIiLi16ELi32ELi8ELc78ELc84ELc85ELb0ELb0E19rocblas_complex_numIdES1_PKS1_PS1_EviT_T9_T10_S5_lS7_S5_lS6_T11_S5_li.numbered_sgpr, 41
	.set _ZL29rocblas_internal_gemmt_kernelIiLi16ELi32ELi8ELc78ELc84ELc85ELb0ELb0E19rocblas_complex_numIdES1_PKS1_PS1_EviT_T9_T10_S5_lS7_S5_lS6_T11_S5_li.num_named_barrier, 0
	.set _ZL29rocblas_internal_gemmt_kernelIiLi16ELi32ELi8ELc78ELc84ELc85ELb0ELb0E19rocblas_complex_numIdES1_PKS1_PS1_EviT_T9_T10_S5_lS7_S5_lS6_T11_S5_li.private_seg_size, 0
	.set _ZL29rocblas_internal_gemmt_kernelIiLi16ELi32ELi8ELc78ELc84ELc85ELb0ELb0E19rocblas_complex_numIdES1_PKS1_PS1_EviT_T9_T10_S5_lS7_S5_lS6_T11_S5_li.uses_vcc, 1
	.set _ZL29rocblas_internal_gemmt_kernelIiLi16ELi32ELi8ELc78ELc84ELc85ELb0ELb0E19rocblas_complex_numIdES1_PKS1_PS1_EviT_T9_T10_S5_lS7_S5_lS6_T11_S5_li.uses_flat_scratch, 0
	.set _ZL29rocblas_internal_gemmt_kernelIiLi16ELi32ELi8ELc78ELc84ELc85ELb0ELb0E19rocblas_complex_numIdES1_PKS1_PS1_EviT_T9_T10_S5_lS7_S5_lS6_T11_S5_li.has_dyn_sized_stack, 0
	.set _ZL29rocblas_internal_gemmt_kernelIiLi16ELi32ELi8ELc78ELc84ELc85ELb0ELb0E19rocblas_complex_numIdES1_PKS1_PS1_EviT_T9_T10_S5_lS7_S5_lS6_T11_S5_li.has_recursion, 0
	.set _ZL29rocblas_internal_gemmt_kernelIiLi16ELi32ELi8ELc78ELc84ELc85ELb0ELb0E19rocblas_complex_numIdES1_PKS1_PS1_EviT_T9_T10_S5_lS7_S5_lS6_T11_S5_li.has_indirect_call, 0
	.section	.AMDGPU.csdata,"",@progbits
; Kernel info:
; codeLenInByte = 3216
; TotalNumSgprs: 43
; NumVgprs: 66
; ScratchSize: 0
; MemoryBound: 0
; FloatMode: 240
; IeeeMode: 1
; LDSByteSize: 8192 bytes/workgroup (compile time only)
; SGPRBlocks: 0
; VGPRBlocks: 4
; NumSGPRsForWavesPerEU: 43
; NumVGPRsForWavesPerEU: 66
; NamedBarCnt: 0
; Occupancy: 12
; WaveLimiterHint : 0
; COMPUTE_PGM_RSRC2:SCRATCH_EN: 0
; COMPUTE_PGM_RSRC2:USER_SGPR: 2
; COMPUTE_PGM_RSRC2:TRAP_HANDLER: 0
; COMPUTE_PGM_RSRC2:TGID_X_EN: 1
; COMPUTE_PGM_RSRC2:TGID_Y_EN: 1
; COMPUTE_PGM_RSRC2:TGID_Z_EN: 1
; COMPUTE_PGM_RSRC2:TIDIG_COMP_CNT: 1
	.section	.text._ZL29rocblas_internal_gemmt_kernelIiLi16ELi32ELi8ELc78ELc67ELc85ELb0ELb1E19rocblas_complex_numIdES1_PKS1_PS1_EviT_T9_T10_S5_lS7_S5_lS6_T11_S5_li,"axG",@progbits,_ZL29rocblas_internal_gemmt_kernelIiLi16ELi32ELi8ELc78ELc67ELc85ELb0ELb1E19rocblas_complex_numIdES1_PKS1_PS1_EviT_T9_T10_S5_lS7_S5_lS6_T11_S5_li,comdat
	.globl	_ZL29rocblas_internal_gemmt_kernelIiLi16ELi32ELi8ELc78ELc67ELc85ELb0ELb1E19rocblas_complex_numIdES1_PKS1_PS1_EviT_T9_T10_S5_lS7_S5_lS6_T11_S5_li ; -- Begin function _ZL29rocblas_internal_gemmt_kernelIiLi16ELi32ELi8ELc78ELc67ELc85ELb0ELb1E19rocblas_complex_numIdES1_PKS1_PS1_EviT_T9_T10_S5_lS7_S5_lS6_T11_S5_li
	.p2align	8
	.type	_ZL29rocblas_internal_gemmt_kernelIiLi16ELi32ELi8ELc78ELc67ELc85ELb0ELb1E19rocblas_complex_numIdES1_PKS1_PS1_EviT_T9_T10_S5_lS7_S5_lS6_T11_S5_li,@function
_ZL29rocblas_internal_gemmt_kernelIiLi16ELi32ELi8ELc78ELc67ELc85ELb0ELb1E19rocblas_complex_numIdES1_PKS1_PS1_EviT_T9_T10_S5_lS7_S5_lS6_T11_S5_li: ; @_ZL29rocblas_internal_gemmt_kernelIiLi16ELi32ELi8ELc78ELc67ELc85ELb0ELb1E19rocblas_complex_numIdES1_PKS1_PS1_EviT_T9_T10_S5_lS7_S5_lS6_T11_S5_li
; %bb.0:
	s_clause 0x2
	s_load_b256 s[4:11], s[0:1], 0x40
	s_load_b64 s[24:25], s[0:1], 0x0
	s_load_b128 s[12:15], s[0:1], 0x8
	s_wait_kmcnt 0x0
	v_cmp_eq_f64_e64 s2, s[6:7], 1.0
	v_cmp_eq_f64_e64 s34, s[8:9], 0
	s_and_b32 s2, s2, s34
	s_delay_alu instid0(SALU_CYCLE_1)
	s_and_not1_b32 vcc_lo, exec_lo, s2
	s_mov_b32 s2, -1
	s_cbranch_vccnz .LBB128_3
; %bb.1:
	s_cmp_lg_u32 s25, 0
	s_cbranch_scc0 .LBB128_36
; %bb.2:
	v_cmp_neq_f64_e64 s2, s[12:13], 0
	v_cmp_neq_f64_e64 s3, s[14:15], 0
	s_or_b32 s2, s2, s3
.LBB128_3:
	s_delay_alu instid0(SALU_CYCLE_1)
	s_and_b32 vcc_lo, exec_lo, s2
	s_cbranch_vccz .LBB128_37
; %bb.4:
	s_load_b32 s33, s[0:1], 0x70
	s_bfe_u32 s2, ttmp6, 0x40014
	s_lshr_b32 s3, ttmp7, 16
	s_add_co_i32 s2, s2, 1
	s_bfe_u32 s16, ttmp6, 0x40008
	s_mul_i32 s2, s3, s2
	s_getreg_b32 s35, hwreg(HW_REG_IB_STS2, 6, 4)
	s_add_co_i32 s16, s16, s2
	s_cmp_eq_u32 s35, 0
	s_mov_b32 s27, 0
	s_cselect_b32 s26, s3, s16
	s_wait_kmcnt 0x0
	s_cmp_ge_u32 s26, s33
	s_cbranch_scc1 .LBB128_37
; %bb.5:
	s_clause 0x2
	s_load_b96 s[20:22], s[0:1], 0x18
	s_load_b32 s30, s[0:1], 0x38
	s_load_b32 s2, s[0:1], 0x60
	v_and_b32_e32 v1, 0x3ff, v0
	v_bfe_u32 v3, v0, 10, 10
	s_clause 0x1
	s_load_b128 s[16:19], s[0:1], 0x28
	s_load_b64 s[28:29], s[0:1], 0x68
	s_wait_xcnt 0x0
	s_bfe_u32 s1, ttmp6, 0x4000c
	s_bfe_u32 s39, ttmp6, 0x40010
	s_and_b32 s38, ttmp7, 0xffff
	s_add_co_i32 s1, s1, 1
	s_add_co_i32 s39, s39, 1
	v_lshl_add_u32 v2, v3, 4, v1
	s_and_b32 s0, ttmp6, 15
	s_mul_i32 s1, ttmp9, s1
	s_mul_i32 s39, s38, s39
	s_bfe_u32 s40, ttmp6, 0x40004
	s_add_co_i32 s0, s0, s1
	s_add_co_i32 s40, s40, s39
	v_dual_lshrrev_b32 v8, 5, v2 :: v_dual_bitop2_b32 v6, 7, v0 bitop3:0x40
	s_wait_kmcnt 0x0
	s_ashr_i32 s23, s22, 31
	s_ashr_i32 s31, s30, 31
	;; [unrolled: 1-line block ×3, first 2 shown]
	s_cmp_eq_u32 s35, 0
	v_dual_mov_b32 v0, 0 :: v_dual_bitop2_b32 v5, 31, v2 bitop3:0x40
	s_cselect_b32 s0, ttmp9, s0
	s_cselect_b32 s1, s38, s40
	s_lshl_b32 s35, s0, 5
	s_delay_alu instid0(VALU_DEP_1) | instid1(SALU_CYCLE_1)
	v_dual_lshrrev_b32 v10, 3, v2 :: v_dual_bitop2_b32 v2, s35, v5 bitop3:0x54
	s_lshl_b32 s0, s1, 5
	v_dual_mov_b32 v7, v0 :: v_dual_mov_b32 v9, v0
	s_delay_alu instid0(VALU_DEP_2) | instskip(SKIP_1) | instid1(VALU_DEP_3)
	v_dual_add_nc_u32 v4, s0, v10 :: v_dual_lshlrev_b32 v5, 4, v5
	v_add_nc_u32_e32 v20, s0, v3
	v_mul_u64_e32 v[18:19], s[30:31], v[6:7]
	v_lshlrev_b32_e32 v7, 4, v6
	v_mul_u64_e32 v[22:23], s[22:23], v[8:9]
	v_cmp_neq_f64_e64 s36, s[12:13], 0
	v_cmp_neq_f64_e64 s37, s[14:15], 0
	v_dual_add_nc_u32 v24, 16, v20 :: v_dual_ashrrev_i32 v21, 31, v20
	v_cmp_neq_f64_e64 s38, s[6:7], 0
	v_lshl_or_b32 v9, v10, 7, v7
	s_delay_alu instid0(VALU_DEP_3) | instskip(NEXT) | instid1(VALU_DEP_4)
	v_dual_add_nc_u32 v10, s35, v1 :: v_dual_ashrrev_i32 v25, 31, v24
	v_mul_u64_e32 v[12:13], s[2:3], v[20:21]
	v_lshl_or_b32 v7, v8, 9, v5
	v_dual_ashrrev_i32 v5, 31, v4 :: v_dual_lshlrev_b32 v42, 4, v1
	s_delay_alu instid0(VALU_DEP_4) | instskip(SKIP_2) | instid1(VALU_DEP_4)
	v_mul_u64_e32 v[14:15], s[2:3], v[24:25]
	v_cmp_gt_i32_e64 s0, s24, v4
	v_lshl_add_u32 v43, v3, 7, 0x1000
	v_lshlrev_b64_e32 v[4:5], 4, v[4:5]
	v_dual_add_nc_u32 v16, 16, v10 :: v_dual_ashrrev_i32 v11, 31, v10
	v_ashrrev_i32_e32 v3, 31, v2
	v_cmp_gt_i32_e32 vcc_lo, s24, v2
	v_cmp_gt_i32_e64 s1, s24, v20
	s_delay_alu instid0(VALU_DEP_4)
	v_ashrrev_i32_e32 v17, 31, v16
	v_cmp_le_i32_e64 s2, v10, v20
	v_lshlrev_b64_e32 v[2:3], 4, v[2:3]
	v_cmp_le_i32_e64 s3, v16, v20
	v_add_nc_u32_e32 v9, 0x1000, v9
	v_lshl_add_u64 v[4:5], v[18:19], 4, v[4:5]
	s_delay_alu instid0(VALU_DEP_4) | instskip(SKIP_1) | instid1(VALU_DEP_2)
	v_lshl_add_u64 v[2:3], v[22:23], 4, v[2:3]
	s_or_b32 s37, s36, s37
	v_add_nc_u64_e32 v[4:5], s[18:19], v[4:5]
	s_cmp_gt_i32 s25, 0
	s_delay_alu instid0(VALU_DEP_2)
	v_add_nc_u64_e32 v[18:19], s[20:21], v[2:3]
	s_cselect_b32 s39, -1, 0
	s_and_b32 s35, s1, s2
	s_and_b32 s36, s1, s3
	v_cmp_gt_i32_e64 s1, s24, v24
	v_cmp_le_i32_e64 s2, v10, v24
	v_cmp_le_i32_e64 s3, v16, v24
	v_add_nc_u64_e32 v[20:21], 8, v[4:5]
	s_xor_b32 s34, s34, -1
	s_lshl_b64 s[4:5], s[4:5], 4
	s_or_b32 s34, s38, s34
	s_and_b32 s24, s1, s2
	s_and_b32 s1, s1, s3
	s_lshl_b64 s[2:3], s[16:17], 4
	s_lshl_b64 s[16:17], s[22:23], 7
	s_and_b32 s22, s37, s39
	s_lshl_b64 s[18:19], s[30:31], 7
	s_xor_b32 s23, vcc_lo, -1
	s_branch .LBB128_7
.LBB128_6:                              ;   in Loop: Header=BB128_7 Depth=1
	s_wait_xcnt 0x0
	s_or_b32 exec_lo, exec_lo, s20
	s_add_co_i32 s26, s26, 0x10000
	s_delay_alu instid0(SALU_CYCLE_1)
	s_cmp_lt_u32 s26, s33
	s_cbranch_scc0 .LBB128_37
.LBB128_7:                              ; =>This Loop Header: Depth=1
                                        ;     Child Loop BB128_10 Depth 2
	v_mov_b64_e32 v[38:39], 0
	v_mov_b64_e32 v[40:41], 0
	v_mov_b64_e32 v[34:35], 0
	v_mov_b64_e32 v[36:37], 0
	v_mov_b64_e32 v[30:31], 0
	v_mov_b64_e32 v[32:33], 0
	v_mov_b64_e32 v[24:25], 0
	v_mov_b64_e32 v[22:23], 0
	s_and_not1_b32 vcc_lo, exec_lo, s22
	s_cbranch_vccnz .LBB128_16
; %bb.8:                                ;   in Loop: Header=BB128_7 Depth=1
	v_mad_nc_u64_u32 v[26:27], s2, s26, v[18:19]
	v_mad_nc_u64_u32 v[28:29], s4, s26, v[20:21]
	v_mov_b64_e32 v[22:23], 0
	v_mov_b64_e32 v[24:25], 0
	v_mov_b64_e32 v[32:33], 0
	v_mov_b64_e32 v[30:31], 0
	v_mov_b64_e32 v[36:37], 0
	v_mov_b64_e32 v[34:35], 0
	v_mov_b64_e32 v[40:41], 0
	v_mov_b64_e32 v[38:39], 0
	s_mov_b32 s20, 0
	v_mad_u32 v27, s3, s26, v27
	v_mad_u32 v29, s5, s26, v29
	s_branch .LBB128_10
.LBB128_9:                              ;   in Loop: Header=BB128_10 Depth=2
	s_wait_xcnt 0x0
	s_or_b32 exec_lo, exec_lo, s21
	ds_store_b128 v9, v[2:5]
	s_wait_dscnt 0x0
	s_barrier_signal -1
	s_barrier_wait -1
	ds_load_b128 v[2:5], v43
	ds_load_b128 v[44:47], v42
	ds_load_b128 v[48:51], v42 offset:256
	ds_load_b128 v[52:55], v43 offset:2048
	;; [unrolled: 1-line block ×10, first 2 shown]
	v_add_nc_u64_e32 v[26:27], s[16:17], v[26:27]
	v_add_nc_u64_e32 v[28:29], s[18:19], v[28:29]
	s_add_co_i32 s20, s20, 8
	s_delay_alu instid0(SALU_CYCLE_1)
	s_cmp_lt_i32 s20, s25
	s_wait_dscnt 0xa
	v_mul_f64_e32 v[88:89], v[4:5], v[46:47]
	v_mul_f64_e32 v[90:91], v[2:3], v[46:47]
	s_wait_dscnt 0x9
	v_mul_f64_e32 v[92:93], v[4:5], v[50:51]
	v_mul_f64_e32 v[94:95], v[2:3], v[50:51]
	s_wait_dscnt 0x8
	v_mul_f64_e32 v[96:97], v[54:55], v[46:47]
	v_mul_f64_e32 v[98:99], v[52:53], v[46:47]
	v_mul_f64_e32 v[46:47], v[54:55], v[50:51]
	v_mul_f64_e32 v[100:101], v[52:53], v[50:51]
	s_wait_dscnt 0x6
	v_mul_f64_e32 v[102:103], v[58:59], v[62:63]
	v_mul_f64_e32 v[104:105], v[56:57], v[62:63]
	s_wait_dscnt 0x5
	v_mul_f64_e32 v[106:107], v[58:59], v[66:67]
	v_mul_f64_e32 v[108:109], v[56:57], v[66:67]
	s_wait_dscnt 0x4
	v_mul_f64_e32 v[110:111], v[70:71], v[62:63]
	v_mul_f64_e32 v[62:63], v[68:69], v[62:63]
	v_mul_f64_e32 v[112:113], v[70:71], v[66:67]
	v_mul_f64_e32 v[66:67], v[68:69], v[66:67]
	;; [unrolled: 11-line block ×3, first 2 shown]
	v_fma_f64 v[88:89], v[2:3], v[44:45], -v[88:89]
	v_fmac_f64_e32 v[90:91], v[4:5], v[44:45]
	v_fma_f64 v[92:93], v[2:3], v[48:49], -v[92:93]
	v_fmac_f64_e32 v[94:95], v[4:5], v[48:49]
	;; [unrolled: 2-line block ×8, first 2 shown]
	ds_load_b128 v[2:5], v43 offset:48
	ds_load_b128 v[44:47], v43 offset:2096
	;; [unrolled: 1-line block ×4, first 2 shown]
	v_fma_f64 v[116:117], v[72:73], v[76:77], -v[116:117]
	v_fmac_f64_e32 v[118:119], v[74:75], v[76:77]
	v_fma_f64 v[72:73], v[72:73], v[80:81], -v[120:121]
	v_fmac_f64_e32 v[122:123], v[74:75], v[80:81]
	;; [unrolled: 2-line block ×4, first 2 shown]
	v_add_f64_e32 v[64:65], v[38:39], v[88:89]
	v_add_f64_e32 v[68:69], v[90:91], v[40:41]
	;; [unrolled: 1-line block ×8, first 2 shown]
	s_wait_dscnt 0x1
	v_mul_f64_e32 v[98:99], v[4:5], v[50:51]
	v_mul_f64_e32 v[100:101], v[2:3], v[50:51]
	s_wait_dscnt 0x0
	v_mul_f64_e32 v[106:107], v[4:5], v[54:55]
	v_mul_f64_e32 v[110:111], v[2:3], v[54:55]
	v_mul_f64_e32 v[112:113], v[46:47], v[50:51]
	v_mul_f64_e32 v[114:115], v[44:45], v[50:51]
	v_mul_f64_e32 v[50:51], v[46:47], v[54:55]
	v_mul_f64_e32 v[128:129], v[44:45], v[54:55]
	ds_load_b128 v[22:25], v43 offset:64
	ds_load_b128 v[30:33], v42 offset:2048
	;; [unrolled: 1-line block ×4, first 2 shown]
	v_add_f64_e32 v[80:81], v[64:65], v[102:103]
	v_add_f64_e32 v[84:85], v[104:105], v[68:69]
	;; [unrolled: 1-line block ×8, first 2 shown]
	s_wait_dscnt 0x2
	v_mul_f64_e32 v[96:97], v[24:25], v[32:33]
	v_mul_f64_e32 v[102:103], v[22:23], v[32:33]
	s_wait_dscnt 0x1
	v_mul_f64_e32 v[104:105], v[24:25], v[36:37]
	v_mul_f64_e32 v[108:109], v[22:23], v[36:37]
	;; [unrolled: 3-line block ×3, first 2 shown]
	v_mul_f64_e32 v[32:33], v[40:41], v[36:37]
	v_mul_f64_e32 v[126:127], v[38:39], v[36:37]
	v_fma_f64 v[36:37], v[2:3], v[48:49], -v[98:99]
	v_fmac_f64_e32 v[100:101], v[4:5], v[48:49]
	v_fma_f64 v[98:99], v[2:3], v[52:53], -v[106:107]
	v_fmac_f64_e32 v[110:111], v[4:5], v[52:53]
	;; [unrolled: 2-line block ×4, first 2 shown]
	ds_load_b128 v[54:57], v43 offset:80
	ds_load_b128 v[58:61], v43 offset:2128
	;; [unrolled: 1-line block ×4, first 2 shown]
	v_add_f64_e32 v[52:53], v[80:81], v[116:117]
	v_add_f64_e32 v[80:81], v[118:119], v[84:85]
	;; [unrolled: 1-line block ×8, first 2 shown]
	v_fma_f64 v[96:97], v[22:23], v[30:31], -v[96:97]
	v_fmac_f64_e32 v[102:103], v[24:25], v[30:31]
	v_fma_f64 v[104:105], v[22:23], v[34:35], -v[104:105]
	s_wait_dscnt 0x1
	v_mul_f64_e32 v[88:89], v[56:57], v[64:65]
	v_mul_f64_e32 v[90:91], v[54:55], v[64:65]
	s_wait_dscnt 0x0
	v_mul_f64_e32 v[92:93], v[56:57], v[68:69]
	v_mul_f64_e32 v[94:95], v[54:55], v[68:69]
	;; [unrolled: 1-line block ×6, first 2 shown]
	v_fmac_f64_e32 v[108:109], v[24:25], v[34:35]
	v_fma_f64 v[120:121], v[38:39], v[30:31], -v[120:121]
	v_fmac_f64_e32 v[124:125], v[40:41], v[30:31]
	v_fma_f64 v[122:123], v[38:39], v[34:35], -v[32:33]
	v_fmac_f64_e32 v[126:127], v[40:41], v[34:35]
	ds_load_b128 v[2:5], v43 offset:96
	ds_load_b128 v[44:47], v42 offset:3072
	ds_load_b128 v[48:51], v42 offset:3328
	ds_load_b128 v[70:73], v43 offset:2144
	v_add_f64_e32 v[52:53], v[52:53], v[36:37]
	v_add_f64_e32 v[80:81], v[100:101], v[80:81]
	;; [unrolled: 1-line block ×8, first 2 shown]
	ds_load_b128 v[22:25], v43 offset:112
	ds_load_b128 v[30:33], v43 offset:2160
	;; [unrolled: 1-line block ×4, first 2 shown]
	s_wait_dscnt 0x0
	v_mul_f64_e32 v[98:99], v[4:5], v[46:47]
	v_mul_f64_e32 v[100:101], v[2:3], v[46:47]
	;; [unrolled: 1-line block ×8, first 2 shown]
	v_fma_f64 v[88:89], v[54:55], v[62:63], -v[88:89]
	v_fmac_f64_e32 v[90:91], v[56:57], v[62:63]
	v_fma_f64 v[54:55], v[54:55], v[66:67], -v[92:93]
	v_fmac_f64_e32 v[94:95], v[56:57], v[66:67]
	;; [unrolled: 2-line block ×4, first 2 shown]
	s_barrier_signal -1
	s_barrier_wait -1
	v_mul_f64_e32 v[92:93], v[22:23], v[40:41]
	v_add_f64_e32 v[52:53], v[52:53], v[96:97]
	v_add_f64_e32 v[60:61], v[102:103], v[80:81]
	;; [unrolled: 1-line block ×8, first 2 shown]
	v_mul_f64_e32 v[82:83], v[24:25], v[36:37]
	v_mul_f64_e32 v[84:85], v[22:23], v[36:37]
	;; [unrolled: 1-line block ×7, first 2 shown]
	v_fma_f64 v[40:41], v[2:3], v[44:45], -v[98:99]
	v_fmac_f64_e32 v[100:101], v[4:5], v[44:45]
	v_fma_f64 v[2:3], v[2:3], v[48:49], -v[106:107]
	v_fmac_f64_e32 v[110:111], v[4:5], v[48:49]
	;; [unrolled: 2-line block ×4, first 2 shown]
	v_fmac_f64_e32 v[92:93], v[24:25], v[38:39]
	v_add_f64_e32 v[48:49], v[52:53], v[88:89]
	v_add_f64_e32 v[52:53], v[90:91], v[60:61]
	;; [unrolled: 1-line block ×8, first 2 shown]
	v_fma_f64 v[66:67], v[22:23], v[34:35], -v[82:83]
	v_fmac_f64_e32 v[84:85], v[24:25], v[34:35]
	v_fma_f64 v[22:23], v[22:23], v[38:39], -v[86:87]
	v_fma_f64 v[24:25], v[30:31], v[34:35], -v[96:97]
	v_fmac_f64_e32 v[102:103], v[32:33], v[34:35]
	v_fma_f64 v[68:69], v[30:31], v[38:39], -v[36:37]
	v_fmac_f64_e32 v[104:105], v[32:33], v[38:39]
	v_add_f64_e32 v[30:31], v[48:49], v[40:41]
	v_add_f64_e32 v[32:33], v[100:101], v[52:53]
	;; [unrolled: 1-line block ×16, first 2 shown]
	s_cbranch_scc0 .LBB128_16
.LBB128_10:                             ;   Parent Loop BB128_7 Depth=1
                                        ; =>  This Inner Loop Header: Depth=2
	v_add_nc_u32_e32 v1, s20, v8
	s_delay_alu instid0(VALU_DEP_1) | instskip(SKIP_1) | instid1(SALU_CYCLE_1)
	v_cmp_le_i32_e32 vcc_lo, s25, v1
	s_or_b32 s21, s23, vcc_lo
	s_and_saveexec_b32 s30, s21
	s_delay_alu instid0(SALU_CYCLE_1)
	s_xor_b32 s21, exec_lo, s30
; %bb.11:                               ;   in Loop: Header=BB128_10 Depth=2
	v_dual_mov_b32 v1, v0 :: v_dual_mov_b32 v2, v0
	v_mov_b32_e32 v3, v0
	ds_store_b128 v7, v[0:3]
; %bb.12:                               ;   in Loop: Header=BB128_10 Depth=2
	s_and_not1_saveexec_b32 s21, s21
	s_cbranch_execz .LBB128_14
; %bb.13:                               ;   in Loop: Header=BB128_10 Depth=2
	global_load_b128 v[2:5], v[26:27], off
	s_wait_loadcnt 0x0
	ds_store_2addr_b64 v7, v[2:3], v[4:5] offset1:1
.LBB128_14:                             ;   in Loop: Header=BB128_10 Depth=2
	s_wait_xcnt 0x0
	s_or_b32 exec_lo, exec_lo, s21
	v_add_nc_u32_e32 v1, s20, v6
	v_mov_b64_e32 v[2:3], 0
	v_mov_b64_e32 v[4:5], 0
	s_delay_alu instid0(VALU_DEP_3) | instskip(SKIP_1) | instid1(SALU_CYCLE_1)
	v_cmp_gt_i32_e32 vcc_lo, s25, v1
	s_and_b32 s30, vcc_lo, s0
	s_and_saveexec_b32 s21, s30
	s_cbranch_execz .LBB128_9
; %bb.15:                               ;   in Loop: Header=BB128_10 Depth=2
	global_load_b128 v[2:5], v[28:29], off offset:-8
	s_wait_loadcnt 0x0
	v_xor_b32_e32 v5, 0x80000000, v5
	s_branch .LBB128_9
.LBB128_16:                             ;   in Loop: Header=BB128_7 Depth=1
	s_mul_u64 s[20:21], s[28:29], s[26:27]
	s_delay_alu instid0(SALU_CYCLE_1) | instskip(NEXT) | instid1(SALU_CYCLE_1)
	s_lshl_b64 s[20:21], s[20:21], 4
	s_add_nc_u64 s[20:21], s[10:11], s[20:21]
	s_delay_alu instid0(SALU_CYCLE_1)
	v_lshl_add_u64 v[26:27], v[12:13], 4, s[20:21]
	s_and_saveexec_b32 s30, s35
	s_cbranch_execz .LBB128_21
; %bb.17:                               ;   in Loop: Header=BB128_7 Depth=1
	v_mul_f64_e32 v[2:3], s[14:15], v[40:41]
	v_mul_f64_e32 v[4:5], s[12:13], v[40:41]
	v_lshl_add_u64 v[28:29], v[10:11], 4, v[26:27]
	s_and_b32 vcc_lo, exec_lo, s34
	s_mov_b32 s31, -1
	s_delay_alu instid0(VALU_DEP_3) | instskip(NEXT) | instid1(VALU_DEP_3)
	v_fma_f64 v[2:3], s[12:13], v[38:39], -v[2:3]
	v_fmac_f64_e32 v[4:5], s[14:15], v[38:39]
	s_cbranch_vccz .LBB128_19
; %bb.18:                               ;   in Loop: Header=BB128_7 Depth=1
	global_load_b128 v[38:41], v[28:29], off
	s_mov_b32 s31, 0
	s_wait_loadcnt 0x0
	v_mul_f64_e32 v[44:45], s[8:9], v[40:41]
	v_mul_f64_e32 v[40:41], s[6:7], v[40:41]
	s_delay_alu instid0(VALU_DEP_2) | instskip(NEXT) | instid1(VALU_DEP_2)
	v_fma_f64 v[44:45], s[6:7], v[38:39], -v[44:45]
	v_fmac_f64_e32 v[40:41], s[8:9], v[38:39]
	s_delay_alu instid0(VALU_DEP_2) | instskip(NEXT) | instid1(VALU_DEP_2)
	v_add_f64_e32 v[38:39], v[2:3], v[44:45]
	v_add_f64_e32 v[40:41], v[4:5], v[40:41]
	global_store_b128 v[28:29], v[38:41], off
.LBB128_19:                             ;   in Loop: Header=BB128_7 Depth=1
	s_and_not1_b32 vcc_lo, exec_lo, s31
	s_cbranch_vccnz .LBB128_21
; %bb.20:                               ;   in Loop: Header=BB128_7 Depth=1
	global_store_b128 v[28:29], v[2:5], off
.LBB128_21:                             ;   in Loop: Header=BB128_7 Depth=1
	s_wait_xcnt 0x0
	s_or_b32 exec_lo, exec_lo, s30
	s_and_saveexec_b32 s30, s36
	s_cbranch_execz .LBB128_26
; %bb.22:                               ;   in Loop: Header=BB128_7 Depth=1
	v_mul_f64_e32 v[2:3], s[14:15], v[36:37]
	v_mul_f64_e32 v[4:5], s[12:13], v[36:37]
	v_lshl_add_u64 v[26:27], v[16:17], 4, v[26:27]
	s_and_not1_b32 vcc_lo, exec_lo, s34
	s_mov_b32 s31, -1
	s_delay_alu instid0(VALU_DEP_3) | instskip(NEXT) | instid1(VALU_DEP_3)
	v_fma_f64 v[2:3], s[12:13], v[34:35], -v[2:3]
	v_fmac_f64_e32 v[4:5], s[14:15], v[34:35]
	s_cbranch_vccnz .LBB128_24
; %bb.23:                               ;   in Loop: Header=BB128_7 Depth=1
	global_load_b128 v[34:37], v[26:27], off
	s_mov_b32 s31, 0
	s_wait_loadcnt 0x0
	v_mul_f64_e32 v[28:29], s[8:9], v[36:37]
	v_mul_f64_e32 v[36:37], s[6:7], v[36:37]
	s_delay_alu instid0(VALU_DEP_2) | instskip(NEXT) | instid1(VALU_DEP_2)
	v_fma_f64 v[28:29], s[6:7], v[34:35], -v[28:29]
	v_fmac_f64_e32 v[36:37], s[8:9], v[34:35]
	s_delay_alu instid0(VALU_DEP_2) | instskip(NEXT) | instid1(VALU_DEP_2)
	v_add_f64_e32 v[34:35], v[2:3], v[28:29]
	v_add_f64_e32 v[36:37], v[4:5], v[36:37]
	global_store_b128 v[26:27], v[34:37], off
.LBB128_24:                             ;   in Loop: Header=BB128_7 Depth=1
	s_and_not1_b32 vcc_lo, exec_lo, s31
	s_cbranch_vccnz .LBB128_26
; %bb.25:                               ;   in Loop: Header=BB128_7 Depth=1
	global_store_b128 v[26:27], v[2:5], off
.LBB128_26:                             ;   in Loop: Header=BB128_7 Depth=1
	s_wait_xcnt 0x0
	s_or_b32 exec_lo, exec_lo, s30
	v_lshl_add_u64 v[26:27], v[14:15], 4, s[20:21]
	s_and_saveexec_b32 s20, s24
	s_cbranch_execz .LBB128_31
; %bb.27:                               ;   in Loop: Header=BB128_7 Depth=1
	v_mul_f64_e32 v[2:3], s[14:15], v[32:33]
	v_mul_f64_e32 v[4:5], s[12:13], v[32:33]
	v_lshl_add_u64 v[28:29], v[10:11], 4, v[26:27]
	s_and_not1_b32 vcc_lo, exec_lo, s34
	s_mov_b32 s21, -1
	s_delay_alu instid0(VALU_DEP_3) | instskip(NEXT) | instid1(VALU_DEP_3)
	v_fma_f64 v[2:3], s[12:13], v[30:31], -v[2:3]
	v_fmac_f64_e32 v[4:5], s[14:15], v[30:31]
	s_cbranch_vccnz .LBB128_29
; %bb.28:                               ;   in Loop: Header=BB128_7 Depth=1
	global_load_b128 v[30:33], v[28:29], off
	s_mov_b32 s21, 0
	s_wait_loadcnt 0x0
	v_mul_f64_e32 v[34:35], s[8:9], v[32:33]
	v_mul_f64_e32 v[32:33], s[6:7], v[32:33]
	s_delay_alu instid0(VALU_DEP_2) | instskip(NEXT) | instid1(VALU_DEP_2)
	v_fma_f64 v[34:35], s[6:7], v[30:31], -v[34:35]
	v_fmac_f64_e32 v[32:33], s[8:9], v[30:31]
	s_delay_alu instid0(VALU_DEP_2) | instskip(NEXT) | instid1(VALU_DEP_2)
	v_add_f64_e32 v[30:31], v[2:3], v[34:35]
	v_add_f64_e32 v[32:33], v[4:5], v[32:33]
	global_store_b128 v[28:29], v[30:33], off
.LBB128_29:                             ;   in Loop: Header=BB128_7 Depth=1
	s_and_not1_b32 vcc_lo, exec_lo, s21
	s_cbranch_vccnz .LBB128_31
; %bb.30:                               ;   in Loop: Header=BB128_7 Depth=1
	global_store_b128 v[28:29], v[2:5], off
.LBB128_31:                             ;   in Loop: Header=BB128_7 Depth=1
	s_wait_xcnt 0x0
	s_or_b32 exec_lo, exec_lo, s20
	s_and_saveexec_b32 s20, s1
	s_cbranch_execz .LBB128_6
; %bb.32:                               ;   in Loop: Header=BB128_7 Depth=1
	s_delay_alu instid0(VALU_DEP_3) | instskip(SKIP_4) | instid1(VALU_DEP_3)
	v_mul_f64_e32 v[2:3], s[14:15], v[22:23]
	v_mul_f64_e32 v[4:5], s[12:13], v[22:23]
	v_lshl_add_u64 v[22:23], v[16:17], 4, v[26:27]
	s_and_not1_b32 vcc_lo, exec_lo, s34
	s_mov_b32 s21, -1
	v_fma_f64 v[2:3], s[12:13], v[24:25], -v[2:3]
	s_delay_alu instid0(VALU_DEP_3)
	v_fmac_f64_e32 v[4:5], s[14:15], v[24:25]
	s_cbranch_vccnz .LBB128_34
; %bb.33:                               ;   in Loop: Header=BB128_7 Depth=1
	global_load_b128 v[24:27], v[22:23], off
	s_mov_b32 s21, 0
	s_wait_loadcnt 0x0
	v_mul_f64_e32 v[28:29], s[8:9], v[26:27]
	v_mul_f64_e32 v[26:27], s[6:7], v[26:27]
	s_delay_alu instid0(VALU_DEP_2) | instskip(NEXT) | instid1(VALU_DEP_2)
	v_fma_f64 v[28:29], s[6:7], v[24:25], -v[28:29]
	v_fmac_f64_e32 v[26:27], s[8:9], v[24:25]
	s_delay_alu instid0(VALU_DEP_2) | instskip(NEXT) | instid1(VALU_DEP_2)
	v_add_f64_e32 v[24:25], v[2:3], v[28:29]
	v_add_f64_e32 v[26:27], v[4:5], v[26:27]
	global_store_b128 v[22:23], v[24:27], off
.LBB128_34:                             ;   in Loop: Header=BB128_7 Depth=1
	s_and_not1_b32 vcc_lo, exec_lo, s21
	s_cbranch_vccnz .LBB128_6
; %bb.35:                               ;   in Loop: Header=BB128_7 Depth=1
	global_store_b128 v[22:23], v[2:5], off
	s_branch .LBB128_6
.LBB128_36:
.LBB128_37:
	s_sendmsg sendmsg(MSG_DEALLOC_VGPRS)
	s_endpgm
	.section	.rodata,"a",@progbits
	.p2align	6, 0x0
	.amdhsa_kernel _ZL29rocblas_internal_gemmt_kernelIiLi16ELi32ELi8ELc78ELc67ELc85ELb0ELb1E19rocblas_complex_numIdES1_PKS1_PS1_EviT_T9_T10_S5_lS7_S5_lS6_T11_S5_li
		.amdhsa_group_segment_fixed_size 8192
		.amdhsa_private_segment_fixed_size 0
		.amdhsa_kernarg_size 116
		.amdhsa_user_sgpr_count 2
		.amdhsa_user_sgpr_dispatch_ptr 0
		.amdhsa_user_sgpr_queue_ptr 0
		.amdhsa_user_sgpr_kernarg_segment_ptr 1
		.amdhsa_user_sgpr_dispatch_id 0
		.amdhsa_user_sgpr_kernarg_preload_length 0
		.amdhsa_user_sgpr_kernarg_preload_offset 0
		.amdhsa_user_sgpr_private_segment_size 0
		.amdhsa_wavefront_size32 1
		.amdhsa_uses_dynamic_stack 0
		.amdhsa_enable_private_segment 0
		.amdhsa_system_sgpr_workgroup_id_x 1
		.amdhsa_system_sgpr_workgroup_id_y 1
		.amdhsa_system_sgpr_workgroup_id_z 1
		.amdhsa_system_sgpr_workgroup_info 0
		.amdhsa_system_vgpr_workitem_id 1
		.amdhsa_next_free_vgpr 130
		.amdhsa_next_free_sgpr 41
		.amdhsa_named_barrier_count 0
		.amdhsa_reserve_vcc 1
		.amdhsa_float_round_mode_32 0
		.amdhsa_float_round_mode_16_64 0
		.amdhsa_float_denorm_mode_32 3
		.amdhsa_float_denorm_mode_16_64 3
		.amdhsa_fp16_overflow 0
		.amdhsa_memory_ordered 1
		.amdhsa_forward_progress 1
		.amdhsa_inst_pref_size 23
		.amdhsa_round_robin_scheduling 0
		.amdhsa_exception_fp_ieee_invalid_op 0
		.amdhsa_exception_fp_denorm_src 0
		.amdhsa_exception_fp_ieee_div_zero 0
		.amdhsa_exception_fp_ieee_overflow 0
		.amdhsa_exception_fp_ieee_underflow 0
		.amdhsa_exception_fp_ieee_inexact 0
		.amdhsa_exception_int_div_zero 0
	.end_amdhsa_kernel
	.section	.text._ZL29rocblas_internal_gemmt_kernelIiLi16ELi32ELi8ELc78ELc67ELc85ELb0ELb1E19rocblas_complex_numIdES1_PKS1_PS1_EviT_T9_T10_S5_lS7_S5_lS6_T11_S5_li,"axG",@progbits,_ZL29rocblas_internal_gemmt_kernelIiLi16ELi32ELi8ELc78ELc67ELc85ELb0ELb1E19rocblas_complex_numIdES1_PKS1_PS1_EviT_T9_T10_S5_lS7_S5_lS6_T11_S5_li,comdat
.Lfunc_end128:
	.size	_ZL29rocblas_internal_gemmt_kernelIiLi16ELi32ELi8ELc78ELc67ELc85ELb0ELb1E19rocblas_complex_numIdES1_PKS1_PS1_EviT_T9_T10_S5_lS7_S5_lS6_T11_S5_li, .Lfunc_end128-_ZL29rocblas_internal_gemmt_kernelIiLi16ELi32ELi8ELc78ELc67ELc85ELb0ELb1E19rocblas_complex_numIdES1_PKS1_PS1_EviT_T9_T10_S5_lS7_S5_lS6_T11_S5_li
                                        ; -- End function
	.set _ZL29rocblas_internal_gemmt_kernelIiLi16ELi32ELi8ELc78ELc67ELc85ELb0ELb1E19rocblas_complex_numIdES1_PKS1_PS1_EviT_T9_T10_S5_lS7_S5_lS6_T11_S5_li.num_vgpr, 130
	.set _ZL29rocblas_internal_gemmt_kernelIiLi16ELi32ELi8ELc78ELc67ELc85ELb0ELb1E19rocblas_complex_numIdES1_PKS1_PS1_EviT_T9_T10_S5_lS7_S5_lS6_T11_S5_li.num_agpr, 0
	.set _ZL29rocblas_internal_gemmt_kernelIiLi16ELi32ELi8ELc78ELc67ELc85ELb0ELb1E19rocblas_complex_numIdES1_PKS1_PS1_EviT_T9_T10_S5_lS7_S5_lS6_T11_S5_li.numbered_sgpr, 41
	.set _ZL29rocblas_internal_gemmt_kernelIiLi16ELi32ELi8ELc78ELc67ELc85ELb0ELb1E19rocblas_complex_numIdES1_PKS1_PS1_EviT_T9_T10_S5_lS7_S5_lS6_T11_S5_li.num_named_barrier, 0
	.set _ZL29rocblas_internal_gemmt_kernelIiLi16ELi32ELi8ELc78ELc67ELc85ELb0ELb1E19rocblas_complex_numIdES1_PKS1_PS1_EviT_T9_T10_S5_lS7_S5_lS6_T11_S5_li.private_seg_size, 0
	.set _ZL29rocblas_internal_gemmt_kernelIiLi16ELi32ELi8ELc78ELc67ELc85ELb0ELb1E19rocblas_complex_numIdES1_PKS1_PS1_EviT_T9_T10_S5_lS7_S5_lS6_T11_S5_li.uses_vcc, 1
	.set _ZL29rocblas_internal_gemmt_kernelIiLi16ELi32ELi8ELc78ELc67ELc85ELb0ELb1E19rocblas_complex_numIdES1_PKS1_PS1_EviT_T9_T10_S5_lS7_S5_lS6_T11_S5_li.uses_flat_scratch, 0
	.set _ZL29rocblas_internal_gemmt_kernelIiLi16ELi32ELi8ELc78ELc67ELc85ELb0ELb1E19rocblas_complex_numIdES1_PKS1_PS1_EviT_T9_T10_S5_lS7_S5_lS6_T11_S5_li.has_dyn_sized_stack, 0
	.set _ZL29rocblas_internal_gemmt_kernelIiLi16ELi32ELi8ELc78ELc67ELc85ELb0ELb1E19rocblas_complex_numIdES1_PKS1_PS1_EviT_T9_T10_S5_lS7_S5_lS6_T11_S5_li.has_recursion, 0
	.set _ZL29rocblas_internal_gemmt_kernelIiLi16ELi32ELi8ELc78ELc67ELc85ELb0ELb1E19rocblas_complex_numIdES1_PKS1_PS1_EviT_T9_T10_S5_lS7_S5_lS6_T11_S5_li.has_indirect_call, 0
	.section	.AMDGPU.csdata,"",@progbits
; Kernel info:
; codeLenInByte = 2940
; TotalNumSgprs: 43
; NumVgprs: 130
; ScratchSize: 0
; MemoryBound: 1
; FloatMode: 240
; IeeeMode: 1
; LDSByteSize: 8192 bytes/workgroup (compile time only)
; SGPRBlocks: 0
; VGPRBlocks: 8
; NumSGPRsForWavesPerEU: 43
; NumVGPRsForWavesPerEU: 130
; NamedBarCnt: 0
; Occupancy: 7
; WaveLimiterHint : 0
; COMPUTE_PGM_RSRC2:SCRATCH_EN: 0
; COMPUTE_PGM_RSRC2:USER_SGPR: 2
; COMPUTE_PGM_RSRC2:TRAP_HANDLER: 0
; COMPUTE_PGM_RSRC2:TGID_X_EN: 1
; COMPUTE_PGM_RSRC2:TGID_Y_EN: 1
; COMPUTE_PGM_RSRC2:TGID_Z_EN: 1
; COMPUTE_PGM_RSRC2:TIDIG_COMP_CNT: 1
	.section	.text._ZL29rocblas_internal_gemmt_kernelIiLi16ELi32ELi8ELc84ELc78ELc85ELb0ELb0E19rocblas_complex_numIdES1_PKS1_PS1_EviT_T9_T10_S5_lS7_S5_lS6_T11_S5_li,"axG",@progbits,_ZL29rocblas_internal_gemmt_kernelIiLi16ELi32ELi8ELc84ELc78ELc85ELb0ELb0E19rocblas_complex_numIdES1_PKS1_PS1_EviT_T9_T10_S5_lS7_S5_lS6_T11_S5_li,comdat
	.globl	_ZL29rocblas_internal_gemmt_kernelIiLi16ELi32ELi8ELc84ELc78ELc85ELb0ELb0E19rocblas_complex_numIdES1_PKS1_PS1_EviT_T9_T10_S5_lS7_S5_lS6_T11_S5_li ; -- Begin function _ZL29rocblas_internal_gemmt_kernelIiLi16ELi32ELi8ELc84ELc78ELc85ELb0ELb0E19rocblas_complex_numIdES1_PKS1_PS1_EviT_T9_T10_S5_lS7_S5_lS6_T11_S5_li
	.p2align	8
	.type	_ZL29rocblas_internal_gemmt_kernelIiLi16ELi32ELi8ELc84ELc78ELc85ELb0ELb0E19rocblas_complex_numIdES1_PKS1_PS1_EviT_T9_T10_S5_lS7_S5_lS6_T11_S5_li,@function
_ZL29rocblas_internal_gemmt_kernelIiLi16ELi32ELi8ELc84ELc78ELc85ELb0ELb0E19rocblas_complex_numIdES1_PKS1_PS1_EviT_T9_T10_S5_lS7_S5_lS6_T11_S5_li: ; @_ZL29rocblas_internal_gemmt_kernelIiLi16ELi32ELi8ELc84ELc78ELc85ELb0ELb0E19rocblas_complex_numIdES1_PKS1_PS1_EviT_T9_T10_S5_lS7_S5_lS6_T11_S5_li
; %bb.0:
	s_clause 0x2
	s_load_b256 s[4:11], s[0:1], 0x40
	s_load_b64 s[24:25], s[0:1], 0x0
	s_load_b128 s[12:15], s[0:1], 0x8
	s_wait_kmcnt 0x0
	v_cmp_eq_f64_e64 s2, s[6:7], 1.0
	v_cmp_eq_f64_e64 s33, s[8:9], 0
	s_and_b32 s2, s2, s33
	s_delay_alu instid0(SALU_CYCLE_1)
	s_and_not1_b32 vcc_lo, exec_lo, s2
	s_mov_b32 s2, -1
	s_cbranch_vccnz .LBB129_3
; %bb.1:
	s_cmp_lg_u32 s25, 0
	s_cbranch_scc0 .LBB129_38
; %bb.2:
	v_cmp_neq_f64_e64 s2, s[12:13], 0
	v_cmp_neq_f64_e64 s3, s[14:15], 0
	s_or_b32 s2, s2, s3
.LBB129_3:
	s_delay_alu instid0(SALU_CYCLE_1)
	s_and_b32 vcc_lo, exec_lo, s2
	s_cbranch_vccz .LBB129_39
; %bb.4:
	s_load_b32 s23, s[0:1], 0x70
	s_bfe_u32 s2, ttmp6, 0x40014
	s_lshr_b32 s3, ttmp7, 16
	s_add_co_i32 s2, s2, 1
	s_bfe_u32 s16, ttmp6, 0x40008
	s_mul_i32 s2, s3, s2
	s_getreg_b32 s34, hwreg(HW_REG_IB_STS2, 6, 4)
	s_add_co_i32 s16, s16, s2
	s_cmp_eq_u32 s34, 0
	s_mov_b32 s27, 0
	s_cselect_b32 s26, s3, s16
	s_wait_kmcnt 0x0
	s_cmp_ge_u32 s26, s23
	s_cbranch_scc1 .LBB129_39
; %bb.5:
	s_clause 0x2
	s_load_b96 s[20:22], s[0:1], 0x18
	s_load_b32 s2, s[0:1], 0x38
	s_load_b32 s30, s[0:1], 0x60
	v_and_b32_e32 v7, 0x3ff, v0
	v_bfe_u32 v13, v0, 10, 10
	s_clause 0x1
	s_load_b128 s[16:19], s[0:1], 0x28
	s_load_b64 s[28:29], s[0:1], 0x68
	s_wait_xcnt 0x0
	s_bfe_u32 s1, ttmp6, 0x4000c
	s_bfe_u32 s3, ttmp6, 0x40010
	s_and_b32 s37, ttmp7, 0xffff
	s_add_co_i32 s38, s1, 1
	s_add_co_i32 s39, s3, 1
	v_and_b32_e32 v36, 7, v0
	v_lshl_add_u32 v0, v13, 4, v7
	s_and_b32 s0, ttmp6, 15
	s_mul_i32 s38, ttmp9, s38
	s_mul_i32 s39, s37, s39
	s_bfe_u32 s40, ttmp6, 0x40004
	s_add_co_i32 s0, s0, s38
	s_add_co_i32 s40, s40, s39
	v_dual_lshrrev_b32 v5, 3, v0 :: v_dual_bitop2_b32 v4, 31, v0 bitop3:0x40
	s_wait_kmcnt 0x0
	s_ashr_i32 s1, s22, 31
	s_ashr_i32 s3, s2, 31
	;; [unrolled: 1-line block ×3, first 2 shown]
	s_cmp_eq_u32 s34, 0
	v_lshrrev_b32_e32 v37, 5, v0
	s_cselect_b32 s0, ttmp9, s0
	s_cselect_b32 s34, s37, s40
	s_lshl_b32 s37, s0, 5
	s_lshl_b32 s34, s34, 5
	s_delay_alu instid0(SALU_CYCLE_1) | instskip(SKIP_2) | instid1(VALU_DEP_2)
	v_dual_add_nc_u32 v2, s34, v5 :: v_dual_bitop2_b32 v0, s37, v4 bitop3:0x54
	v_dual_lshlrev_b32 v6, 4, v4 :: v_dual_add_nc_u32 v4, s34, v13
	s_mov_b32 s0, s22
	v_dual_ashrrev_i32 v1, 31, v0 :: v_dual_ashrrev_i32 v3, 31, v2
	v_cmp_neq_f64_e64 s35, s[12:13], 0
	v_cmp_neq_f64_e64 s36, s[14:15], 0
	v_lshlrev_b32_e32 v16, 4, v36
	s_delay_alu instid0(VALU_DEP_4)
	v_mul_u64_e32 v[14:15], s[0:1], v[0:1]
	v_mul_u64_e32 v[18:19], s[2:3], v[2:3]
	v_add_nc_u32_e32 v20, 16, v4
	v_cmp_gt_i32_e32 vcc_lo, s24, v0
	v_lshl_or_b32 v38, v37, 9, v6
	v_add_nc_u32_e32 v6, s37, v7
	v_lshl_or_b32 v0, v5, 7, v16
	v_ashrrev_i32_e32 v5, 31, v4
	v_dual_ashrrev_i32 v21, 31, v20 :: v_dual_lshlrev_b32 v40, 4, v7
	v_cmp_neq_f64_e64 s38, s[6:7], 0
	s_delay_alu instid0(VALU_DEP_4) | instskip(NEXT) | instid1(VALU_DEP_4)
	v_dual_mov_b32 v0, 0 :: v_dual_add_nc_u32 v39, 0x1000, v0
	v_mul_u64_e32 v[8:9], s[30:31], v[4:5]
	s_delay_alu instid0(VALU_DEP_4)
	v_mul_u64_e32 v[10:11], s[30:31], v[20:21]
	v_cmp_gt_i32_e64 s0, s24, v2
	v_dual_add_nc_u32 v12, 16, v6 :: v_dual_ashrrev_i32 v7, 31, v6
	v_dual_mov_b32 v3, v0 :: v_dual_lshlrev_b32 v2, 4, v37
	v_mov_b32_e32 v17, v0
	v_lshl_add_u32 v41, v13, 7, 0x1000
	v_cmp_gt_i32_e64 s1, s24, v4
	v_cmp_le_i32_e64 s2, v6, v4
	v_cmp_le_i32_e64 s3, v12, v4
	v_ashrrev_i32_e32 v13, 31, v12
	s_or_b32 s35, s35, s36
	s_cmp_gt_i32 s25, 0
	v_lshl_add_u64 v[2:3], v[14:15], 4, v[2:3]
	v_lshl_add_u64 v[4:5], v[18:19], 4, v[16:17]
	s_cselect_b32 s36, -1, 0
	s_and_b32 s30, s1, s2
	s_and_b32 s31, s1, s3
	v_cmp_gt_i32_e64 s1, s24, v20
	v_cmp_le_i32_e64 s2, v6, v20
	v_cmp_le_i32_e64 s3, v12, v20
	v_add_nc_u64_e32 v[14:15], s[20:21], v[2:3]
	v_add_nc_u64_e32 v[16:17], s[18:19], v[4:5]
	s_xor_b32 s22, s33, -1
	s_and_b32 s24, s1, s2
	s_or_b32 s22, s38, s22
	s_and_b32 s33, s1, s3
	s_lshl_b64 s[2:3], s[16:17], 4
	s_and_b32 s16, s35, s36
	s_lshl_b64 s[4:5], s[4:5], 4
	s_xor_b32 s17, vcc_lo, -1
	s_xor_b32 s18, s0, -1
	s_branch .LBB129_7
.LBB129_6:                              ;   in Loop: Header=BB129_7 Depth=1
	s_wait_xcnt 0x0
	s_or_b32 exec_lo, exec_lo, s0
	s_add_co_i32 s26, s26, 0x10000
	s_delay_alu instid0(SALU_CYCLE_1)
	s_cmp_lt_u32 s26, s23
	s_cbranch_scc0 .LBB129_39
.LBB129_7:                              ; =>This Loop Header: Depth=1
                                        ;     Child Loop BB129_10 Depth 2
	v_mov_b64_e32 v[28:29], 0
	v_mov_b64_e32 v[30:31], 0
	;; [unrolled: 1-line block ×8, first 2 shown]
	s_and_not1_b32 vcc_lo, exec_lo, s16
	s_cbranch_vccnz .LBB129_18
; %bb.8:                                ;   in Loop: Header=BB129_7 Depth=1
	v_mad_nc_u64_u32 v[4:5], s2, s26, v[14:15]
	v_mad_nc_u64_u32 v[18:19], s4, s26, v[16:17]
	v_mov_b64_e32 v[32:33], 0
	v_mov_b64_e32 v[34:35], 0
	;; [unrolled: 1-line block ×8, first 2 shown]
	s_mov_b32 s0, 0
	v_mad_u32 v5, s3, s26, v5
	v_mad_u32 v19, s5, s26, v19
	s_branch .LBB129_10
.LBB129_9:                              ;   in Loop: Header=BB129_10 Depth=2
	s_wait_xcnt 0x0
	s_or_b32 exec_lo, exec_lo, s1
	s_wait_dscnt 0x0
	s_barrier_signal -1
	s_barrier_wait -1
	ds_load_b128 v[42:45], v41
	ds_load_b128 v[46:49], v41 offset:16
	ds_load_b128 v[50:53], v41 offset:32
	;; [unrolled: 1-line block ×3, first 2 shown]
	ds_load_b128 v[58:61], v40
	v_add_nc_u64_e32 v[4:5], 0x80, v[4:5]
	v_add_nc_u64_e32 v[18:19], 0x80, v[18:19]
	s_add_co_i32 s0, s0, 8
	s_delay_alu instid0(SALU_CYCLE_1) | instskip(SKIP_3) | instid1(VALU_DEP_2)
	s_cmp_lt_i32 s0, s25
	s_wait_dscnt 0x0
	v_mul_f64_e32 v[2:3], v[44:45], v[60:61]
	v_mul_f64_e32 v[62:63], v[42:43], v[60:61]
	v_fma_f64 v[2:3], v[42:43], v[58:59], -v[2:3]
	s_delay_alu instid0(VALU_DEP_2) | instskip(NEXT) | instid1(VALU_DEP_2)
	v_fmac_f64_e32 v[62:63], v[44:45], v[58:59]
	v_add_f64_e32 v[2:3], v[28:29], v[2:3]
	s_delay_alu instid0(VALU_DEP_2) | instskip(SKIP_3) | instid1(VALU_DEP_1)
	v_add_f64_e32 v[62:63], v[62:63], v[30:31]
	ds_load_b128 v[28:31], v40 offset:256
	s_wait_dscnt 0x0
	v_mul_f64_e32 v[64:65], v[44:45], v[30:31]
	v_fma_f64 v[64:65], v[42:43], v[28:29], -v[64:65]
	v_mul_f64_e32 v[42:43], v[42:43], v[30:31]
	s_delay_alu instid0(VALU_DEP_1) | instskip(NEXT) | instid1(VALU_DEP_3)
	v_fmac_f64_e32 v[42:43], v[44:45], v[28:29]
	v_add_f64_e32 v[44:45], v[20:21], v[64:65]
	s_delay_alu instid0(VALU_DEP_2) | instskip(SKIP_4) | instid1(VALU_DEP_2)
	v_add_f64_e32 v[42:43], v[42:43], v[22:23]
	ds_load_b128 v[20:23], v41 offset:2048
	s_wait_dscnt 0x0
	v_mul_f64_e32 v[64:65], v[22:23], v[60:61]
	v_mul_f64_e32 v[60:61], v[20:21], v[60:61]
	v_fma_f64 v[64:65], v[20:21], v[58:59], -v[64:65]
	s_delay_alu instid0(VALU_DEP_2) | instskip(NEXT) | instid1(VALU_DEP_2)
	v_fmac_f64_e32 v[60:61], v[22:23], v[58:59]
	v_add_f64_e32 v[58:59], v[24:25], v[64:65]
	v_mul_f64_e32 v[24:25], v[22:23], v[30:31]
	s_delay_alu instid0(VALU_DEP_3) | instskip(NEXT) | instid1(VALU_DEP_2)
	v_add_f64_e32 v[60:61], v[60:61], v[26:27]
	v_fma_f64 v[24:25], v[20:21], v[28:29], -v[24:25]
	v_mul_f64_e32 v[20:21], v[20:21], v[30:31]
	s_delay_alu instid0(VALU_DEP_2) | instskip(NEXT) | instid1(VALU_DEP_2)
	v_add_f64_e32 v[34:35], v[34:35], v[24:25]
	v_fmac_f64_e32 v[20:21], v[22:23], v[28:29]
	s_delay_alu instid0(VALU_DEP_1) | instskip(SKIP_4) | instid1(VALU_DEP_2)
	v_add_f64_e32 v[32:33], v[20:21], v[32:33]
	ds_load_b128 v[20:23], v40 offset:512
	s_wait_dscnt 0x0
	v_mul_f64_e32 v[24:25], v[48:49], v[22:23]
	v_mul_f64_e32 v[26:27], v[46:47], v[22:23]
	v_fma_f64 v[24:25], v[46:47], v[20:21], -v[24:25]
	s_delay_alu instid0(VALU_DEP_2) | instskip(NEXT) | instid1(VALU_DEP_2)
	v_fmac_f64_e32 v[26:27], v[48:49], v[20:21]
	v_add_f64_e32 v[2:3], v[2:3], v[24:25]
	s_delay_alu instid0(VALU_DEP_2) | instskip(SKIP_4) | instid1(VALU_DEP_2)
	v_add_f64_e32 v[62:63], v[26:27], v[62:63]
	ds_load_b128 v[24:27], v40 offset:768
	s_wait_dscnt 0x0
	v_mul_f64_e32 v[28:29], v[48:49], v[26:27]
	v_mul_f64_e32 v[30:31], v[46:47], v[26:27]
	v_fma_f64 v[28:29], v[46:47], v[24:25], -v[28:29]
	s_delay_alu instid0(VALU_DEP_2) | instskip(NEXT) | instid1(VALU_DEP_2)
	v_fmac_f64_e32 v[30:31], v[48:49], v[24:25]
	v_add_f64_e32 v[44:45], v[44:45], v[28:29]
	s_delay_alu instid0(VALU_DEP_2) | instskip(SKIP_4) | instid1(VALU_DEP_2)
	v_add_f64_e32 v[42:43], v[30:31], v[42:43]
	ds_load_b128 v[28:31], v41 offset:2064
	s_wait_dscnt 0x0
	v_mul_f64_e32 v[46:47], v[30:31], v[22:23]
	v_mul_f64_e32 v[22:23], v[28:29], v[22:23]
	v_fma_f64 v[46:47], v[28:29], v[20:21], -v[46:47]
	s_delay_alu instid0(VALU_DEP_2) | instskip(SKIP_1) | instid1(VALU_DEP_3)
	v_fmac_f64_e32 v[22:23], v[30:31], v[20:21]
	v_mul_f64_e32 v[20:21], v[30:31], v[26:27]
	v_add_f64_e32 v[46:47], v[58:59], v[46:47]
	s_delay_alu instid0(VALU_DEP_3) | instskip(SKIP_1) | instid1(VALU_DEP_4)
	v_add_f64_e32 v[48:49], v[22:23], v[60:61]
	v_mul_f64_e32 v[22:23], v[28:29], v[26:27]
	v_fma_f64 v[20:21], v[28:29], v[24:25], -v[20:21]
	s_delay_alu instid0(VALU_DEP_2) | instskip(NEXT) | instid1(VALU_DEP_2)
	v_fmac_f64_e32 v[22:23], v[30:31], v[24:25]
	v_add_f64_e32 v[34:35], v[34:35], v[20:21]
	s_delay_alu instid0(VALU_DEP_2) | instskip(SKIP_4) | instid1(VALU_DEP_2)
	v_add_f64_e32 v[32:33], v[22:23], v[32:33]
	ds_load_b128 v[20:23], v40 offset:1024
	s_wait_dscnt 0x0
	v_mul_f64_e32 v[24:25], v[52:53], v[22:23]
	v_mul_f64_e32 v[26:27], v[50:51], v[22:23]
	v_fma_f64 v[24:25], v[50:51], v[20:21], -v[24:25]
	s_delay_alu instid0(VALU_DEP_2) | instskip(NEXT) | instid1(VALU_DEP_2)
	v_fmac_f64_e32 v[26:27], v[52:53], v[20:21]
	v_add_f64_e32 v[2:3], v[2:3], v[24:25]
	s_delay_alu instid0(VALU_DEP_2) | instskip(SKIP_4) | instid1(VALU_DEP_2)
	v_add_f64_e32 v[58:59], v[26:27], v[62:63]
	ds_load_b128 v[24:27], v40 offset:1280
	s_wait_dscnt 0x0
	v_mul_f64_e32 v[28:29], v[52:53], v[26:27]
	;; [unrolled: 10-line block ×3, first 2 shown]
	v_mul_f64_e32 v[22:23], v[28:29], v[22:23]
	v_fma_f64 v[50:51], v[28:29], v[20:21], -v[50:51]
	s_delay_alu instid0(VALU_DEP_2) | instskip(SKIP_1) | instid1(VALU_DEP_3)
	v_fmac_f64_e32 v[22:23], v[30:31], v[20:21]
	v_mul_f64_e32 v[20:21], v[30:31], v[26:27]
	v_add_f64_e32 v[46:47], v[46:47], v[50:51]
	s_delay_alu instid0(VALU_DEP_3) | instskip(SKIP_1) | instid1(VALU_DEP_4)
	v_add_f64_e32 v[48:49], v[22:23], v[48:49]
	v_mul_f64_e32 v[22:23], v[28:29], v[26:27]
	v_fma_f64 v[20:21], v[28:29], v[24:25], -v[20:21]
	s_delay_alu instid0(VALU_DEP_2) | instskip(NEXT) | instid1(VALU_DEP_2)
	v_fmac_f64_e32 v[22:23], v[30:31], v[24:25]
	v_add_f64_e32 v[34:35], v[34:35], v[20:21]
	s_delay_alu instid0(VALU_DEP_2) | instskip(SKIP_4) | instid1(VALU_DEP_2)
	v_add_f64_e32 v[32:33], v[22:23], v[32:33]
	ds_load_b128 v[20:23], v40 offset:1536
	s_wait_dscnt 0x0
	v_mul_f64_e32 v[24:25], v[56:57], v[22:23]
	v_mul_f64_e32 v[26:27], v[54:55], v[22:23]
	v_fma_f64 v[24:25], v[54:55], v[20:21], -v[24:25]
	s_delay_alu instid0(VALU_DEP_2) | instskip(NEXT) | instid1(VALU_DEP_2)
	v_fmac_f64_e32 v[26:27], v[56:57], v[20:21]
	v_add_f64_e32 v[2:3], v[2:3], v[24:25]
	s_delay_alu instid0(VALU_DEP_2) | instskip(SKIP_4) | instid1(VALU_DEP_2)
	v_add_f64_e32 v[50:51], v[26:27], v[58:59]
	ds_load_b128 v[24:27], v40 offset:1792
	s_wait_dscnt 0x0
	v_mul_f64_e32 v[28:29], v[56:57], v[26:27]
	;; [unrolled: 10-line block ×3, first 2 shown]
	v_mul_f64_e32 v[22:23], v[28:29], v[22:23]
	v_fma_f64 v[52:53], v[28:29], v[20:21], -v[52:53]
	s_delay_alu instid0(VALU_DEP_2) | instskip(SKIP_1) | instid1(VALU_DEP_3)
	v_fmac_f64_e32 v[22:23], v[30:31], v[20:21]
	v_mul_f64_e32 v[20:21], v[30:31], v[26:27]
	v_add_f64_e32 v[46:47], v[46:47], v[52:53]
	s_delay_alu instid0(VALU_DEP_3) | instskip(SKIP_1) | instid1(VALU_DEP_4)
	v_add_f64_e32 v[48:49], v[22:23], v[48:49]
	v_mul_f64_e32 v[22:23], v[28:29], v[26:27]
	v_fma_f64 v[20:21], v[28:29], v[24:25], -v[20:21]
	s_delay_alu instid0(VALU_DEP_2) | instskip(NEXT) | instid1(VALU_DEP_2)
	v_fmac_f64_e32 v[22:23], v[30:31], v[24:25]
	v_add_f64_e32 v[34:35], v[34:35], v[20:21]
	s_delay_alu instid0(VALU_DEP_2)
	v_add_f64_e32 v[32:33], v[22:23], v[32:33]
	ds_load_b128 v[20:23], v41 offset:64
	ds_load_b128 v[24:27], v40 offset:2048
	s_wait_dscnt 0x0
	v_mul_f64_e32 v[28:29], v[22:23], v[26:27]
	v_mul_f64_e32 v[30:31], v[20:21], v[26:27]
	s_delay_alu instid0(VALU_DEP_2) | instskip(NEXT) | instid1(VALU_DEP_2)
	v_fma_f64 v[28:29], v[20:21], v[24:25], -v[28:29]
	v_fmac_f64_e32 v[30:31], v[22:23], v[24:25]
	s_delay_alu instid0(VALU_DEP_2) | instskip(NEXT) | instid1(VALU_DEP_2)
	v_add_f64_e32 v[2:3], v[2:3], v[28:29]
	v_add_f64_e32 v[50:51], v[30:31], v[50:51]
	ds_load_b128 v[28:31], v40 offset:2304
	s_wait_dscnt 0x0
	v_mul_f64_e32 v[52:53], v[22:23], v[30:31]
	s_delay_alu instid0(VALU_DEP_1) | instskip(SKIP_1) | instid1(VALU_DEP_2)
	v_fma_f64 v[52:53], v[20:21], v[28:29], -v[52:53]
	v_mul_f64_e32 v[20:21], v[20:21], v[30:31]
	v_add_f64_e32 v[44:45], v[44:45], v[52:53]
	s_delay_alu instid0(VALU_DEP_2) | instskip(NEXT) | instid1(VALU_DEP_1)
	v_fmac_f64_e32 v[20:21], v[22:23], v[28:29]
	v_add_f64_e32 v[42:43], v[20:21], v[42:43]
	ds_load_b128 v[20:23], v41 offset:2112
	s_wait_dscnt 0x0
	v_mul_f64_e32 v[52:53], v[22:23], v[26:27]
	v_mul_f64_e32 v[26:27], v[20:21], v[26:27]
	s_delay_alu instid0(VALU_DEP_2) | instskip(NEXT) | instid1(VALU_DEP_2)
	v_fma_f64 v[52:53], v[20:21], v[24:25], -v[52:53]
	v_fmac_f64_e32 v[26:27], v[22:23], v[24:25]
	v_mul_f64_e32 v[24:25], v[22:23], v[30:31]
	s_delay_alu instid0(VALU_DEP_3) | instskip(NEXT) | instid1(VALU_DEP_3)
	v_add_f64_e32 v[46:47], v[46:47], v[52:53]
	v_add_f64_e32 v[48:49], v[26:27], v[48:49]
	s_delay_alu instid0(VALU_DEP_3) | instskip(SKIP_1) | instid1(VALU_DEP_2)
	v_fma_f64 v[24:25], v[20:21], v[28:29], -v[24:25]
	v_mul_f64_e32 v[20:21], v[20:21], v[30:31]
	v_add_f64_e32 v[34:35], v[34:35], v[24:25]
	s_delay_alu instid0(VALU_DEP_2) | instskip(NEXT) | instid1(VALU_DEP_1)
	v_fmac_f64_e32 v[20:21], v[22:23], v[28:29]
	v_add_f64_e32 v[32:33], v[20:21], v[32:33]
	ds_load_b128 v[20:23], v41 offset:80
	ds_load_b128 v[24:27], v40 offset:2560
	s_wait_dscnt 0x0
	v_mul_f64_e32 v[28:29], v[22:23], v[26:27]
	v_mul_f64_e32 v[30:31], v[20:21], v[26:27]
	s_delay_alu instid0(VALU_DEP_2) | instskip(NEXT) | instid1(VALU_DEP_2)
	v_fma_f64 v[28:29], v[20:21], v[24:25], -v[28:29]
	v_fmac_f64_e32 v[30:31], v[22:23], v[24:25]
	s_delay_alu instid0(VALU_DEP_2) | instskip(NEXT) | instid1(VALU_DEP_2)
	v_add_f64_e32 v[2:3], v[2:3], v[28:29]
	v_add_f64_e32 v[50:51], v[30:31], v[50:51]
	ds_load_b128 v[28:31], v40 offset:2816
	s_wait_dscnt 0x0
	v_mul_f64_e32 v[52:53], v[22:23], v[30:31]
	s_delay_alu instid0(VALU_DEP_1) | instskip(SKIP_1) | instid1(VALU_DEP_2)
	v_fma_f64 v[52:53], v[20:21], v[28:29], -v[52:53]
	v_mul_f64_e32 v[20:21], v[20:21], v[30:31]
	v_add_f64_e32 v[44:45], v[44:45], v[52:53]
	s_delay_alu instid0(VALU_DEP_2) | instskip(NEXT) | instid1(VALU_DEP_1)
	v_fmac_f64_e32 v[20:21], v[22:23], v[28:29]
	v_add_f64_e32 v[42:43], v[20:21], v[42:43]
	ds_load_b128 v[20:23], v41 offset:2128
	s_wait_dscnt 0x0
	v_mul_f64_e32 v[52:53], v[22:23], v[26:27]
	v_mul_f64_e32 v[26:27], v[20:21], v[26:27]
	s_delay_alu instid0(VALU_DEP_2) | instskip(NEXT) | instid1(VALU_DEP_2)
	v_fma_f64 v[52:53], v[20:21], v[24:25], -v[52:53]
	v_fmac_f64_e32 v[26:27], v[22:23], v[24:25]
	v_mul_f64_e32 v[24:25], v[22:23], v[30:31]
	s_delay_alu instid0(VALU_DEP_3) | instskip(NEXT) | instid1(VALU_DEP_3)
	v_add_f64_e32 v[46:47], v[46:47], v[52:53]
	v_add_f64_e32 v[48:49], v[26:27], v[48:49]
	s_delay_alu instid0(VALU_DEP_3) | instskip(SKIP_1) | instid1(VALU_DEP_2)
	v_fma_f64 v[24:25], v[20:21], v[28:29], -v[24:25]
	v_mul_f64_e32 v[20:21], v[20:21], v[30:31]
	v_add_f64_e32 v[34:35], v[34:35], v[24:25]
	s_delay_alu instid0(VALU_DEP_2) | instskip(NEXT) | instid1(VALU_DEP_1)
	v_fmac_f64_e32 v[20:21], v[22:23], v[28:29]
	;; [unrolled: 39-line block ×3, first 2 shown]
	v_add_f64_e32 v[54:55], v[20:21], v[32:33]
	ds_load_b128 v[20:23], v41 offset:112
	ds_load_b128 v[24:27], v40 offset:3584
	;; [unrolled: 1-line block ×3, first 2 shown]
	s_wait_dscnt 0x1
	v_mul_f64_e32 v[28:29], v[22:23], v[26:27]
	v_mul_f64_e32 v[30:31], v[20:21], v[26:27]
	s_delay_alu instid0(VALU_DEP_2) | instskip(NEXT) | instid1(VALU_DEP_2)
	v_fma_f64 v[28:29], v[20:21], v[24:25], -v[28:29]
	v_fmac_f64_e32 v[30:31], v[22:23], v[24:25]
	s_delay_alu instid0(VALU_DEP_2) | instskip(NEXT) | instid1(VALU_DEP_2)
	v_add_f64_e32 v[28:29], v[2:3], v[28:29]
	v_add_f64_e32 v[30:31], v[30:31], v[50:51]
	s_wait_dscnt 0x0
	v_mul_f64_e32 v[2:3], v[22:23], v[34:35]
	v_mul_f64_e32 v[50:51], v[20:21], v[34:35]
	s_delay_alu instid0(VALU_DEP_2) | instskip(NEXT) | instid1(VALU_DEP_2)
	v_fma_f64 v[2:3], v[20:21], v[32:33], -v[2:3]
	v_fmac_f64_e32 v[50:51], v[22:23], v[32:33]
	s_delay_alu instid0(VALU_DEP_2) | instskip(NEXT) | instid1(VALU_DEP_2)
	v_add_f64_e32 v[20:21], v[44:45], v[2:3]
	v_add_f64_e32 v[22:23], v[50:51], v[42:43]
	ds_load_b128 v[42:45], v41 offset:2160
	s_wait_dscnt 0x0
	s_barrier_signal -1
	s_barrier_wait -1
	v_mul_f64_e32 v[2:3], v[44:45], v[26:27]
	v_mul_f64_e32 v[26:27], v[42:43], v[26:27]
	s_delay_alu instid0(VALU_DEP_2) | instskip(NEXT) | instid1(VALU_DEP_2)
	v_fma_f64 v[2:3], v[42:43], v[24:25], -v[2:3]
	v_fmac_f64_e32 v[26:27], v[44:45], v[24:25]
	s_delay_alu instid0(VALU_DEP_2) | instskip(SKIP_1) | instid1(VALU_DEP_3)
	v_add_f64_e32 v[24:25], v[46:47], v[2:3]
	v_mul_f64_e32 v[2:3], v[44:45], v[34:35]
	v_add_f64_e32 v[26:27], v[26:27], v[48:49]
	s_delay_alu instid0(VALU_DEP_2) | instskip(SKIP_1) | instid1(VALU_DEP_2)
	v_fma_f64 v[2:3], v[42:43], v[32:33], -v[2:3]
	v_mul_f64_e32 v[42:43], v[42:43], v[34:35]
	v_add_f64_e32 v[34:35], v[52:53], v[2:3]
	s_delay_alu instid0(VALU_DEP_2) | instskip(NEXT) | instid1(VALU_DEP_1)
	v_fmac_f64_e32 v[42:43], v[44:45], v[32:33]
	v_add_f64_e32 v[32:33], v[42:43], v[54:55]
	s_cbranch_scc0 .LBB129_18
.LBB129_10:                             ;   Parent Loop BB129_7 Depth=1
                                        ; =>  This Inner Loop Header: Depth=2
	v_add_nc_u32_e32 v1, s0, v37
	s_delay_alu instid0(VALU_DEP_1) | instskip(SKIP_1) | instid1(SALU_CYCLE_1)
	v_cmp_le_i32_e32 vcc_lo, s25, v1
	s_or_b32 s1, s17, vcc_lo
	s_and_saveexec_b32 s19, s1
	s_delay_alu instid0(SALU_CYCLE_1)
	s_xor_b32 s1, exec_lo, s19
; %bb.11:                               ;   in Loop: Header=BB129_10 Depth=2
	v_dual_mov_b32 v1, v0 :: v_dual_mov_b32 v2, v0
	v_mov_b32_e32 v3, v0
	ds_store_b128 v38, v[0:3]
; %bb.12:                               ;   in Loop: Header=BB129_10 Depth=2
	s_and_not1_saveexec_b32 s1, s1
	s_cbranch_execz .LBB129_14
; %bb.13:                               ;   in Loop: Header=BB129_10 Depth=2
	global_load_b128 v[42:45], v[4:5], off
	s_wait_loadcnt 0x0
	ds_store_2addr_b64 v38, v[42:43], v[44:45] offset1:1
.LBB129_14:                             ;   in Loop: Header=BB129_10 Depth=2
	s_wait_xcnt 0x0
	s_or_b32 exec_lo, exec_lo, s1
	v_add_nc_u32_e32 v1, s0, v36
	s_delay_alu instid0(VALU_DEP_1) | instskip(SKIP_1) | instid1(SALU_CYCLE_1)
	v_cmp_le_i32_e32 vcc_lo, s25, v1
	s_or_b32 s1, vcc_lo, s18
	s_and_saveexec_b32 s19, s1
	s_delay_alu instid0(SALU_CYCLE_1)
	s_xor_b32 s1, exec_lo, s19
; %bb.15:                               ;   in Loop: Header=BB129_10 Depth=2
	v_dual_mov_b32 v1, v0 :: v_dual_mov_b32 v2, v0
	v_mov_b32_e32 v3, v0
	ds_store_b128 v39, v[0:3]
; %bb.16:                               ;   in Loop: Header=BB129_10 Depth=2
	s_and_not1_saveexec_b32 s1, s1
	s_cbranch_execz .LBB129_9
; %bb.17:                               ;   in Loop: Header=BB129_10 Depth=2
	global_load_b128 v[42:45], v[18:19], off
	s_wait_loadcnt 0x0
	ds_store_2addr_b64 v39, v[42:43], v[44:45] offset1:1
	s_branch .LBB129_9
.LBB129_18:                             ;   in Loop: Header=BB129_7 Depth=1
	s_mul_u64 s[0:1], s[28:29], s[26:27]
	s_delay_alu instid0(SALU_CYCLE_1) | instskip(NEXT) | instid1(SALU_CYCLE_1)
	s_lshl_b64 s[0:1], s[0:1], 4
	s_add_nc_u64 s[0:1], s[10:11], s[0:1]
	s_delay_alu instid0(SALU_CYCLE_1)
	v_lshl_add_u64 v[18:19], v[8:9], 4, s[0:1]
	s_and_saveexec_b32 s19, s30
	s_cbranch_execz .LBB129_23
; %bb.19:                               ;   in Loop: Header=BB129_7 Depth=1
	v_mul_f64_e32 v[2:3], s[14:15], v[30:31]
	v_mul_f64_e32 v[4:5], s[12:13], v[30:31]
	s_and_b32 vcc_lo, exec_lo, s22
	s_mov_b32 s20, -1
	s_delay_alu instid0(VALU_DEP_2) | instskip(NEXT) | instid1(VALU_DEP_2)
	v_fma_f64 v[2:3], s[12:13], v[28:29], -v[2:3]
	v_fmac_f64_e32 v[4:5], s[14:15], v[28:29]
	v_lshl_add_u64 v[28:29], v[6:7], 4, v[18:19]
	s_cbranch_vccz .LBB129_21
; %bb.20:                               ;   in Loop: Header=BB129_7 Depth=1
	global_load_b128 v[42:45], v[28:29], off
	s_mov_b32 s20, 0
	s_wait_loadcnt 0x0
	v_mul_f64_e32 v[30:31], s[8:9], v[44:45]
	v_mul_f64_e32 v[44:45], s[6:7], v[44:45]
	s_delay_alu instid0(VALU_DEP_2) | instskip(NEXT) | instid1(VALU_DEP_2)
	v_fma_f64 v[30:31], s[6:7], v[42:43], -v[30:31]
	v_fmac_f64_e32 v[44:45], s[8:9], v[42:43]
	s_delay_alu instid0(VALU_DEP_2) | instskip(NEXT) | instid1(VALU_DEP_2)
	v_add_f64_e32 v[42:43], v[2:3], v[30:31]
	v_add_f64_e32 v[44:45], v[4:5], v[44:45]
	global_store_b128 v[28:29], v[42:45], off
.LBB129_21:                             ;   in Loop: Header=BB129_7 Depth=1
	s_and_not1_b32 vcc_lo, exec_lo, s20
	s_cbranch_vccnz .LBB129_23
; %bb.22:                               ;   in Loop: Header=BB129_7 Depth=1
	global_store_b128 v[28:29], v[2:5], off
.LBB129_23:                             ;   in Loop: Header=BB129_7 Depth=1
	s_wait_xcnt 0x0
	s_or_b32 exec_lo, exec_lo, s19
	s_and_saveexec_b32 s19, s31
	s_cbranch_execz .LBB129_28
; %bb.24:                               ;   in Loop: Header=BB129_7 Depth=1
	v_mul_f64_e32 v[2:3], s[14:15], v[22:23]
	v_mul_f64_e32 v[4:5], s[12:13], v[22:23]
	v_lshl_add_u64 v[18:19], v[12:13], 4, v[18:19]
	s_and_not1_b32 vcc_lo, exec_lo, s22
	s_mov_b32 s20, -1
	s_delay_alu instid0(VALU_DEP_3) | instskip(NEXT) | instid1(VALU_DEP_3)
	v_fma_f64 v[2:3], s[12:13], v[20:21], -v[2:3]
	v_fmac_f64_e32 v[4:5], s[14:15], v[20:21]
	s_cbranch_vccnz .LBB129_26
; %bb.25:                               ;   in Loop: Header=BB129_7 Depth=1
	global_load_b128 v[20:23], v[18:19], off
	s_mov_b32 s20, 0
	s_wait_loadcnt 0x0
	v_mul_f64_e32 v[28:29], s[8:9], v[22:23]
	v_mul_f64_e32 v[22:23], s[6:7], v[22:23]
	s_delay_alu instid0(VALU_DEP_2) | instskip(NEXT) | instid1(VALU_DEP_2)
	v_fma_f64 v[28:29], s[6:7], v[20:21], -v[28:29]
	v_fmac_f64_e32 v[22:23], s[8:9], v[20:21]
	s_delay_alu instid0(VALU_DEP_2) | instskip(NEXT) | instid1(VALU_DEP_2)
	v_add_f64_e32 v[20:21], v[2:3], v[28:29]
	v_add_f64_e32 v[22:23], v[4:5], v[22:23]
	global_store_b128 v[18:19], v[20:23], off
.LBB129_26:                             ;   in Loop: Header=BB129_7 Depth=1
	s_and_not1_b32 vcc_lo, exec_lo, s20
	s_cbranch_vccnz .LBB129_28
; %bb.27:                               ;   in Loop: Header=BB129_7 Depth=1
	global_store_b128 v[18:19], v[2:5], off
.LBB129_28:                             ;   in Loop: Header=BB129_7 Depth=1
	s_wait_xcnt 0x0
	s_or_b32 exec_lo, exec_lo, s19
	v_lshl_add_u64 v[18:19], v[10:11], 4, s[0:1]
	s_and_saveexec_b32 s0, s24
	s_cbranch_execz .LBB129_33
; %bb.29:                               ;   in Loop: Header=BB129_7 Depth=1
	v_mul_f64_e32 v[2:3], s[14:15], v[26:27]
	v_mul_f64_e32 v[4:5], s[12:13], v[26:27]
	v_lshl_add_u64 v[20:21], v[6:7], 4, v[18:19]
	s_and_not1_b32 vcc_lo, exec_lo, s22
	s_mov_b32 s1, -1
	s_delay_alu instid0(VALU_DEP_3) | instskip(NEXT) | instid1(VALU_DEP_3)
	v_fma_f64 v[2:3], s[12:13], v[24:25], -v[2:3]
	v_fmac_f64_e32 v[4:5], s[14:15], v[24:25]
	s_cbranch_vccnz .LBB129_31
; %bb.30:                               ;   in Loop: Header=BB129_7 Depth=1
	global_load_b128 v[22:25], v[20:21], off
	s_mov_b32 s1, 0
	s_wait_loadcnt 0x0
	v_mul_f64_e32 v[26:27], s[8:9], v[24:25]
	v_mul_f64_e32 v[24:25], s[6:7], v[24:25]
	s_delay_alu instid0(VALU_DEP_2) | instskip(NEXT) | instid1(VALU_DEP_2)
	v_fma_f64 v[26:27], s[6:7], v[22:23], -v[26:27]
	v_fmac_f64_e32 v[24:25], s[8:9], v[22:23]
	s_delay_alu instid0(VALU_DEP_2) | instskip(NEXT) | instid1(VALU_DEP_2)
	v_add_f64_e32 v[22:23], v[2:3], v[26:27]
	v_add_f64_e32 v[24:25], v[4:5], v[24:25]
	global_store_b128 v[20:21], v[22:25], off
.LBB129_31:                             ;   in Loop: Header=BB129_7 Depth=1
	s_and_not1_b32 vcc_lo, exec_lo, s1
	s_cbranch_vccnz .LBB129_33
; %bb.32:                               ;   in Loop: Header=BB129_7 Depth=1
	global_store_b128 v[20:21], v[2:5], off
.LBB129_33:                             ;   in Loop: Header=BB129_7 Depth=1
	s_wait_xcnt 0x0
	s_or_b32 exec_lo, exec_lo, s0
	s_and_saveexec_b32 s0, s33
	s_cbranch_execz .LBB129_6
; %bb.34:                               ;   in Loop: Header=BB129_7 Depth=1
	s_delay_alu instid0(VALU_DEP_3) | instskip(SKIP_4) | instid1(VALU_DEP_3)
	v_mul_f64_e32 v[2:3], s[14:15], v[32:33]
	v_mul_f64_e32 v[4:5], s[12:13], v[32:33]
	v_lshl_add_u64 v[18:19], v[12:13], 4, v[18:19]
	s_and_not1_b32 vcc_lo, exec_lo, s22
	s_mov_b32 s1, -1
	v_fma_f64 v[2:3], s[12:13], v[34:35], -v[2:3]
	s_delay_alu instid0(VALU_DEP_3)
	v_fmac_f64_e32 v[4:5], s[14:15], v[34:35]
	s_cbranch_vccnz .LBB129_36
; %bb.35:                               ;   in Loop: Header=BB129_7 Depth=1
	global_load_b128 v[20:23], v[18:19], off
	s_mov_b32 s1, 0
	s_wait_loadcnt 0x0
	v_mul_f64_e32 v[24:25], s[8:9], v[22:23]
	v_mul_f64_e32 v[22:23], s[6:7], v[22:23]
	s_delay_alu instid0(VALU_DEP_2) | instskip(NEXT) | instid1(VALU_DEP_2)
	v_fma_f64 v[24:25], s[6:7], v[20:21], -v[24:25]
	v_fmac_f64_e32 v[22:23], s[8:9], v[20:21]
	s_delay_alu instid0(VALU_DEP_2) | instskip(NEXT) | instid1(VALU_DEP_2)
	v_add_f64_e32 v[20:21], v[2:3], v[24:25]
	v_add_f64_e32 v[22:23], v[4:5], v[22:23]
	global_store_b128 v[18:19], v[20:23], off
.LBB129_36:                             ;   in Loop: Header=BB129_7 Depth=1
	s_and_not1_b32 vcc_lo, exec_lo, s1
	s_cbranch_vccnz .LBB129_6
; %bb.37:                               ;   in Loop: Header=BB129_7 Depth=1
	global_store_b128 v[18:19], v[2:5], off
	s_branch .LBB129_6
.LBB129_38:
.LBB129_39:
	s_sendmsg sendmsg(MSG_DEALLOC_VGPRS)
	s_endpgm
	.section	.rodata,"a",@progbits
	.p2align	6, 0x0
	.amdhsa_kernel _ZL29rocblas_internal_gemmt_kernelIiLi16ELi32ELi8ELc84ELc78ELc85ELb0ELb0E19rocblas_complex_numIdES1_PKS1_PS1_EviT_T9_T10_S5_lS7_S5_lS6_T11_S5_li
		.amdhsa_group_segment_fixed_size 8192
		.amdhsa_private_segment_fixed_size 0
		.amdhsa_kernarg_size 116
		.amdhsa_user_sgpr_count 2
		.amdhsa_user_sgpr_dispatch_ptr 0
		.amdhsa_user_sgpr_queue_ptr 0
		.amdhsa_user_sgpr_kernarg_segment_ptr 1
		.amdhsa_user_sgpr_dispatch_id 0
		.amdhsa_user_sgpr_kernarg_preload_length 0
		.amdhsa_user_sgpr_kernarg_preload_offset 0
		.amdhsa_user_sgpr_private_segment_size 0
		.amdhsa_wavefront_size32 1
		.amdhsa_uses_dynamic_stack 0
		.amdhsa_enable_private_segment 0
		.amdhsa_system_sgpr_workgroup_id_x 1
		.amdhsa_system_sgpr_workgroup_id_y 1
		.amdhsa_system_sgpr_workgroup_id_z 1
		.amdhsa_system_sgpr_workgroup_info 0
		.amdhsa_system_vgpr_workitem_id 1
		.amdhsa_next_free_vgpr 66
		.amdhsa_next_free_sgpr 41
		.amdhsa_named_barrier_count 0
		.amdhsa_reserve_vcc 1
		.amdhsa_float_round_mode_32 0
		.amdhsa_float_round_mode_16_64 0
		.amdhsa_float_denorm_mode_32 3
		.amdhsa_float_denorm_mode_16_64 3
		.amdhsa_fp16_overflow 0
		.amdhsa_memory_ordered 1
		.amdhsa_forward_progress 1
		.amdhsa_inst_pref_size 26
		.amdhsa_round_robin_scheduling 0
		.amdhsa_exception_fp_ieee_invalid_op 0
		.amdhsa_exception_fp_denorm_src 0
		.amdhsa_exception_fp_ieee_div_zero 0
		.amdhsa_exception_fp_ieee_overflow 0
		.amdhsa_exception_fp_ieee_underflow 0
		.amdhsa_exception_fp_ieee_inexact 0
		.amdhsa_exception_int_div_zero 0
	.end_amdhsa_kernel
	.section	.text._ZL29rocblas_internal_gemmt_kernelIiLi16ELi32ELi8ELc84ELc78ELc85ELb0ELb0E19rocblas_complex_numIdES1_PKS1_PS1_EviT_T9_T10_S5_lS7_S5_lS6_T11_S5_li,"axG",@progbits,_ZL29rocblas_internal_gemmt_kernelIiLi16ELi32ELi8ELc84ELc78ELc85ELb0ELb0E19rocblas_complex_numIdES1_PKS1_PS1_EviT_T9_T10_S5_lS7_S5_lS6_T11_S5_li,comdat
.Lfunc_end129:
	.size	_ZL29rocblas_internal_gemmt_kernelIiLi16ELi32ELi8ELc84ELc78ELc85ELb0ELb0E19rocblas_complex_numIdES1_PKS1_PS1_EviT_T9_T10_S5_lS7_S5_lS6_T11_S5_li, .Lfunc_end129-_ZL29rocblas_internal_gemmt_kernelIiLi16ELi32ELi8ELc84ELc78ELc85ELb0ELb0E19rocblas_complex_numIdES1_PKS1_PS1_EviT_T9_T10_S5_lS7_S5_lS6_T11_S5_li
                                        ; -- End function
	.set _ZL29rocblas_internal_gemmt_kernelIiLi16ELi32ELi8ELc84ELc78ELc85ELb0ELb0E19rocblas_complex_numIdES1_PKS1_PS1_EviT_T9_T10_S5_lS7_S5_lS6_T11_S5_li.num_vgpr, 66
	.set _ZL29rocblas_internal_gemmt_kernelIiLi16ELi32ELi8ELc84ELc78ELc85ELb0ELb0E19rocblas_complex_numIdES1_PKS1_PS1_EviT_T9_T10_S5_lS7_S5_lS6_T11_S5_li.num_agpr, 0
	.set _ZL29rocblas_internal_gemmt_kernelIiLi16ELi32ELi8ELc84ELc78ELc85ELb0ELb0E19rocblas_complex_numIdES1_PKS1_PS1_EviT_T9_T10_S5_lS7_S5_lS6_T11_S5_li.numbered_sgpr, 41
	.set _ZL29rocblas_internal_gemmt_kernelIiLi16ELi32ELi8ELc84ELc78ELc85ELb0ELb0E19rocblas_complex_numIdES1_PKS1_PS1_EviT_T9_T10_S5_lS7_S5_lS6_T11_S5_li.num_named_barrier, 0
	.set _ZL29rocblas_internal_gemmt_kernelIiLi16ELi32ELi8ELc84ELc78ELc85ELb0ELb0E19rocblas_complex_numIdES1_PKS1_PS1_EviT_T9_T10_S5_lS7_S5_lS6_T11_S5_li.private_seg_size, 0
	.set _ZL29rocblas_internal_gemmt_kernelIiLi16ELi32ELi8ELc84ELc78ELc85ELb0ELb0E19rocblas_complex_numIdES1_PKS1_PS1_EviT_T9_T10_S5_lS7_S5_lS6_T11_S5_li.uses_vcc, 1
	.set _ZL29rocblas_internal_gemmt_kernelIiLi16ELi32ELi8ELc84ELc78ELc85ELb0ELb0E19rocblas_complex_numIdES1_PKS1_PS1_EviT_T9_T10_S5_lS7_S5_lS6_T11_S5_li.uses_flat_scratch, 0
	.set _ZL29rocblas_internal_gemmt_kernelIiLi16ELi32ELi8ELc84ELc78ELc85ELb0ELb0E19rocblas_complex_numIdES1_PKS1_PS1_EviT_T9_T10_S5_lS7_S5_lS6_T11_S5_li.has_dyn_sized_stack, 0
	.set _ZL29rocblas_internal_gemmt_kernelIiLi16ELi32ELi8ELc84ELc78ELc85ELb0ELb0E19rocblas_complex_numIdES1_PKS1_PS1_EviT_T9_T10_S5_lS7_S5_lS6_T11_S5_li.has_recursion, 0
	.set _ZL29rocblas_internal_gemmt_kernelIiLi16ELi32ELi8ELc84ELc78ELc85ELb0ELb0E19rocblas_complex_numIdES1_PKS1_PS1_EviT_T9_T10_S5_lS7_S5_lS6_T11_S5_li.has_indirect_call, 0
	.section	.AMDGPU.csdata,"",@progbits
; Kernel info:
; codeLenInByte = 3216
; TotalNumSgprs: 43
; NumVgprs: 66
; ScratchSize: 0
; MemoryBound: 0
; FloatMode: 240
; IeeeMode: 1
; LDSByteSize: 8192 bytes/workgroup (compile time only)
; SGPRBlocks: 0
; VGPRBlocks: 4
; NumSGPRsForWavesPerEU: 43
; NumVGPRsForWavesPerEU: 66
; NamedBarCnt: 0
; Occupancy: 12
; WaveLimiterHint : 0
; COMPUTE_PGM_RSRC2:SCRATCH_EN: 0
; COMPUTE_PGM_RSRC2:USER_SGPR: 2
; COMPUTE_PGM_RSRC2:TRAP_HANDLER: 0
; COMPUTE_PGM_RSRC2:TGID_X_EN: 1
; COMPUTE_PGM_RSRC2:TGID_Y_EN: 1
; COMPUTE_PGM_RSRC2:TGID_Z_EN: 1
; COMPUTE_PGM_RSRC2:TIDIG_COMP_CNT: 1
	.section	.text._ZL29rocblas_internal_gemmt_kernelIiLi16ELi32ELi8ELc84ELc84ELc85ELb0ELb0E19rocblas_complex_numIdES1_PKS1_PS1_EviT_T9_T10_S5_lS7_S5_lS6_T11_S5_li,"axG",@progbits,_ZL29rocblas_internal_gemmt_kernelIiLi16ELi32ELi8ELc84ELc84ELc85ELb0ELb0E19rocblas_complex_numIdES1_PKS1_PS1_EviT_T9_T10_S5_lS7_S5_lS6_T11_S5_li,comdat
	.globl	_ZL29rocblas_internal_gemmt_kernelIiLi16ELi32ELi8ELc84ELc84ELc85ELb0ELb0E19rocblas_complex_numIdES1_PKS1_PS1_EviT_T9_T10_S5_lS7_S5_lS6_T11_S5_li ; -- Begin function _ZL29rocblas_internal_gemmt_kernelIiLi16ELi32ELi8ELc84ELc84ELc85ELb0ELb0E19rocblas_complex_numIdES1_PKS1_PS1_EviT_T9_T10_S5_lS7_S5_lS6_T11_S5_li
	.p2align	8
	.type	_ZL29rocblas_internal_gemmt_kernelIiLi16ELi32ELi8ELc84ELc84ELc85ELb0ELb0E19rocblas_complex_numIdES1_PKS1_PS1_EviT_T9_T10_S5_lS7_S5_lS6_T11_S5_li,@function
_ZL29rocblas_internal_gemmt_kernelIiLi16ELi32ELi8ELc84ELc84ELc85ELb0ELb0E19rocblas_complex_numIdES1_PKS1_PS1_EviT_T9_T10_S5_lS7_S5_lS6_T11_S5_li: ; @_ZL29rocblas_internal_gemmt_kernelIiLi16ELi32ELi8ELc84ELc84ELc85ELb0ELb0E19rocblas_complex_numIdES1_PKS1_PS1_EviT_T9_T10_S5_lS7_S5_lS6_T11_S5_li
; %bb.0:
	s_clause 0x2
	s_load_b256 s[4:11], s[0:1], 0x40
	s_load_b64 s[24:25], s[0:1], 0x0
	s_load_b128 s[12:15], s[0:1], 0x8
	s_wait_kmcnt 0x0
	v_cmp_eq_f64_e64 s2, s[6:7], 1.0
	v_cmp_eq_f64_e64 s33, s[8:9], 0
	s_and_b32 s2, s2, s33
	s_delay_alu instid0(SALU_CYCLE_1)
	s_and_not1_b32 vcc_lo, exec_lo, s2
	s_mov_b32 s2, -1
	s_cbranch_vccnz .LBB130_3
; %bb.1:
	s_cmp_lg_u32 s25, 0
	s_cbranch_scc0 .LBB130_38
; %bb.2:
	v_cmp_neq_f64_e64 s2, s[12:13], 0
	v_cmp_neq_f64_e64 s3, s[14:15], 0
	s_or_b32 s2, s2, s3
.LBB130_3:
	s_delay_alu instid0(SALU_CYCLE_1)
	s_and_b32 vcc_lo, exec_lo, s2
	s_cbranch_vccz .LBB130_39
; %bb.4:
	s_load_b32 s23, s[0:1], 0x70
	s_bfe_u32 s2, ttmp6, 0x40014
	s_lshr_b32 s3, ttmp7, 16
	s_add_co_i32 s2, s2, 1
	s_bfe_u32 s16, ttmp6, 0x40008
	s_mul_i32 s2, s3, s2
	s_getreg_b32 s34, hwreg(HW_REG_IB_STS2, 6, 4)
	s_add_co_i32 s16, s16, s2
	s_cmp_eq_u32 s34, 0
	s_mov_b32 s27, 0
	s_cselect_b32 s26, s3, s16
	s_wait_kmcnt 0x0
	s_cmp_ge_u32 s26, s23
	s_cbranch_scc1 .LBB130_39
; %bb.5:
	s_clause 0x2
	s_load_b96 s[20:22], s[0:1], 0x18
	s_load_b32 s30, s[0:1], 0x38
	s_load_b32 s2, s[0:1], 0x60
	v_and_b32_e32 v1, 0x3ff, v0
	v_bfe_u32 v9, v0, 10, 10
	s_clause 0x1
	s_load_b128 s[16:19], s[0:1], 0x28
	s_load_b64 s[28:29], s[0:1], 0x68
	s_wait_xcnt 0x0
	s_bfe_u32 s0, ttmp6, 0x4000c
	s_bfe_u32 s38, ttmp6, 0x40010
	s_add_co_i32 s39, s0, 1
	s_add_co_i32 s38, s38, 1
	v_and_b32_e32 v6, 7, v0
	v_lshl_add_u32 v0, v9, 4, v1
	s_and_b32 s37, ttmp6, 15
	s_mul_i32 s39, ttmp9, s39
	s_bfe_u32 s40, ttmp6, 0x40004
	s_add_co_i32 s37, s37, s39
	v_dual_lshrrev_b32 v5, 3, v0 :: v_dual_bitop2_b32 v8, 31, v0 bitop3:0x40
	v_lshrrev_b32_e32 v38, 5, v0
	v_cmp_neq_f64_e64 s35, s[12:13], 0
	s_wait_kmcnt 0x0
	s_ashr_i32 s1, s22, 31
	s_mov_b32 s0, s22
	s_and_b32 s22, ttmp7, 0xffff
	s_ashr_i32 s31, s30, 31
	s_mul_i32 s38, s22, s38
	s_ashr_i32 s3, s2, 31
	s_add_co_i32 s40, s40, s38
	s_cmp_eq_u32 s34, 0
	v_cmp_neq_f64_e64 s36, s[14:15], 0
	s_cselect_b32 s34, ttmp9, s37
	s_cselect_b32 s22, s22, s40
	s_lshl_b32 s34, s34, 5
	s_lshl_b32 s22, s22, 5
	s_delay_alu instid0(SALU_CYCLE_1) | instskip(SKIP_2) | instid1(VALU_DEP_3)
	v_dual_add_nc_u32 v4, s22, v5 :: v_dual_bitop2_b32 v2, s34, v8 bitop3:0x54
	v_dual_mov_b32 v0, 0 :: v_dual_add_nc_u32 v16, s22, v9
	v_cmp_neq_f64_e64 s37, s[6:7], 0
	v_ashrrev_i32_e32 v3, 31, v2
	s_delay_alu instid0(VALU_DEP_3) | instskip(SKIP_2) | instid1(VALU_DEP_4)
	v_dual_mov_b32 v7, v0 :: v_dual_lshlrev_b32 v10, 4, v6
	v_cmp_gt_i32_e32 vcc_lo, s24, v2
	v_lshlrev_b32_e32 v40, 4, v1
	v_mul_u64_e32 v[18:19], s[0:1], v[2:3]
	v_lshlrev_b32_e32 v3, 4, v8
	v_mul_u64_e32 v[20:21], s[30:31], v[6:7]
	v_dual_add_nc_u32 v2, 16, v16 :: v_dual_ashrrev_i32 v17, 31, v16
	v_lshl_or_b32 v5, v5, 7, v10
	s_delay_alu instid0(VALU_DEP_4) | instskip(NEXT) | instid1(VALU_DEP_3)
	v_lshl_or_b32 v7, v38, 9, v3
	v_dual_add_nc_u32 v8, s34, v1 :: v_dual_ashrrev_i32 v3, 31, v2
	s_delay_alu instid0(VALU_DEP_4) | instskip(NEXT) | instid1(VALU_DEP_4)
	v_mul_u64_e32 v[10:11], s[2:3], v[16:17]
	v_add_nc_u32_e32 v39, 0x1000, v5
	v_ashrrev_i32_e32 v5, 31, v4
	v_cmp_gt_i32_e64 s1, s24, v16
	v_mul_u64_e32 v[12:13], s[2:3], v[2:3]
	v_cmp_le_i32_e64 s2, v8, v16
	v_add_nc_u32_e32 v14, 16, v8
	v_cmp_gt_i32_e64 s0, s24, v4
	s_or_b32 s36, s35, s36
	s_cmp_gt_i32 s25, 0
	v_lshlrev_b64_e32 v[4:5], 4, v[4:5]
	s_cselect_b32 s38, -1, 0
	s_xor_b32 s3, s33, -1
	v_lshl_add_u32 v41, v9, 7, 0x1000
	s_and_b32 s33, s1, s2
	v_ashrrev_i32_e32 v9, 31, v8
	v_cmp_le_i32_e64 s2, v14, v16
	v_dual_mov_b32 v17, v0 :: v_dual_lshlrev_b32 v16, 4, v38
	s_or_b32 s22, s37, s3
	v_cmp_le_i32_e64 s3, v14, v2
	s_and_b32 s34, s1, s2
	v_cmp_gt_i32_e64 s1, s24, v2
	v_cmp_le_i32_e64 s2, v8, v2
	v_lshl_add_u64 v[2:3], v[18:19], 4, v[16:17]
	v_lshl_add_u64 v[4:5], v[20:21], 4, v[4:5]
	v_ashrrev_i32_e32 v15, 31, v14
	s_and_b32 s35, s1, s3
	s_and_b32 s24, s1, s2
	v_add_nc_u64_e32 v[16:17], s[20:21], v[2:3]
	v_add_nc_u64_e32 v[18:19], s[18:19], v[4:5]
	s_lshl_b64 s[2:3], s[16:17], 4
	s_lshl_b64 s[4:5], s[4:5], 4
	s_and_b32 s18, s36, s38
	s_lshl_b64 s[16:17], s[30:31], 7
	s_xor_b32 s19, vcc_lo, -1
	s_xor_b32 s20, s0, -1
	s_branch .LBB130_7
.LBB130_6:                              ;   in Loop: Header=BB130_7 Depth=1
	s_wait_xcnt 0x0
	s_or_b32 exec_lo, exec_lo, s0
	s_add_co_i32 s26, s26, 0x10000
	s_delay_alu instid0(SALU_CYCLE_1)
	s_cmp_lt_u32 s26, s23
	s_cbranch_scc0 .LBB130_39
.LBB130_7:                              ; =>This Loop Header: Depth=1
                                        ;     Child Loop BB130_10 Depth 2
	v_mov_b64_e32 v[30:31], 0
	v_mov_b64_e32 v[32:33], 0
	;; [unrolled: 1-line block ×8, first 2 shown]
	s_and_not1_b32 vcc_lo, exec_lo, s18
	s_cbranch_vccnz .LBB130_18
; %bb.8:                                ;   in Loop: Header=BB130_7 Depth=1
	v_mad_nc_u64_u32 v[4:5], s2, s26, v[16:17]
	v_mad_nc_u64_u32 v[20:21], s4, s26, v[18:19]
	v_mov_b64_e32 v[34:35], 0
	v_mov_b64_e32 v[36:37], 0
	;; [unrolled: 1-line block ×8, first 2 shown]
	s_mov_b32 s0, 0
	v_mad_u32 v5, s3, s26, v5
	v_mad_u32 v21, s5, s26, v21
	s_branch .LBB130_10
.LBB130_9:                              ;   in Loop: Header=BB130_10 Depth=2
	s_wait_xcnt 0x0
	s_or_b32 exec_lo, exec_lo, s1
	s_wait_dscnt 0x0
	s_barrier_signal -1
	s_barrier_wait -1
	ds_load_b128 v[42:45], v41
	ds_load_b128 v[46:49], v41 offset:16
	ds_load_b128 v[50:53], v41 offset:32
	;; [unrolled: 1-line block ×3, first 2 shown]
	ds_load_b128 v[58:61], v40
	v_add_nc_u64_e32 v[4:5], 0x80, v[4:5]
	v_add_nc_u64_e32 v[20:21], s[16:17], v[20:21]
	s_add_co_i32 s0, s0, 8
	s_delay_alu instid0(SALU_CYCLE_1) | instskip(SKIP_3) | instid1(VALU_DEP_2)
	s_cmp_lt_i32 s0, s25
	s_wait_dscnt 0x0
	v_mul_f64_e32 v[2:3], v[44:45], v[60:61]
	v_mul_f64_e32 v[62:63], v[42:43], v[60:61]
	v_fma_f64 v[2:3], v[42:43], v[58:59], -v[2:3]
	s_delay_alu instid0(VALU_DEP_2) | instskip(NEXT) | instid1(VALU_DEP_2)
	v_fmac_f64_e32 v[62:63], v[44:45], v[58:59]
	v_add_f64_e32 v[2:3], v[30:31], v[2:3]
	s_delay_alu instid0(VALU_DEP_2) | instskip(SKIP_3) | instid1(VALU_DEP_1)
	v_add_f64_e32 v[62:63], v[62:63], v[32:33]
	ds_load_b128 v[30:33], v40 offset:256
	s_wait_dscnt 0x0
	v_mul_f64_e32 v[64:65], v[44:45], v[32:33]
	v_fma_f64 v[64:65], v[42:43], v[30:31], -v[64:65]
	v_mul_f64_e32 v[42:43], v[42:43], v[32:33]
	s_delay_alu instid0(VALU_DEP_1) | instskip(NEXT) | instid1(VALU_DEP_3)
	v_fmac_f64_e32 v[42:43], v[44:45], v[30:31]
	v_add_f64_e32 v[44:45], v[22:23], v[64:65]
	s_delay_alu instid0(VALU_DEP_2) | instskip(SKIP_4) | instid1(VALU_DEP_2)
	v_add_f64_e32 v[42:43], v[42:43], v[24:25]
	ds_load_b128 v[22:25], v41 offset:2048
	s_wait_dscnt 0x0
	v_mul_f64_e32 v[64:65], v[24:25], v[60:61]
	v_mul_f64_e32 v[60:61], v[22:23], v[60:61]
	v_fma_f64 v[64:65], v[22:23], v[58:59], -v[64:65]
	s_delay_alu instid0(VALU_DEP_2) | instskip(NEXT) | instid1(VALU_DEP_2)
	v_fmac_f64_e32 v[60:61], v[24:25], v[58:59]
	v_add_f64_e32 v[58:59], v[26:27], v[64:65]
	v_mul_f64_e32 v[26:27], v[24:25], v[32:33]
	s_delay_alu instid0(VALU_DEP_3) | instskip(NEXT) | instid1(VALU_DEP_2)
	v_add_f64_e32 v[60:61], v[60:61], v[28:29]
	v_fma_f64 v[26:27], v[22:23], v[30:31], -v[26:27]
	v_mul_f64_e32 v[22:23], v[22:23], v[32:33]
	s_delay_alu instid0(VALU_DEP_2) | instskip(NEXT) | instid1(VALU_DEP_2)
	v_add_f64_e32 v[36:37], v[36:37], v[26:27]
	v_fmac_f64_e32 v[22:23], v[24:25], v[30:31]
	s_delay_alu instid0(VALU_DEP_1) | instskip(SKIP_4) | instid1(VALU_DEP_2)
	v_add_f64_e32 v[34:35], v[22:23], v[34:35]
	ds_load_b128 v[22:25], v40 offset:512
	s_wait_dscnt 0x0
	v_mul_f64_e32 v[26:27], v[48:49], v[24:25]
	v_mul_f64_e32 v[28:29], v[46:47], v[24:25]
	v_fma_f64 v[26:27], v[46:47], v[22:23], -v[26:27]
	s_delay_alu instid0(VALU_DEP_2) | instskip(NEXT) | instid1(VALU_DEP_2)
	v_fmac_f64_e32 v[28:29], v[48:49], v[22:23]
	v_add_f64_e32 v[2:3], v[2:3], v[26:27]
	s_delay_alu instid0(VALU_DEP_2) | instskip(SKIP_4) | instid1(VALU_DEP_2)
	v_add_f64_e32 v[62:63], v[28:29], v[62:63]
	ds_load_b128 v[26:29], v40 offset:768
	s_wait_dscnt 0x0
	v_mul_f64_e32 v[30:31], v[48:49], v[28:29]
	v_mul_f64_e32 v[32:33], v[46:47], v[28:29]
	v_fma_f64 v[30:31], v[46:47], v[26:27], -v[30:31]
	s_delay_alu instid0(VALU_DEP_2) | instskip(NEXT) | instid1(VALU_DEP_2)
	v_fmac_f64_e32 v[32:33], v[48:49], v[26:27]
	v_add_f64_e32 v[44:45], v[44:45], v[30:31]
	s_delay_alu instid0(VALU_DEP_2) | instskip(SKIP_4) | instid1(VALU_DEP_2)
	v_add_f64_e32 v[42:43], v[32:33], v[42:43]
	ds_load_b128 v[30:33], v41 offset:2064
	s_wait_dscnt 0x0
	v_mul_f64_e32 v[46:47], v[32:33], v[24:25]
	v_mul_f64_e32 v[24:25], v[30:31], v[24:25]
	v_fma_f64 v[46:47], v[30:31], v[22:23], -v[46:47]
	s_delay_alu instid0(VALU_DEP_2) | instskip(SKIP_1) | instid1(VALU_DEP_3)
	v_fmac_f64_e32 v[24:25], v[32:33], v[22:23]
	v_mul_f64_e32 v[22:23], v[32:33], v[28:29]
	v_add_f64_e32 v[46:47], v[58:59], v[46:47]
	s_delay_alu instid0(VALU_DEP_3) | instskip(SKIP_1) | instid1(VALU_DEP_4)
	v_add_f64_e32 v[48:49], v[24:25], v[60:61]
	v_mul_f64_e32 v[24:25], v[30:31], v[28:29]
	v_fma_f64 v[22:23], v[30:31], v[26:27], -v[22:23]
	s_delay_alu instid0(VALU_DEP_2) | instskip(NEXT) | instid1(VALU_DEP_2)
	v_fmac_f64_e32 v[24:25], v[32:33], v[26:27]
	v_add_f64_e32 v[36:37], v[36:37], v[22:23]
	s_delay_alu instid0(VALU_DEP_2) | instskip(SKIP_4) | instid1(VALU_DEP_2)
	v_add_f64_e32 v[34:35], v[24:25], v[34:35]
	ds_load_b128 v[22:25], v40 offset:1024
	s_wait_dscnt 0x0
	v_mul_f64_e32 v[26:27], v[52:53], v[24:25]
	v_mul_f64_e32 v[28:29], v[50:51], v[24:25]
	v_fma_f64 v[26:27], v[50:51], v[22:23], -v[26:27]
	s_delay_alu instid0(VALU_DEP_2) | instskip(NEXT) | instid1(VALU_DEP_2)
	v_fmac_f64_e32 v[28:29], v[52:53], v[22:23]
	v_add_f64_e32 v[2:3], v[2:3], v[26:27]
	s_delay_alu instid0(VALU_DEP_2) | instskip(SKIP_4) | instid1(VALU_DEP_2)
	v_add_f64_e32 v[58:59], v[28:29], v[62:63]
	ds_load_b128 v[26:29], v40 offset:1280
	s_wait_dscnt 0x0
	v_mul_f64_e32 v[30:31], v[52:53], v[28:29]
	;; [unrolled: 10-line block ×3, first 2 shown]
	v_mul_f64_e32 v[24:25], v[30:31], v[24:25]
	v_fma_f64 v[50:51], v[30:31], v[22:23], -v[50:51]
	s_delay_alu instid0(VALU_DEP_2) | instskip(SKIP_1) | instid1(VALU_DEP_3)
	v_fmac_f64_e32 v[24:25], v[32:33], v[22:23]
	v_mul_f64_e32 v[22:23], v[32:33], v[28:29]
	v_add_f64_e32 v[46:47], v[46:47], v[50:51]
	s_delay_alu instid0(VALU_DEP_3) | instskip(SKIP_1) | instid1(VALU_DEP_4)
	v_add_f64_e32 v[48:49], v[24:25], v[48:49]
	v_mul_f64_e32 v[24:25], v[30:31], v[28:29]
	v_fma_f64 v[22:23], v[30:31], v[26:27], -v[22:23]
	s_delay_alu instid0(VALU_DEP_2) | instskip(NEXT) | instid1(VALU_DEP_2)
	v_fmac_f64_e32 v[24:25], v[32:33], v[26:27]
	v_add_f64_e32 v[36:37], v[36:37], v[22:23]
	s_delay_alu instid0(VALU_DEP_2) | instskip(SKIP_4) | instid1(VALU_DEP_2)
	v_add_f64_e32 v[34:35], v[24:25], v[34:35]
	ds_load_b128 v[22:25], v40 offset:1536
	s_wait_dscnt 0x0
	v_mul_f64_e32 v[26:27], v[56:57], v[24:25]
	v_mul_f64_e32 v[28:29], v[54:55], v[24:25]
	v_fma_f64 v[26:27], v[54:55], v[22:23], -v[26:27]
	s_delay_alu instid0(VALU_DEP_2) | instskip(NEXT) | instid1(VALU_DEP_2)
	v_fmac_f64_e32 v[28:29], v[56:57], v[22:23]
	v_add_f64_e32 v[2:3], v[2:3], v[26:27]
	s_delay_alu instid0(VALU_DEP_2) | instskip(SKIP_4) | instid1(VALU_DEP_2)
	v_add_f64_e32 v[50:51], v[28:29], v[58:59]
	ds_load_b128 v[26:29], v40 offset:1792
	s_wait_dscnt 0x0
	v_mul_f64_e32 v[30:31], v[56:57], v[28:29]
	;; [unrolled: 10-line block ×3, first 2 shown]
	v_mul_f64_e32 v[24:25], v[30:31], v[24:25]
	v_fma_f64 v[52:53], v[30:31], v[22:23], -v[52:53]
	s_delay_alu instid0(VALU_DEP_2) | instskip(SKIP_1) | instid1(VALU_DEP_3)
	v_fmac_f64_e32 v[24:25], v[32:33], v[22:23]
	v_mul_f64_e32 v[22:23], v[32:33], v[28:29]
	v_add_f64_e32 v[46:47], v[46:47], v[52:53]
	s_delay_alu instid0(VALU_DEP_3) | instskip(SKIP_1) | instid1(VALU_DEP_4)
	v_add_f64_e32 v[48:49], v[24:25], v[48:49]
	v_mul_f64_e32 v[24:25], v[30:31], v[28:29]
	v_fma_f64 v[22:23], v[30:31], v[26:27], -v[22:23]
	s_delay_alu instid0(VALU_DEP_2) | instskip(NEXT) | instid1(VALU_DEP_2)
	v_fmac_f64_e32 v[24:25], v[32:33], v[26:27]
	v_add_f64_e32 v[36:37], v[36:37], v[22:23]
	s_delay_alu instid0(VALU_DEP_2)
	v_add_f64_e32 v[34:35], v[24:25], v[34:35]
	ds_load_b128 v[22:25], v41 offset:64
	ds_load_b128 v[26:29], v40 offset:2048
	s_wait_dscnt 0x0
	v_mul_f64_e32 v[30:31], v[24:25], v[28:29]
	v_mul_f64_e32 v[32:33], v[22:23], v[28:29]
	s_delay_alu instid0(VALU_DEP_2) | instskip(NEXT) | instid1(VALU_DEP_2)
	v_fma_f64 v[30:31], v[22:23], v[26:27], -v[30:31]
	v_fmac_f64_e32 v[32:33], v[24:25], v[26:27]
	s_delay_alu instid0(VALU_DEP_2) | instskip(NEXT) | instid1(VALU_DEP_2)
	v_add_f64_e32 v[2:3], v[2:3], v[30:31]
	v_add_f64_e32 v[50:51], v[32:33], v[50:51]
	ds_load_b128 v[30:33], v40 offset:2304
	s_wait_dscnt 0x0
	v_mul_f64_e32 v[52:53], v[24:25], v[32:33]
	s_delay_alu instid0(VALU_DEP_1) | instskip(SKIP_1) | instid1(VALU_DEP_2)
	v_fma_f64 v[52:53], v[22:23], v[30:31], -v[52:53]
	v_mul_f64_e32 v[22:23], v[22:23], v[32:33]
	v_add_f64_e32 v[44:45], v[44:45], v[52:53]
	s_delay_alu instid0(VALU_DEP_2) | instskip(NEXT) | instid1(VALU_DEP_1)
	v_fmac_f64_e32 v[22:23], v[24:25], v[30:31]
	v_add_f64_e32 v[42:43], v[22:23], v[42:43]
	ds_load_b128 v[22:25], v41 offset:2112
	s_wait_dscnt 0x0
	v_mul_f64_e32 v[52:53], v[24:25], v[28:29]
	v_mul_f64_e32 v[28:29], v[22:23], v[28:29]
	s_delay_alu instid0(VALU_DEP_2) | instskip(NEXT) | instid1(VALU_DEP_2)
	v_fma_f64 v[52:53], v[22:23], v[26:27], -v[52:53]
	v_fmac_f64_e32 v[28:29], v[24:25], v[26:27]
	v_mul_f64_e32 v[26:27], v[24:25], v[32:33]
	s_delay_alu instid0(VALU_DEP_3) | instskip(NEXT) | instid1(VALU_DEP_3)
	v_add_f64_e32 v[46:47], v[46:47], v[52:53]
	v_add_f64_e32 v[48:49], v[28:29], v[48:49]
	s_delay_alu instid0(VALU_DEP_3) | instskip(SKIP_1) | instid1(VALU_DEP_2)
	v_fma_f64 v[26:27], v[22:23], v[30:31], -v[26:27]
	v_mul_f64_e32 v[22:23], v[22:23], v[32:33]
	v_add_f64_e32 v[36:37], v[36:37], v[26:27]
	s_delay_alu instid0(VALU_DEP_2) | instskip(NEXT) | instid1(VALU_DEP_1)
	v_fmac_f64_e32 v[22:23], v[24:25], v[30:31]
	v_add_f64_e32 v[34:35], v[22:23], v[34:35]
	ds_load_b128 v[22:25], v41 offset:80
	ds_load_b128 v[26:29], v40 offset:2560
	s_wait_dscnt 0x0
	v_mul_f64_e32 v[30:31], v[24:25], v[28:29]
	v_mul_f64_e32 v[32:33], v[22:23], v[28:29]
	s_delay_alu instid0(VALU_DEP_2) | instskip(NEXT) | instid1(VALU_DEP_2)
	v_fma_f64 v[30:31], v[22:23], v[26:27], -v[30:31]
	v_fmac_f64_e32 v[32:33], v[24:25], v[26:27]
	s_delay_alu instid0(VALU_DEP_2) | instskip(NEXT) | instid1(VALU_DEP_2)
	v_add_f64_e32 v[2:3], v[2:3], v[30:31]
	v_add_f64_e32 v[50:51], v[32:33], v[50:51]
	ds_load_b128 v[30:33], v40 offset:2816
	s_wait_dscnt 0x0
	v_mul_f64_e32 v[52:53], v[24:25], v[32:33]
	s_delay_alu instid0(VALU_DEP_1) | instskip(SKIP_1) | instid1(VALU_DEP_2)
	v_fma_f64 v[52:53], v[22:23], v[30:31], -v[52:53]
	v_mul_f64_e32 v[22:23], v[22:23], v[32:33]
	v_add_f64_e32 v[44:45], v[44:45], v[52:53]
	s_delay_alu instid0(VALU_DEP_2) | instskip(NEXT) | instid1(VALU_DEP_1)
	v_fmac_f64_e32 v[22:23], v[24:25], v[30:31]
	v_add_f64_e32 v[42:43], v[22:23], v[42:43]
	ds_load_b128 v[22:25], v41 offset:2128
	s_wait_dscnt 0x0
	v_mul_f64_e32 v[52:53], v[24:25], v[28:29]
	v_mul_f64_e32 v[28:29], v[22:23], v[28:29]
	s_delay_alu instid0(VALU_DEP_2) | instskip(NEXT) | instid1(VALU_DEP_2)
	v_fma_f64 v[52:53], v[22:23], v[26:27], -v[52:53]
	v_fmac_f64_e32 v[28:29], v[24:25], v[26:27]
	v_mul_f64_e32 v[26:27], v[24:25], v[32:33]
	s_delay_alu instid0(VALU_DEP_3) | instskip(NEXT) | instid1(VALU_DEP_3)
	v_add_f64_e32 v[46:47], v[46:47], v[52:53]
	v_add_f64_e32 v[48:49], v[28:29], v[48:49]
	s_delay_alu instid0(VALU_DEP_3) | instskip(SKIP_1) | instid1(VALU_DEP_2)
	v_fma_f64 v[26:27], v[22:23], v[30:31], -v[26:27]
	v_mul_f64_e32 v[22:23], v[22:23], v[32:33]
	v_add_f64_e32 v[36:37], v[36:37], v[26:27]
	s_delay_alu instid0(VALU_DEP_2) | instskip(NEXT) | instid1(VALU_DEP_1)
	v_fmac_f64_e32 v[22:23], v[24:25], v[30:31]
	;; [unrolled: 39-line block ×3, first 2 shown]
	v_add_f64_e32 v[54:55], v[22:23], v[34:35]
	ds_load_b128 v[22:25], v41 offset:112
	ds_load_b128 v[26:29], v40 offset:3584
	;; [unrolled: 1-line block ×3, first 2 shown]
	s_wait_dscnt 0x1
	v_mul_f64_e32 v[30:31], v[24:25], v[28:29]
	v_mul_f64_e32 v[32:33], v[22:23], v[28:29]
	s_delay_alu instid0(VALU_DEP_2) | instskip(NEXT) | instid1(VALU_DEP_2)
	v_fma_f64 v[30:31], v[22:23], v[26:27], -v[30:31]
	v_fmac_f64_e32 v[32:33], v[24:25], v[26:27]
	s_delay_alu instid0(VALU_DEP_2) | instskip(NEXT) | instid1(VALU_DEP_2)
	v_add_f64_e32 v[30:31], v[2:3], v[30:31]
	v_add_f64_e32 v[32:33], v[32:33], v[50:51]
	s_wait_dscnt 0x0
	v_mul_f64_e32 v[2:3], v[24:25], v[36:37]
	v_mul_f64_e32 v[50:51], v[22:23], v[36:37]
	s_delay_alu instid0(VALU_DEP_2) | instskip(NEXT) | instid1(VALU_DEP_2)
	v_fma_f64 v[2:3], v[22:23], v[34:35], -v[2:3]
	v_fmac_f64_e32 v[50:51], v[24:25], v[34:35]
	s_delay_alu instid0(VALU_DEP_2) | instskip(NEXT) | instid1(VALU_DEP_2)
	v_add_f64_e32 v[22:23], v[44:45], v[2:3]
	v_add_f64_e32 v[24:25], v[50:51], v[42:43]
	ds_load_b128 v[42:45], v41 offset:2160
	s_wait_dscnt 0x0
	s_barrier_signal -1
	s_barrier_wait -1
	v_mul_f64_e32 v[2:3], v[44:45], v[28:29]
	v_mul_f64_e32 v[28:29], v[42:43], v[28:29]
	s_delay_alu instid0(VALU_DEP_2) | instskip(NEXT) | instid1(VALU_DEP_2)
	v_fma_f64 v[2:3], v[42:43], v[26:27], -v[2:3]
	v_fmac_f64_e32 v[28:29], v[44:45], v[26:27]
	s_delay_alu instid0(VALU_DEP_2) | instskip(SKIP_1) | instid1(VALU_DEP_3)
	v_add_f64_e32 v[26:27], v[46:47], v[2:3]
	v_mul_f64_e32 v[2:3], v[44:45], v[36:37]
	v_add_f64_e32 v[28:29], v[28:29], v[48:49]
	s_delay_alu instid0(VALU_DEP_2) | instskip(SKIP_1) | instid1(VALU_DEP_2)
	v_fma_f64 v[2:3], v[42:43], v[34:35], -v[2:3]
	v_mul_f64_e32 v[42:43], v[42:43], v[36:37]
	v_add_f64_e32 v[36:37], v[52:53], v[2:3]
	s_delay_alu instid0(VALU_DEP_2) | instskip(NEXT) | instid1(VALU_DEP_1)
	v_fmac_f64_e32 v[42:43], v[44:45], v[34:35]
	v_add_f64_e32 v[34:35], v[42:43], v[54:55]
	s_cbranch_scc0 .LBB130_18
.LBB130_10:                             ;   Parent Loop BB130_7 Depth=1
                                        ; =>  This Inner Loop Header: Depth=2
	v_add_nc_u32_e32 v1, s0, v38
	s_delay_alu instid0(VALU_DEP_1) | instskip(SKIP_1) | instid1(SALU_CYCLE_1)
	v_cmp_le_i32_e32 vcc_lo, s25, v1
	s_or_b32 s1, s19, vcc_lo
	s_and_saveexec_b32 s21, s1
	s_delay_alu instid0(SALU_CYCLE_1)
	s_xor_b32 s1, exec_lo, s21
; %bb.11:                               ;   in Loop: Header=BB130_10 Depth=2
	v_dual_mov_b32 v1, v0 :: v_dual_mov_b32 v2, v0
	v_mov_b32_e32 v3, v0
	ds_store_b128 v7, v[0:3]
; %bb.12:                               ;   in Loop: Header=BB130_10 Depth=2
	s_and_not1_saveexec_b32 s1, s1
	s_cbranch_execz .LBB130_14
; %bb.13:                               ;   in Loop: Header=BB130_10 Depth=2
	global_load_b128 v[42:45], v[4:5], off
	s_wait_loadcnt 0x0
	ds_store_2addr_b64 v7, v[42:43], v[44:45] offset1:1
.LBB130_14:                             ;   in Loop: Header=BB130_10 Depth=2
	s_wait_xcnt 0x0
	s_or_b32 exec_lo, exec_lo, s1
	v_add_nc_u32_e32 v1, s0, v6
	s_delay_alu instid0(VALU_DEP_1) | instskip(SKIP_1) | instid1(SALU_CYCLE_1)
	v_cmp_le_i32_e32 vcc_lo, s25, v1
	s_or_b32 s1, vcc_lo, s20
	s_and_saveexec_b32 s21, s1
	s_delay_alu instid0(SALU_CYCLE_1)
	s_xor_b32 s1, exec_lo, s21
; %bb.15:                               ;   in Loop: Header=BB130_10 Depth=2
	v_dual_mov_b32 v1, v0 :: v_dual_mov_b32 v2, v0
	v_mov_b32_e32 v3, v0
	ds_store_b128 v39, v[0:3]
; %bb.16:                               ;   in Loop: Header=BB130_10 Depth=2
	s_and_not1_saveexec_b32 s1, s1
	s_cbranch_execz .LBB130_9
; %bb.17:                               ;   in Loop: Header=BB130_10 Depth=2
	global_load_b128 v[42:45], v[20:21], off
	s_wait_loadcnt 0x0
	ds_store_2addr_b64 v39, v[42:43], v[44:45] offset1:1
	s_branch .LBB130_9
.LBB130_18:                             ;   in Loop: Header=BB130_7 Depth=1
	s_mul_u64 s[0:1], s[28:29], s[26:27]
	s_delay_alu instid0(SALU_CYCLE_1) | instskip(NEXT) | instid1(SALU_CYCLE_1)
	s_lshl_b64 s[0:1], s[0:1], 4
	s_add_nc_u64 s[0:1], s[10:11], s[0:1]
	s_delay_alu instid0(SALU_CYCLE_1)
	v_lshl_add_u64 v[20:21], v[10:11], 4, s[0:1]
	s_and_saveexec_b32 s21, s33
	s_cbranch_execz .LBB130_23
; %bb.19:                               ;   in Loop: Header=BB130_7 Depth=1
	v_mul_f64_e32 v[2:3], s[14:15], v[32:33]
	v_mul_f64_e32 v[4:5], s[12:13], v[32:33]
	s_and_b32 vcc_lo, exec_lo, s22
	s_mov_b32 s30, -1
	s_delay_alu instid0(VALU_DEP_2) | instskip(NEXT) | instid1(VALU_DEP_2)
	v_fma_f64 v[2:3], s[12:13], v[30:31], -v[2:3]
	v_fmac_f64_e32 v[4:5], s[14:15], v[30:31]
	v_lshl_add_u64 v[30:31], v[8:9], 4, v[20:21]
	s_cbranch_vccz .LBB130_21
; %bb.20:                               ;   in Loop: Header=BB130_7 Depth=1
	global_load_b128 v[42:45], v[30:31], off
	s_mov_b32 s30, 0
	s_wait_loadcnt 0x0
	v_mul_f64_e32 v[32:33], s[8:9], v[44:45]
	v_mul_f64_e32 v[44:45], s[6:7], v[44:45]
	s_delay_alu instid0(VALU_DEP_2) | instskip(NEXT) | instid1(VALU_DEP_2)
	v_fma_f64 v[32:33], s[6:7], v[42:43], -v[32:33]
	v_fmac_f64_e32 v[44:45], s[8:9], v[42:43]
	s_delay_alu instid0(VALU_DEP_2) | instskip(NEXT) | instid1(VALU_DEP_2)
	v_add_f64_e32 v[42:43], v[2:3], v[32:33]
	v_add_f64_e32 v[44:45], v[4:5], v[44:45]
	global_store_b128 v[30:31], v[42:45], off
.LBB130_21:                             ;   in Loop: Header=BB130_7 Depth=1
	s_and_not1_b32 vcc_lo, exec_lo, s30
	s_cbranch_vccnz .LBB130_23
; %bb.22:                               ;   in Loop: Header=BB130_7 Depth=1
	global_store_b128 v[30:31], v[2:5], off
.LBB130_23:                             ;   in Loop: Header=BB130_7 Depth=1
	s_wait_xcnt 0x0
	s_or_b32 exec_lo, exec_lo, s21
	s_and_saveexec_b32 s21, s34
	s_cbranch_execz .LBB130_28
; %bb.24:                               ;   in Loop: Header=BB130_7 Depth=1
	v_mul_f64_e32 v[2:3], s[14:15], v[24:25]
	v_mul_f64_e32 v[4:5], s[12:13], v[24:25]
	v_lshl_add_u64 v[20:21], v[14:15], 4, v[20:21]
	s_and_not1_b32 vcc_lo, exec_lo, s22
	s_mov_b32 s30, -1
	s_delay_alu instid0(VALU_DEP_3) | instskip(NEXT) | instid1(VALU_DEP_3)
	v_fma_f64 v[2:3], s[12:13], v[22:23], -v[2:3]
	v_fmac_f64_e32 v[4:5], s[14:15], v[22:23]
	s_cbranch_vccnz .LBB130_26
; %bb.25:                               ;   in Loop: Header=BB130_7 Depth=1
	global_load_b128 v[22:25], v[20:21], off
	s_mov_b32 s30, 0
	s_wait_loadcnt 0x0
	v_mul_f64_e32 v[30:31], s[8:9], v[24:25]
	v_mul_f64_e32 v[24:25], s[6:7], v[24:25]
	s_delay_alu instid0(VALU_DEP_2) | instskip(NEXT) | instid1(VALU_DEP_2)
	v_fma_f64 v[30:31], s[6:7], v[22:23], -v[30:31]
	v_fmac_f64_e32 v[24:25], s[8:9], v[22:23]
	s_delay_alu instid0(VALU_DEP_2) | instskip(NEXT) | instid1(VALU_DEP_2)
	v_add_f64_e32 v[22:23], v[2:3], v[30:31]
	v_add_f64_e32 v[24:25], v[4:5], v[24:25]
	global_store_b128 v[20:21], v[22:25], off
.LBB130_26:                             ;   in Loop: Header=BB130_7 Depth=1
	s_and_not1_b32 vcc_lo, exec_lo, s30
	s_cbranch_vccnz .LBB130_28
; %bb.27:                               ;   in Loop: Header=BB130_7 Depth=1
	global_store_b128 v[20:21], v[2:5], off
.LBB130_28:                             ;   in Loop: Header=BB130_7 Depth=1
	s_wait_xcnt 0x0
	s_or_b32 exec_lo, exec_lo, s21
	v_lshl_add_u64 v[20:21], v[12:13], 4, s[0:1]
	s_and_saveexec_b32 s0, s24
	s_cbranch_execz .LBB130_33
; %bb.29:                               ;   in Loop: Header=BB130_7 Depth=1
	v_mul_f64_e32 v[2:3], s[14:15], v[28:29]
	v_mul_f64_e32 v[4:5], s[12:13], v[28:29]
	v_lshl_add_u64 v[22:23], v[8:9], 4, v[20:21]
	s_and_not1_b32 vcc_lo, exec_lo, s22
	s_mov_b32 s1, -1
	s_delay_alu instid0(VALU_DEP_3) | instskip(NEXT) | instid1(VALU_DEP_3)
	v_fma_f64 v[2:3], s[12:13], v[26:27], -v[2:3]
	v_fmac_f64_e32 v[4:5], s[14:15], v[26:27]
	s_cbranch_vccnz .LBB130_31
; %bb.30:                               ;   in Loop: Header=BB130_7 Depth=1
	global_load_b128 v[24:27], v[22:23], off
	s_mov_b32 s1, 0
	s_wait_loadcnt 0x0
	v_mul_f64_e32 v[28:29], s[8:9], v[26:27]
	v_mul_f64_e32 v[26:27], s[6:7], v[26:27]
	s_delay_alu instid0(VALU_DEP_2) | instskip(NEXT) | instid1(VALU_DEP_2)
	v_fma_f64 v[28:29], s[6:7], v[24:25], -v[28:29]
	v_fmac_f64_e32 v[26:27], s[8:9], v[24:25]
	s_delay_alu instid0(VALU_DEP_2) | instskip(NEXT) | instid1(VALU_DEP_2)
	v_add_f64_e32 v[24:25], v[2:3], v[28:29]
	v_add_f64_e32 v[26:27], v[4:5], v[26:27]
	global_store_b128 v[22:23], v[24:27], off
.LBB130_31:                             ;   in Loop: Header=BB130_7 Depth=1
	s_and_not1_b32 vcc_lo, exec_lo, s1
	s_cbranch_vccnz .LBB130_33
; %bb.32:                               ;   in Loop: Header=BB130_7 Depth=1
	global_store_b128 v[22:23], v[2:5], off
.LBB130_33:                             ;   in Loop: Header=BB130_7 Depth=1
	s_wait_xcnt 0x0
	s_or_b32 exec_lo, exec_lo, s0
	s_and_saveexec_b32 s0, s35
	s_cbranch_execz .LBB130_6
; %bb.34:                               ;   in Loop: Header=BB130_7 Depth=1
	s_delay_alu instid0(VALU_DEP_3) | instskip(SKIP_4) | instid1(VALU_DEP_3)
	v_mul_f64_e32 v[2:3], s[14:15], v[34:35]
	v_mul_f64_e32 v[4:5], s[12:13], v[34:35]
	v_lshl_add_u64 v[20:21], v[14:15], 4, v[20:21]
	s_and_not1_b32 vcc_lo, exec_lo, s22
	s_mov_b32 s1, -1
	v_fma_f64 v[2:3], s[12:13], v[36:37], -v[2:3]
	s_delay_alu instid0(VALU_DEP_3)
	v_fmac_f64_e32 v[4:5], s[14:15], v[36:37]
	s_cbranch_vccnz .LBB130_36
; %bb.35:                               ;   in Loop: Header=BB130_7 Depth=1
	global_load_b128 v[22:25], v[20:21], off
	s_mov_b32 s1, 0
	s_wait_loadcnt 0x0
	v_mul_f64_e32 v[26:27], s[8:9], v[24:25]
	v_mul_f64_e32 v[24:25], s[6:7], v[24:25]
	s_delay_alu instid0(VALU_DEP_2) | instskip(NEXT) | instid1(VALU_DEP_2)
	v_fma_f64 v[26:27], s[6:7], v[22:23], -v[26:27]
	v_fmac_f64_e32 v[24:25], s[8:9], v[22:23]
	s_delay_alu instid0(VALU_DEP_2) | instskip(NEXT) | instid1(VALU_DEP_2)
	v_add_f64_e32 v[22:23], v[2:3], v[26:27]
	v_add_f64_e32 v[24:25], v[4:5], v[24:25]
	global_store_b128 v[20:21], v[22:25], off
.LBB130_36:                             ;   in Loop: Header=BB130_7 Depth=1
	s_and_not1_b32 vcc_lo, exec_lo, s1
	s_cbranch_vccnz .LBB130_6
; %bb.37:                               ;   in Loop: Header=BB130_7 Depth=1
	global_store_b128 v[20:21], v[2:5], off
	s_branch .LBB130_6
.LBB130_38:
.LBB130_39:
	s_sendmsg sendmsg(MSG_DEALLOC_VGPRS)
	s_endpgm
	.section	.rodata,"a",@progbits
	.p2align	6, 0x0
	.amdhsa_kernel _ZL29rocblas_internal_gemmt_kernelIiLi16ELi32ELi8ELc84ELc84ELc85ELb0ELb0E19rocblas_complex_numIdES1_PKS1_PS1_EviT_T9_T10_S5_lS7_S5_lS6_T11_S5_li
		.amdhsa_group_segment_fixed_size 8192
		.amdhsa_private_segment_fixed_size 0
		.amdhsa_kernarg_size 116
		.amdhsa_user_sgpr_count 2
		.amdhsa_user_sgpr_dispatch_ptr 0
		.amdhsa_user_sgpr_queue_ptr 0
		.amdhsa_user_sgpr_kernarg_segment_ptr 1
		.amdhsa_user_sgpr_dispatch_id 0
		.amdhsa_user_sgpr_kernarg_preload_length 0
		.amdhsa_user_sgpr_kernarg_preload_offset 0
		.amdhsa_user_sgpr_private_segment_size 0
		.amdhsa_wavefront_size32 1
		.amdhsa_uses_dynamic_stack 0
		.amdhsa_enable_private_segment 0
		.amdhsa_system_sgpr_workgroup_id_x 1
		.amdhsa_system_sgpr_workgroup_id_y 1
		.amdhsa_system_sgpr_workgroup_id_z 1
		.amdhsa_system_sgpr_workgroup_info 0
		.amdhsa_system_vgpr_workitem_id 1
		.amdhsa_next_free_vgpr 66
		.amdhsa_next_free_sgpr 41
		.amdhsa_named_barrier_count 0
		.amdhsa_reserve_vcc 1
		.amdhsa_float_round_mode_32 0
		.amdhsa_float_round_mode_16_64 0
		.amdhsa_float_denorm_mode_32 3
		.amdhsa_float_denorm_mode_16_64 3
		.amdhsa_fp16_overflow 0
		.amdhsa_memory_ordered 1
		.amdhsa_forward_progress 1
		.amdhsa_inst_pref_size 26
		.amdhsa_round_robin_scheduling 0
		.amdhsa_exception_fp_ieee_invalid_op 0
		.amdhsa_exception_fp_denorm_src 0
		.amdhsa_exception_fp_ieee_div_zero 0
		.amdhsa_exception_fp_ieee_overflow 0
		.amdhsa_exception_fp_ieee_underflow 0
		.amdhsa_exception_fp_ieee_inexact 0
		.amdhsa_exception_int_div_zero 0
	.end_amdhsa_kernel
	.section	.text._ZL29rocblas_internal_gemmt_kernelIiLi16ELi32ELi8ELc84ELc84ELc85ELb0ELb0E19rocblas_complex_numIdES1_PKS1_PS1_EviT_T9_T10_S5_lS7_S5_lS6_T11_S5_li,"axG",@progbits,_ZL29rocblas_internal_gemmt_kernelIiLi16ELi32ELi8ELc84ELc84ELc85ELb0ELb0E19rocblas_complex_numIdES1_PKS1_PS1_EviT_T9_T10_S5_lS7_S5_lS6_T11_S5_li,comdat
.Lfunc_end130:
	.size	_ZL29rocblas_internal_gemmt_kernelIiLi16ELi32ELi8ELc84ELc84ELc85ELb0ELb0E19rocblas_complex_numIdES1_PKS1_PS1_EviT_T9_T10_S5_lS7_S5_lS6_T11_S5_li, .Lfunc_end130-_ZL29rocblas_internal_gemmt_kernelIiLi16ELi32ELi8ELc84ELc84ELc85ELb0ELb0E19rocblas_complex_numIdES1_PKS1_PS1_EviT_T9_T10_S5_lS7_S5_lS6_T11_S5_li
                                        ; -- End function
	.set _ZL29rocblas_internal_gemmt_kernelIiLi16ELi32ELi8ELc84ELc84ELc85ELb0ELb0E19rocblas_complex_numIdES1_PKS1_PS1_EviT_T9_T10_S5_lS7_S5_lS6_T11_S5_li.num_vgpr, 66
	.set _ZL29rocblas_internal_gemmt_kernelIiLi16ELi32ELi8ELc84ELc84ELc85ELb0ELb0E19rocblas_complex_numIdES1_PKS1_PS1_EviT_T9_T10_S5_lS7_S5_lS6_T11_S5_li.num_agpr, 0
	.set _ZL29rocblas_internal_gemmt_kernelIiLi16ELi32ELi8ELc84ELc84ELc85ELb0ELb0E19rocblas_complex_numIdES1_PKS1_PS1_EviT_T9_T10_S5_lS7_S5_lS6_T11_S5_li.numbered_sgpr, 41
	.set _ZL29rocblas_internal_gemmt_kernelIiLi16ELi32ELi8ELc84ELc84ELc85ELb0ELb0E19rocblas_complex_numIdES1_PKS1_PS1_EviT_T9_T10_S5_lS7_S5_lS6_T11_S5_li.num_named_barrier, 0
	.set _ZL29rocblas_internal_gemmt_kernelIiLi16ELi32ELi8ELc84ELc84ELc85ELb0ELb0E19rocblas_complex_numIdES1_PKS1_PS1_EviT_T9_T10_S5_lS7_S5_lS6_T11_S5_li.private_seg_size, 0
	.set _ZL29rocblas_internal_gemmt_kernelIiLi16ELi32ELi8ELc84ELc84ELc85ELb0ELb0E19rocblas_complex_numIdES1_PKS1_PS1_EviT_T9_T10_S5_lS7_S5_lS6_T11_S5_li.uses_vcc, 1
	.set _ZL29rocblas_internal_gemmt_kernelIiLi16ELi32ELi8ELc84ELc84ELc85ELb0ELb0E19rocblas_complex_numIdES1_PKS1_PS1_EviT_T9_T10_S5_lS7_S5_lS6_T11_S5_li.uses_flat_scratch, 0
	.set _ZL29rocblas_internal_gemmt_kernelIiLi16ELi32ELi8ELc84ELc84ELc85ELb0ELb0E19rocblas_complex_numIdES1_PKS1_PS1_EviT_T9_T10_S5_lS7_S5_lS6_T11_S5_li.has_dyn_sized_stack, 0
	.set _ZL29rocblas_internal_gemmt_kernelIiLi16ELi32ELi8ELc84ELc84ELc85ELb0ELb0E19rocblas_complex_numIdES1_PKS1_PS1_EviT_T9_T10_S5_lS7_S5_lS6_T11_S5_li.has_recursion, 0
	.set _ZL29rocblas_internal_gemmt_kernelIiLi16ELi32ELi8ELc84ELc84ELc85ELb0ELb0E19rocblas_complex_numIdES1_PKS1_PS1_EviT_T9_T10_S5_lS7_S5_lS6_T11_S5_li.has_indirect_call, 0
	.section	.AMDGPU.csdata,"",@progbits
; Kernel info:
; codeLenInByte = 3216
; TotalNumSgprs: 43
; NumVgprs: 66
; ScratchSize: 0
; MemoryBound: 0
; FloatMode: 240
; IeeeMode: 1
; LDSByteSize: 8192 bytes/workgroup (compile time only)
; SGPRBlocks: 0
; VGPRBlocks: 4
; NumSGPRsForWavesPerEU: 43
; NumVGPRsForWavesPerEU: 66
; NamedBarCnt: 0
; Occupancy: 12
; WaveLimiterHint : 0
; COMPUTE_PGM_RSRC2:SCRATCH_EN: 0
; COMPUTE_PGM_RSRC2:USER_SGPR: 2
; COMPUTE_PGM_RSRC2:TRAP_HANDLER: 0
; COMPUTE_PGM_RSRC2:TGID_X_EN: 1
; COMPUTE_PGM_RSRC2:TGID_Y_EN: 1
; COMPUTE_PGM_RSRC2:TGID_Z_EN: 1
; COMPUTE_PGM_RSRC2:TIDIG_COMP_CNT: 1
	.section	.text._ZL29rocblas_internal_gemmt_kernelIiLi16ELi32ELi8ELc84ELc67ELc85ELb0ELb1E19rocblas_complex_numIdES1_PKS1_PS1_EviT_T9_T10_S5_lS7_S5_lS6_T11_S5_li,"axG",@progbits,_ZL29rocblas_internal_gemmt_kernelIiLi16ELi32ELi8ELc84ELc67ELc85ELb0ELb1E19rocblas_complex_numIdES1_PKS1_PS1_EviT_T9_T10_S5_lS7_S5_lS6_T11_S5_li,comdat
	.globl	_ZL29rocblas_internal_gemmt_kernelIiLi16ELi32ELi8ELc84ELc67ELc85ELb0ELb1E19rocblas_complex_numIdES1_PKS1_PS1_EviT_T9_T10_S5_lS7_S5_lS6_T11_S5_li ; -- Begin function _ZL29rocblas_internal_gemmt_kernelIiLi16ELi32ELi8ELc84ELc67ELc85ELb0ELb1E19rocblas_complex_numIdES1_PKS1_PS1_EviT_T9_T10_S5_lS7_S5_lS6_T11_S5_li
	.p2align	8
	.type	_ZL29rocblas_internal_gemmt_kernelIiLi16ELi32ELi8ELc84ELc67ELc85ELb0ELb1E19rocblas_complex_numIdES1_PKS1_PS1_EviT_T9_T10_S5_lS7_S5_lS6_T11_S5_li,@function
_ZL29rocblas_internal_gemmt_kernelIiLi16ELi32ELi8ELc84ELc67ELc85ELb0ELb1E19rocblas_complex_numIdES1_PKS1_PS1_EviT_T9_T10_S5_lS7_S5_lS6_T11_S5_li: ; @_ZL29rocblas_internal_gemmt_kernelIiLi16ELi32ELi8ELc84ELc67ELc85ELb0ELb1E19rocblas_complex_numIdES1_PKS1_PS1_EviT_T9_T10_S5_lS7_S5_lS6_T11_S5_li
; %bb.0:
	s_clause 0x2
	s_load_b256 s[8:15], s[0:1], 0x40
	s_load_b64 s[6:7], s[0:1], 0x0
	s_load_b128 s[16:19], s[0:1], 0x8
	s_wait_kmcnt 0x0
	v_cmp_eq_f64_e64 s2, s[10:11], 1.0
	v_cmp_eq_f64_e64 s4, s[12:13], 0
	s_and_b32 s2, s2, s4
	s_delay_alu instid0(SALU_CYCLE_1)
	s_and_not1_b32 vcc_lo, exec_lo, s2
	s_mov_b32 s2, -1
	s_cbranch_vccnz .LBB131_3
; %bb.1:
	s_cmp_lg_u32 s7, 0
	s_cbranch_scc0 .LBB131_36
; %bb.2:
	v_cmp_neq_f64_e64 s2, s[16:17], 0
	v_cmp_neq_f64_e64 s3, s[18:19], 0
	s_or_b32 s2, s2, s3
.LBB131_3:
	s_delay_alu instid0(SALU_CYCLE_1)
	s_and_b32 vcc_lo, exec_lo, s2
	s_cbranch_vccz .LBB131_37
; %bb.4:
	s_load_b32 s27, s[0:1], 0x70
	s_bfe_u32 s2, ttmp6, 0x40014
	s_lshr_b32 s3, ttmp7, 16
	s_add_co_i32 s2, s2, 1
	s_bfe_u32 s20, ttmp6, 0x40008
	s_mul_i32 s2, s3, s2
	s_getreg_b32 s5, hwreg(HW_REG_IB_STS2, 6, 4)
	s_add_co_i32 s20, s20, s2
	s_cmp_eq_u32 s5, 0
	s_mov_b32 s29, 0
	s_cselect_b32 s28, s3, s20
	s_wait_kmcnt 0x0
	s_cmp_ge_u32 s28, s27
	s_cbranch_scc1 .LBB131_37
; %bb.5:
	s_clause 0x2
	s_load_b96 s[24:26], s[0:1], 0x18
	s_load_b32 s34, s[0:1], 0x38
	s_load_b32 s2, s[0:1], 0x60
	v_and_b32_e32 v1, 0x3ff, v0
	v_bfe_u32 v9, v0, 10, 10
	s_clause 0x1
	s_load_b128 s[20:23], s[0:1], 0x28
	s_load_b64 s[30:31], s[0:1], 0x68
	s_wait_xcnt 0x0
	s_bfe_u32 s1, ttmp6, 0x4000c
	s_bfe_u32 s3, ttmp6, 0x40010
	s_and_b32 s37, ttmp7, 0xffff
	s_add_co_i32 s38, s1, 1
	s_add_co_i32 s39, s3, 1
	v_lshl_add_u32 v2, v9, 4, v1
	s_and_b32 s0, ttmp6, 15
	s_mul_i32 s38, ttmp9, s38
	s_mul_i32 s39, s37, s39
	s_bfe_u32 s40, ttmp6, 0x40004
	s_add_co_i32 s0, s0, s38
	s_add_co_i32 s40, s40, s39
	v_dual_lshrrev_b32 v40, 5, v2 :: v_dual_bitop2_b32 v6, 7, v0 bitop3:0x40
	s_wait_kmcnt 0x0
	s_ashr_i32 s1, s26, 31
	s_ashr_i32 s35, s34, 31
	;; [unrolled: 1-line block ×3, first 2 shown]
	s_cmp_eq_u32 s5, 0
	v_dual_mov_b32 v0, 0 :: v_dual_bitop2_b32 v5, 31, v2 bitop3:0x40
	s_cselect_b32 s0, ttmp9, s0
	s_cselect_b32 s5, s37, s40
	s_lshl_b32 s37, s0, 5
	s_delay_alu instid0(VALU_DEP_1) | instid1(SALU_CYCLE_1)
	v_dual_lshrrev_b32 v8, 3, v2 :: v_dual_bitop2_b32 v2, s37, v5 bitop3:0x54
	s_lshl_b32 s5, s5, 5
	v_mov_b32_e32 v7, v0
	v_cmp_neq_f64_e64 s33, s[16:17], 0
	v_cmp_neq_f64_e64 s36, s[18:19], 0
	v_dual_add_nc_u32 v4, s5, v8 :: v_dual_ashrrev_i32 v3, 31, v2
	v_add_nc_u32_e32 v18, s5, v9
	v_mul_u64_e32 v[16:17], s[34:35], v[6:7]
	s_mov_b32 s0, s26
	v_cmp_neq_f64_e64 s38, s[10:11], 0
	v_mul_u64_e32 v[20:21], s[0:1], v[2:3]
	v_dual_lshlrev_b32 v7, 4, v6 :: v_dual_lshlrev_b32 v3, 4, v5
	v_cmp_gt_i32_e32 vcc_lo, s6, v2
	v_dual_add_nc_u32 v2, 16, v18 :: v_dual_ashrrev_i32 v19, 31, v18
	s_delay_alu instid0(VALU_DEP_3) | instskip(NEXT) | instid1(VALU_DEP_4)
	v_lshl_or_b32 v5, v8, 7, v7
	v_lshl_or_b32 v7, v40, 9, v3
	v_dual_lshlrev_b32 v42, 4, v1 :: v_dual_add_nc_u32 v8, s37, v1
	s_delay_alu instid0(VALU_DEP_4) | instskip(NEXT) | instid1(VALU_DEP_4)
	v_ashrrev_i32_e32 v3, 31, v2
	v_add_nc_u32_e32 v41, 0x1000, v5
	v_ashrrev_i32_e32 v5, 31, v4
	v_mul_u64_e32 v[10:11], s[2:3], v[18:19]
	v_cmp_gt_i32_e64 s0, s6, v4
	v_mul_u64_e32 v[12:13], s[2:3], v[2:3]
	v_cmp_gt_i32_e64 s1, s6, v18
	v_lshlrev_b64_e32 v[4:5], 4, v[4:5]
	v_cmp_le_i32_e64 s2, v8, v18
	v_add_nc_u32_e32 v14, 16, v8
	v_lshl_add_u32 v43, v9, 7, 0x1000
	v_dual_ashrrev_i32 v9, 31, v8 :: v_dual_mov_b32 v19, v0
	s_delay_alu instid0(VALU_DEP_3)
	v_cmp_le_i32_e64 s5, v14, v2
	s_or_b32 s36, s33, s36
	s_cmp_gt_i32 s7, 0
	v_ashrrev_i32_e32 v15, 31, v14
	s_cselect_b32 s39, -1, 0
	v_lshl_add_u64 v[4:5], v[16:17], 4, v[4:5]
	s_and_b32 s33, s1, s2
	v_cmp_le_i32_e64 s2, v14, v18
	v_lshlrev_b32_e32 v18, 4, v40
	s_xor_b32 s3, s4, -1
	v_add_nc_u64_e32 v[4:5], s[22:23], v[4:5]
	s_or_b32 s26, s38, s3
	v_cmp_gt_i32_e64 s3, s6, v2
	v_cmp_le_i32_e64 s4, v8, v2
	v_lshl_add_u64 v[2:3], v[20:21], 4, v[18:19]
	s_and_b32 s1, s1, s2
	s_and_b32 s23, s36, s39
	v_add_nc_u64_e32 v[18:19], 8, v[4:5]
	s_and_b32 s6, s3, s4
	v_add_nc_u64_e32 v[16:17], s[24:25], v[2:3]
	s_and_b32 s22, s3, s5
	s_lshl_b64 s[2:3], s[20:21], 4
	s_lshl_b64 s[4:5], s[8:9], 4
	;; [unrolled: 1-line block ×3, first 2 shown]
	s_xor_b32 s24, vcc_lo, -1
	s_branch .LBB131_7
.LBB131_6:                              ;   in Loop: Header=BB131_7 Depth=1
	s_wait_xcnt 0x0
	s_or_b32 exec_lo, exec_lo, s20
	s_add_co_i32 s28, s28, 0x10000
	s_delay_alu instid0(SALU_CYCLE_1)
	s_cmp_lt_u32 s28, s27
	s_cbranch_scc0 .LBB131_37
.LBB131_7:                              ; =>This Loop Header: Depth=1
                                        ;     Child Loop BB131_10 Depth 2
	v_mov_b64_e32 v[36:37], 0
	v_mov_b64_e32 v[38:39], 0
	v_mov_b64_e32 v[32:33], 0
	v_mov_b64_e32 v[34:35], 0
	v_mov_b64_e32 v[28:29], 0
	v_mov_b64_e32 v[30:31], 0
	v_mov_b64_e32 v[22:23], 0
	v_mov_b64_e32 v[20:21], 0
	s_and_not1_b32 vcc_lo, exec_lo, s23
	s_cbranch_vccnz .LBB131_16
; %bb.8:                                ;   in Loop: Header=BB131_7 Depth=1
	v_mad_nc_u64_u32 v[24:25], s2, s28, v[16:17]
	v_mad_nc_u64_u32 v[26:27], s4, s28, v[18:19]
	v_mov_b64_e32 v[20:21], 0
	v_mov_b64_e32 v[22:23], 0
	;; [unrolled: 1-line block ×8, first 2 shown]
	s_mov_b32 s20, 0
	v_mad_u32 v25, s3, s28, v25
	v_mad_u32 v27, s5, s28, v27
	s_branch .LBB131_10
.LBB131_9:                              ;   in Loop: Header=BB131_10 Depth=2
	s_wait_xcnt 0x0
	s_or_b32 exec_lo, exec_lo, s21
	ds_store_b128 v41, v[2:5]
	s_wait_dscnt 0x0
	s_barrier_signal -1
	s_barrier_wait -1
	ds_load_b128 v[2:5], v43
	ds_load_b128 v[44:47], v42
	ds_load_b128 v[48:51], v42 offset:256
	ds_load_b128 v[52:55], v43 offset:2048
	;; [unrolled: 1-line block ×10, first 2 shown]
	v_add_nc_u64_e32 v[24:25], 0x80, v[24:25]
	v_add_nc_u64_e32 v[26:27], s[8:9], v[26:27]
	s_add_co_i32 s20, s20, 8
	s_delay_alu instid0(SALU_CYCLE_1)
	s_cmp_lt_i32 s20, s7
	s_wait_dscnt 0xa
	v_mul_f64_e32 v[88:89], v[4:5], v[46:47]
	v_mul_f64_e32 v[90:91], v[2:3], v[46:47]
	s_wait_dscnt 0x9
	v_mul_f64_e32 v[92:93], v[4:5], v[50:51]
	v_mul_f64_e32 v[94:95], v[2:3], v[50:51]
	s_wait_dscnt 0x8
	v_mul_f64_e32 v[96:97], v[54:55], v[46:47]
	v_mul_f64_e32 v[98:99], v[52:53], v[46:47]
	v_mul_f64_e32 v[46:47], v[54:55], v[50:51]
	v_mul_f64_e32 v[100:101], v[52:53], v[50:51]
	s_wait_dscnt 0x6
	v_mul_f64_e32 v[102:103], v[58:59], v[62:63]
	v_mul_f64_e32 v[104:105], v[56:57], v[62:63]
	s_wait_dscnt 0x5
	v_mul_f64_e32 v[106:107], v[58:59], v[66:67]
	v_mul_f64_e32 v[108:109], v[56:57], v[66:67]
	s_wait_dscnt 0x4
	v_mul_f64_e32 v[110:111], v[70:71], v[62:63]
	v_mul_f64_e32 v[62:63], v[68:69], v[62:63]
	v_mul_f64_e32 v[112:113], v[70:71], v[66:67]
	v_mul_f64_e32 v[66:67], v[68:69], v[66:67]
	;; [unrolled: 11-line block ×3, first 2 shown]
	v_fma_f64 v[88:89], v[2:3], v[44:45], -v[88:89]
	v_fmac_f64_e32 v[90:91], v[4:5], v[44:45]
	v_fma_f64 v[92:93], v[2:3], v[48:49], -v[92:93]
	v_fmac_f64_e32 v[94:95], v[4:5], v[48:49]
	v_fma_f64 v[96:97], v[52:53], v[44:45], -v[96:97]
	v_fmac_f64_e32 v[98:99], v[54:55], v[44:45]
	v_fma_f64 v[114:115], v[52:53], v[48:49], -v[46:47]
	v_fmac_f64_e32 v[100:101], v[54:55], v[48:49]
	v_fma_f64 v[102:103], v[56:57], v[60:61], -v[102:103]
	v_fmac_f64_e32 v[104:105], v[58:59], v[60:61]
	v_fma_f64 v[56:57], v[56:57], v[64:65], -v[106:107]
	v_fmac_f64_e32 v[108:109], v[58:59], v[64:65]
	v_fma_f64 v[58:59], v[68:69], v[60:61], -v[110:111]
	v_fmac_f64_e32 v[62:63], v[70:71], v[60:61]
	v_fma_f64 v[60:61], v[68:69], v[64:65], -v[112:113]
	v_fmac_f64_e32 v[66:67], v[70:71], v[64:65]
	ds_load_b128 v[2:5], v43 offset:48
	ds_load_b128 v[44:47], v43 offset:2096
	;; [unrolled: 1-line block ×4, first 2 shown]
	v_fma_f64 v[116:117], v[72:73], v[76:77], -v[116:117]
	v_fmac_f64_e32 v[118:119], v[74:75], v[76:77]
	v_fma_f64 v[72:73], v[72:73], v[80:81], -v[120:121]
	v_fmac_f64_e32 v[122:123], v[74:75], v[80:81]
	;; [unrolled: 2-line block ×4, first 2 shown]
	v_add_f64_e32 v[64:65], v[36:37], v[88:89]
	v_add_f64_e32 v[68:69], v[90:91], v[38:39]
	;; [unrolled: 1-line block ×8, first 2 shown]
	s_wait_dscnt 0x1
	v_mul_f64_e32 v[98:99], v[4:5], v[50:51]
	v_mul_f64_e32 v[100:101], v[2:3], v[50:51]
	s_wait_dscnt 0x0
	v_mul_f64_e32 v[106:107], v[4:5], v[54:55]
	v_mul_f64_e32 v[110:111], v[2:3], v[54:55]
	;; [unrolled: 1-line block ×6, first 2 shown]
	ds_load_b128 v[20:23], v43 offset:64
	ds_load_b128 v[28:31], v42 offset:2048
	;; [unrolled: 1-line block ×4, first 2 shown]
	v_add_f64_e32 v[80:81], v[64:65], v[102:103]
	v_add_f64_e32 v[84:85], v[104:105], v[68:69]
	;; [unrolled: 1-line block ×8, first 2 shown]
	s_wait_dscnt 0x2
	v_mul_f64_e32 v[96:97], v[22:23], v[30:31]
	v_mul_f64_e32 v[102:103], v[20:21], v[30:31]
	s_wait_dscnt 0x1
	v_mul_f64_e32 v[104:105], v[22:23], v[34:35]
	v_mul_f64_e32 v[108:109], v[20:21], v[34:35]
	;; [unrolled: 3-line block ×3, first 2 shown]
	v_mul_f64_e32 v[30:31], v[38:39], v[34:35]
	v_mul_f64_e32 v[126:127], v[36:37], v[34:35]
	v_fma_f64 v[34:35], v[2:3], v[48:49], -v[98:99]
	v_fmac_f64_e32 v[100:101], v[4:5], v[48:49]
	v_fma_f64 v[98:99], v[2:3], v[52:53], -v[106:107]
	v_fmac_f64_e32 v[110:111], v[4:5], v[52:53]
	v_fma_f64 v[106:107], v[44:45], v[48:49], -v[112:113]
	v_fmac_f64_e32 v[114:115], v[46:47], v[48:49]
	v_fma_f64 v[112:113], v[44:45], v[52:53], -v[50:51]
	v_fmac_f64_e32 v[128:129], v[46:47], v[52:53]
	ds_load_b128 v[54:57], v43 offset:80
	ds_load_b128 v[58:61], v43 offset:2128
	;; [unrolled: 1-line block ×4, first 2 shown]
	v_add_f64_e32 v[52:53], v[80:81], v[116:117]
	v_add_f64_e32 v[80:81], v[118:119], v[84:85]
	;; [unrolled: 1-line block ×8, first 2 shown]
	v_fma_f64 v[96:97], v[20:21], v[28:29], -v[96:97]
	v_fmac_f64_e32 v[102:103], v[22:23], v[28:29]
	v_fma_f64 v[104:105], v[20:21], v[32:33], -v[104:105]
	s_wait_dscnt 0x1
	v_mul_f64_e32 v[88:89], v[56:57], v[64:65]
	v_mul_f64_e32 v[90:91], v[54:55], v[64:65]
	s_wait_dscnt 0x0
	v_mul_f64_e32 v[92:93], v[56:57], v[68:69]
	v_mul_f64_e32 v[94:95], v[54:55], v[68:69]
	;; [unrolled: 1-line block ×6, first 2 shown]
	v_fmac_f64_e32 v[108:109], v[22:23], v[32:33]
	v_fma_f64 v[120:121], v[36:37], v[28:29], -v[120:121]
	v_fmac_f64_e32 v[124:125], v[38:39], v[28:29]
	v_fma_f64 v[122:123], v[36:37], v[32:33], -v[30:31]
	v_fmac_f64_e32 v[126:127], v[38:39], v[32:33]
	ds_load_b128 v[2:5], v43 offset:96
	ds_load_b128 v[44:47], v42 offset:3072
	;; [unrolled: 1-line block ×4, first 2 shown]
	v_add_f64_e32 v[52:53], v[52:53], v[34:35]
	v_add_f64_e32 v[80:81], v[100:101], v[80:81]
	;; [unrolled: 1-line block ×8, first 2 shown]
	ds_load_b128 v[20:23], v43 offset:112
	ds_load_b128 v[28:31], v43 offset:2160
	;; [unrolled: 1-line block ×4, first 2 shown]
	s_wait_dscnt 0x0
	v_mul_f64_e32 v[98:99], v[4:5], v[46:47]
	v_mul_f64_e32 v[100:101], v[2:3], v[46:47]
	;; [unrolled: 1-line block ×8, first 2 shown]
	v_fma_f64 v[88:89], v[54:55], v[62:63], -v[88:89]
	v_fmac_f64_e32 v[90:91], v[56:57], v[62:63]
	v_fma_f64 v[54:55], v[54:55], v[66:67], -v[92:93]
	v_fmac_f64_e32 v[94:95], v[56:57], v[66:67]
	;; [unrolled: 2-line block ×4, first 2 shown]
	s_barrier_signal -1
	s_barrier_wait -1
	v_mul_f64_e32 v[92:93], v[20:21], v[38:39]
	v_add_f64_e32 v[52:53], v[52:53], v[96:97]
	v_add_f64_e32 v[60:61], v[102:103], v[80:81]
	;; [unrolled: 1-line block ×8, first 2 shown]
	v_mul_f64_e32 v[82:83], v[22:23], v[34:35]
	v_mul_f64_e32 v[84:85], v[20:21], v[34:35]
	;; [unrolled: 1-line block ×7, first 2 shown]
	v_fma_f64 v[38:39], v[2:3], v[44:45], -v[98:99]
	v_fmac_f64_e32 v[100:101], v[4:5], v[44:45]
	v_fma_f64 v[2:3], v[2:3], v[48:49], -v[106:107]
	v_fmac_f64_e32 v[110:111], v[4:5], v[48:49]
	;; [unrolled: 2-line block ×4, first 2 shown]
	v_fmac_f64_e32 v[92:93], v[22:23], v[36:37]
	v_add_f64_e32 v[48:49], v[52:53], v[88:89]
	v_add_f64_e32 v[52:53], v[90:91], v[60:61]
	;; [unrolled: 1-line block ×8, first 2 shown]
	v_fma_f64 v[66:67], v[20:21], v[32:33], -v[82:83]
	v_fmac_f64_e32 v[84:85], v[22:23], v[32:33]
	v_fma_f64 v[20:21], v[20:21], v[36:37], -v[86:87]
	v_fma_f64 v[22:23], v[28:29], v[32:33], -v[96:97]
	v_fmac_f64_e32 v[102:103], v[30:31], v[32:33]
	v_fma_f64 v[68:69], v[28:29], v[36:37], -v[34:35]
	v_fmac_f64_e32 v[104:105], v[30:31], v[36:37]
	v_add_f64_e32 v[28:29], v[48:49], v[38:39]
	v_add_f64_e32 v[30:31], v[100:101], v[52:53]
	;; [unrolled: 1-line block ×16, first 2 shown]
	s_cbranch_scc0 .LBB131_16
.LBB131_10:                             ;   Parent Loop BB131_7 Depth=1
                                        ; =>  This Inner Loop Header: Depth=2
	v_add_nc_u32_e32 v1, s20, v40
	s_delay_alu instid0(VALU_DEP_1) | instskip(SKIP_1) | instid1(SALU_CYCLE_1)
	v_cmp_le_i32_e32 vcc_lo, s7, v1
	s_or_b32 s21, s24, vcc_lo
	s_and_saveexec_b32 s25, s21
	s_delay_alu instid0(SALU_CYCLE_1)
	s_xor_b32 s21, exec_lo, s25
; %bb.11:                               ;   in Loop: Header=BB131_10 Depth=2
	v_dual_mov_b32 v1, v0 :: v_dual_mov_b32 v2, v0
	v_mov_b32_e32 v3, v0
	ds_store_b128 v7, v[0:3]
; %bb.12:                               ;   in Loop: Header=BB131_10 Depth=2
	s_and_not1_saveexec_b32 s21, s21
	s_cbranch_execz .LBB131_14
; %bb.13:                               ;   in Loop: Header=BB131_10 Depth=2
	global_load_b128 v[2:5], v[24:25], off
	s_wait_loadcnt 0x0
	ds_store_2addr_b64 v7, v[2:3], v[4:5] offset1:1
.LBB131_14:                             ;   in Loop: Header=BB131_10 Depth=2
	s_wait_xcnt 0x0
	s_or_b32 exec_lo, exec_lo, s21
	v_add_nc_u32_e32 v1, s20, v6
	v_mov_b64_e32 v[2:3], 0
	v_mov_b64_e32 v[4:5], 0
	s_delay_alu instid0(VALU_DEP_3) | instskip(SKIP_1) | instid1(SALU_CYCLE_1)
	v_cmp_gt_i32_e32 vcc_lo, s7, v1
	s_and_b32 s25, vcc_lo, s0
	s_and_saveexec_b32 s21, s25
	s_cbranch_execz .LBB131_9
; %bb.15:                               ;   in Loop: Header=BB131_10 Depth=2
	global_load_b128 v[2:5], v[26:27], off offset:-8
	s_wait_loadcnt 0x0
	v_xor_b32_e32 v5, 0x80000000, v5
	s_branch .LBB131_9
.LBB131_16:                             ;   in Loop: Header=BB131_7 Depth=1
	s_mul_u64 s[20:21], s[30:31], s[28:29]
	s_delay_alu instid0(SALU_CYCLE_1) | instskip(NEXT) | instid1(SALU_CYCLE_1)
	s_lshl_b64 s[20:21], s[20:21], 4
	s_add_nc_u64 s[20:21], s[14:15], s[20:21]
	s_delay_alu instid0(SALU_CYCLE_1)
	v_lshl_add_u64 v[24:25], v[10:11], 4, s[20:21]
	s_and_saveexec_b32 s25, s33
	s_cbranch_execz .LBB131_21
; %bb.17:                               ;   in Loop: Header=BB131_7 Depth=1
	v_mul_f64_e32 v[2:3], s[18:19], v[38:39]
	v_mul_f64_e32 v[4:5], s[16:17], v[38:39]
	v_lshl_add_u64 v[26:27], v[8:9], 4, v[24:25]
	s_and_b32 vcc_lo, exec_lo, s26
	s_mov_b32 s34, -1
	s_delay_alu instid0(VALU_DEP_3) | instskip(NEXT) | instid1(VALU_DEP_3)
	v_fma_f64 v[2:3], s[16:17], v[36:37], -v[2:3]
	v_fmac_f64_e32 v[4:5], s[18:19], v[36:37]
	s_cbranch_vccz .LBB131_19
; %bb.18:                               ;   in Loop: Header=BB131_7 Depth=1
	global_load_b128 v[36:39], v[26:27], off
	s_mov_b32 s34, 0
	s_wait_loadcnt 0x0
	v_mul_f64_e32 v[44:45], s[12:13], v[38:39]
	v_mul_f64_e32 v[38:39], s[10:11], v[38:39]
	s_delay_alu instid0(VALU_DEP_2) | instskip(NEXT) | instid1(VALU_DEP_2)
	v_fma_f64 v[44:45], s[10:11], v[36:37], -v[44:45]
	v_fmac_f64_e32 v[38:39], s[12:13], v[36:37]
	s_delay_alu instid0(VALU_DEP_2) | instskip(NEXT) | instid1(VALU_DEP_2)
	v_add_f64_e32 v[36:37], v[2:3], v[44:45]
	v_add_f64_e32 v[38:39], v[4:5], v[38:39]
	global_store_b128 v[26:27], v[36:39], off
.LBB131_19:                             ;   in Loop: Header=BB131_7 Depth=1
	s_and_not1_b32 vcc_lo, exec_lo, s34
	s_cbranch_vccnz .LBB131_21
; %bb.20:                               ;   in Loop: Header=BB131_7 Depth=1
	global_store_b128 v[26:27], v[2:5], off
.LBB131_21:                             ;   in Loop: Header=BB131_7 Depth=1
	s_wait_xcnt 0x0
	s_or_b32 exec_lo, exec_lo, s25
	s_and_saveexec_b32 s25, s1
	s_cbranch_execz .LBB131_26
; %bb.22:                               ;   in Loop: Header=BB131_7 Depth=1
	v_mul_f64_e32 v[2:3], s[18:19], v[34:35]
	v_mul_f64_e32 v[4:5], s[16:17], v[34:35]
	v_lshl_add_u64 v[24:25], v[14:15], 4, v[24:25]
	s_and_not1_b32 vcc_lo, exec_lo, s26
	s_mov_b32 s34, -1
	s_delay_alu instid0(VALU_DEP_3) | instskip(NEXT) | instid1(VALU_DEP_3)
	v_fma_f64 v[2:3], s[16:17], v[32:33], -v[2:3]
	v_fmac_f64_e32 v[4:5], s[18:19], v[32:33]
	s_cbranch_vccnz .LBB131_24
; %bb.23:                               ;   in Loop: Header=BB131_7 Depth=1
	global_load_b128 v[32:35], v[24:25], off
	s_mov_b32 s34, 0
	s_wait_loadcnt 0x0
	v_mul_f64_e32 v[26:27], s[12:13], v[34:35]
	v_mul_f64_e32 v[34:35], s[10:11], v[34:35]
	s_delay_alu instid0(VALU_DEP_2) | instskip(NEXT) | instid1(VALU_DEP_2)
	v_fma_f64 v[26:27], s[10:11], v[32:33], -v[26:27]
	v_fmac_f64_e32 v[34:35], s[12:13], v[32:33]
	s_delay_alu instid0(VALU_DEP_2) | instskip(NEXT) | instid1(VALU_DEP_2)
	v_add_f64_e32 v[32:33], v[2:3], v[26:27]
	v_add_f64_e32 v[34:35], v[4:5], v[34:35]
	global_store_b128 v[24:25], v[32:35], off
.LBB131_24:                             ;   in Loop: Header=BB131_7 Depth=1
	s_and_not1_b32 vcc_lo, exec_lo, s34
	s_cbranch_vccnz .LBB131_26
; %bb.25:                               ;   in Loop: Header=BB131_7 Depth=1
	global_store_b128 v[24:25], v[2:5], off
.LBB131_26:                             ;   in Loop: Header=BB131_7 Depth=1
	s_wait_xcnt 0x0
	s_or_b32 exec_lo, exec_lo, s25
	v_lshl_add_u64 v[24:25], v[12:13], 4, s[20:21]
	s_and_saveexec_b32 s20, s6
	s_cbranch_execz .LBB131_31
; %bb.27:                               ;   in Loop: Header=BB131_7 Depth=1
	v_mul_f64_e32 v[2:3], s[18:19], v[30:31]
	v_mul_f64_e32 v[4:5], s[16:17], v[30:31]
	v_lshl_add_u64 v[26:27], v[8:9], 4, v[24:25]
	s_and_not1_b32 vcc_lo, exec_lo, s26
	s_mov_b32 s21, -1
	s_delay_alu instid0(VALU_DEP_3) | instskip(NEXT) | instid1(VALU_DEP_3)
	v_fma_f64 v[2:3], s[16:17], v[28:29], -v[2:3]
	v_fmac_f64_e32 v[4:5], s[18:19], v[28:29]
	s_cbranch_vccnz .LBB131_29
; %bb.28:                               ;   in Loop: Header=BB131_7 Depth=1
	global_load_b128 v[28:31], v[26:27], off
	s_mov_b32 s21, 0
	s_wait_loadcnt 0x0
	v_mul_f64_e32 v[32:33], s[12:13], v[30:31]
	v_mul_f64_e32 v[30:31], s[10:11], v[30:31]
	s_delay_alu instid0(VALU_DEP_2) | instskip(NEXT) | instid1(VALU_DEP_2)
	v_fma_f64 v[32:33], s[10:11], v[28:29], -v[32:33]
	v_fmac_f64_e32 v[30:31], s[12:13], v[28:29]
	s_delay_alu instid0(VALU_DEP_2) | instskip(NEXT) | instid1(VALU_DEP_2)
	v_add_f64_e32 v[28:29], v[2:3], v[32:33]
	v_add_f64_e32 v[30:31], v[4:5], v[30:31]
	global_store_b128 v[26:27], v[28:31], off
.LBB131_29:                             ;   in Loop: Header=BB131_7 Depth=1
	s_and_not1_b32 vcc_lo, exec_lo, s21
	s_cbranch_vccnz .LBB131_31
; %bb.30:                               ;   in Loop: Header=BB131_7 Depth=1
	global_store_b128 v[26:27], v[2:5], off
.LBB131_31:                             ;   in Loop: Header=BB131_7 Depth=1
	s_wait_xcnt 0x0
	s_or_b32 exec_lo, exec_lo, s20
	s_and_saveexec_b32 s20, s22
	s_cbranch_execz .LBB131_6
; %bb.32:                               ;   in Loop: Header=BB131_7 Depth=1
	s_delay_alu instid0(VALU_DEP_3) | instskip(SKIP_4) | instid1(VALU_DEP_3)
	v_mul_f64_e32 v[2:3], s[18:19], v[20:21]
	v_mul_f64_e32 v[4:5], s[16:17], v[20:21]
	v_lshl_add_u64 v[20:21], v[14:15], 4, v[24:25]
	s_and_not1_b32 vcc_lo, exec_lo, s26
	s_mov_b32 s21, -1
	v_fma_f64 v[2:3], s[16:17], v[22:23], -v[2:3]
	s_delay_alu instid0(VALU_DEP_3)
	v_fmac_f64_e32 v[4:5], s[18:19], v[22:23]
	s_cbranch_vccnz .LBB131_34
; %bb.33:                               ;   in Loop: Header=BB131_7 Depth=1
	global_load_b128 v[22:25], v[20:21], off
	s_mov_b32 s21, 0
	s_wait_loadcnt 0x0
	v_mul_f64_e32 v[26:27], s[12:13], v[24:25]
	v_mul_f64_e32 v[24:25], s[10:11], v[24:25]
	s_delay_alu instid0(VALU_DEP_2) | instskip(NEXT) | instid1(VALU_DEP_2)
	v_fma_f64 v[26:27], s[10:11], v[22:23], -v[26:27]
	v_fmac_f64_e32 v[24:25], s[12:13], v[22:23]
	s_delay_alu instid0(VALU_DEP_2) | instskip(NEXT) | instid1(VALU_DEP_2)
	v_add_f64_e32 v[22:23], v[2:3], v[26:27]
	v_add_f64_e32 v[24:25], v[4:5], v[24:25]
	global_store_b128 v[20:21], v[22:25], off
.LBB131_34:                             ;   in Loop: Header=BB131_7 Depth=1
	s_and_not1_b32 vcc_lo, exec_lo, s21
	s_cbranch_vccnz .LBB131_6
; %bb.35:                               ;   in Loop: Header=BB131_7 Depth=1
	global_store_b128 v[20:21], v[2:5], off
	s_branch .LBB131_6
.LBB131_36:
.LBB131_37:
	s_sendmsg sendmsg(MSG_DEALLOC_VGPRS)
	s_endpgm
	.section	.rodata,"a",@progbits
	.p2align	6, 0x0
	.amdhsa_kernel _ZL29rocblas_internal_gemmt_kernelIiLi16ELi32ELi8ELc84ELc67ELc85ELb0ELb1E19rocblas_complex_numIdES1_PKS1_PS1_EviT_T9_T10_S5_lS7_S5_lS6_T11_S5_li
		.amdhsa_group_segment_fixed_size 8192
		.amdhsa_private_segment_fixed_size 0
		.amdhsa_kernarg_size 116
		.amdhsa_user_sgpr_count 2
		.amdhsa_user_sgpr_dispatch_ptr 0
		.amdhsa_user_sgpr_queue_ptr 0
		.amdhsa_user_sgpr_kernarg_segment_ptr 1
		.amdhsa_user_sgpr_dispatch_id 0
		.amdhsa_user_sgpr_kernarg_preload_length 0
		.amdhsa_user_sgpr_kernarg_preload_offset 0
		.amdhsa_user_sgpr_private_segment_size 0
		.amdhsa_wavefront_size32 1
		.amdhsa_uses_dynamic_stack 0
		.amdhsa_enable_private_segment 0
		.amdhsa_system_sgpr_workgroup_id_x 1
		.amdhsa_system_sgpr_workgroup_id_y 1
		.amdhsa_system_sgpr_workgroup_id_z 1
		.amdhsa_system_sgpr_workgroup_info 0
		.amdhsa_system_vgpr_workitem_id 1
		.amdhsa_next_free_vgpr 130
		.amdhsa_next_free_sgpr 41
		.amdhsa_named_barrier_count 0
		.amdhsa_reserve_vcc 1
		.amdhsa_float_round_mode_32 0
		.amdhsa_float_round_mode_16_64 0
		.amdhsa_float_denorm_mode_32 3
		.amdhsa_float_denorm_mode_16_64 3
		.amdhsa_fp16_overflow 0
		.amdhsa_memory_ordered 1
		.amdhsa_forward_progress 1
		.amdhsa_inst_pref_size 23
		.amdhsa_round_robin_scheduling 0
		.amdhsa_exception_fp_ieee_invalid_op 0
		.amdhsa_exception_fp_denorm_src 0
		.amdhsa_exception_fp_ieee_div_zero 0
		.amdhsa_exception_fp_ieee_overflow 0
		.amdhsa_exception_fp_ieee_underflow 0
		.amdhsa_exception_fp_ieee_inexact 0
		.amdhsa_exception_int_div_zero 0
	.end_amdhsa_kernel
	.section	.text._ZL29rocblas_internal_gemmt_kernelIiLi16ELi32ELi8ELc84ELc67ELc85ELb0ELb1E19rocblas_complex_numIdES1_PKS1_PS1_EviT_T9_T10_S5_lS7_S5_lS6_T11_S5_li,"axG",@progbits,_ZL29rocblas_internal_gemmt_kernelIiLi16ELi32ELi8ELc84ELc67ELc85ELb0ELb1E19rocblas_complex_numIdES1_PKS1_PS1_EviT_T9_T10_S5_lS7_S5_lS6_T11_S5_li,comdat
.Lfunc_end131:
	.size	_ZL29rocblas_internal_gemmt_kernelIiLi16ELi32ELi8ELc84ELc67ELc85ELb0ELb1E19rocblas_complex_numIdES1_PKS1_PS1_EviT_T9_T10_S5_lS7_S5_lS6_T11_S5_li, .Lfunc_end131-_ZL29rocblas_internal_gemmt_kernelIiLi16ELi32ELi8ELc84ELc67ELc85ELb0ELb1E19rocblas_complex_numIdES1_PKS1_PS1_EviT_T9_T10_S5_lS7_S5_lS6_T11_S5_li
                                        ; -- End function
	.set _ZL29rocblas_internal_gemmt_kernelIiLi16ELi32ELi8ELc84ELc67ELc85ELb0ELb1E19rocblas_complex_numIdES1_PKS1_PS1_EviT_T9_T10_S5_lS7_S5_lS6_T11_S5_li.num_vgpr, 130
	.set _ZL29rocblas_internal_gemmt_kernelIiLi16ELi32ELi8ELc84ELc67ELc85ELb0ELb1E19rocblas_complex_numIdES1_PKS1_PS1_EviT_T9_T10_S5_lS7_S5_lS6_T11_S5_li.num_agpr, 0
	.set _ZL29rocblas_internal_gemmt_kernelIiLi16ELi32ELi8ELc84ELc67ELc85ELb0ELb1E19rocblas_complex_numIdES1_PKS1_PS1_EviT_T9_T10_S5_lS7_S5_lS6_T11_S5_li.numbered_sgpr, 41
	.set _ZL29rocblas_internal_gemmt_kernelIiLi16ELi32ELi8ELc84ELc67ELc85ELb0ELb1E19rocblas_complex_numIdES1_PKS1_PS1_EviT_T9_T10_S5_lS7_S5_lS6_T11_S5_li.num_named_barrier, 0
	.set _ZL29rocblas_internal_gemmt_kernelIiLi16ELi32ELi8ELc84ELc67ELc85ELb0ELb1E19rocblas_complex_numIdES1_PKS1_PS1_EviT_T9_T10_S5_lS7_S5_lS6_T11_S5_li.private_seg_size, 0
	.set _ZL29rocblas_internal_gemmt_kernelIiLi16ELi32ELi8ELc84ELc67ELc85ELb0ELb1E19rocblas_complex_numIdES1_PKS1_PS1_EviT_T9_T10_S5_lS7_S5_lS6_T11_S5_li.uses_vcc, 1
	.set _ZL29rocblas_internal_gemmt_kernelIiLi16ELi32ELi8ELc84ELc67ELc85ELb0ELb1E19rocblas_complex_numIdES1_PKS1_PS1_EviT_T9_T10_S5_lS7_S5_lS6_T11_S5_li.uses_flat_scratch, 0
	.set _ZL29rocblas_internal_gemmt_kernelIiLi16ELi32ELi8ELc84ELc67ELc85ELb0ELb1E19rocblas_complex_numIdES1_PKS1_PS1_EviT_T9_T10_S5_lS7_S5_lS6_T11_S5_li.has_dyn_sized_stack, 0
	.set _ZL29rocblas_internal_gemmt_kernelIiLi16ELi32ELi8ELc84ELc67ELc85ELb0ELb1E19rocblas_complex_numIdES1_PKS1_PS1_EviT_T9_T10_S5_lS7_S5_lS6_T11_S5_li.has_recursion, 0
	.set _ZL29rocblas_internal_gemmt_kernelIiLi16ELi32ELi8ELc84ELc67ELc85ELb0ELb1E19rocblas_complex_numIdES1_PKS1_PS1_EviT_T9_T10_S5_lS7_S5_lS6_T11_S5_li.has_indirect_call, 0
	.section	.AMDGPU.csdata,"",@progbits
; Kernel info:
; codeLenInByte = 2928
; TotalNumSgprs: 43
; NumVgprs: 130
; ScratchSize: 0
; MemoryBound: 1
; FloatMode: 240
; IeeeMode: 1
; LDSByteSize: 8192 bytes/workgroup (compile time only)
; SGPRBlocks: 0
; VGPRBlocks: 8
; NumSGPRsForWavesPerEU: 43
; NumVGPRsForWavesPerEU: 130
; NamedBarCnt: 0
; Occupancy: 7
; WaveLimiterHint : 0
; COMPUTE_PGM_RSRC2:SCRATCH_EN: 0
; COMPUTE_PGM_RSRC2:USER_SGPR: 2
; COMPUTE_PGM_RSRC2:TRAP_HANDLER: 0
; COMPUTE_PGM_RSRC2:TGID_X_EN: 1
; COMPUTE_PGM_RSRC2:TGID_Y_EN: 1
; COMPUTE_PGM_RSRC2:TGID_Z_EN: 1
; COMPUTE_PGM_RSRC2:TIDIG_COMP_CNT: 1
	.section	.text._ZL29rocblas_internal_gemmt_kernelIiLi16ELi32ELi8ELc67ELc78ELc85ELb1ELb0E19rocblas_complex_numIdES1_PKS1_PS1_EviT_T9_T10_S5_lS7_S5_lS6_T11_S5_li,"axG",@progbits,_ZL29rocblas_internal_gemmt_kernelIiLi16ELi32ELi8ELc67ELc78ELc85ELb1ELb0E19rocblas_complex_numIdES1_PKS1_PS1_EviT_T9_T10_S5_lS7_S5_lS6_T11_S5_li,comdat
	.globl	_ZL29rocblas_internal_gemmt_kernelIiLi16ELi32ELi8ELc67ELc78ELc85ELb1ELb0E19rocblas_complex_numIdES1_PKS1_PS1_EviT_T9_T10_S5_lS7_S5_lS6_T11_S5_li ; -- Begin function _ZL29rocblas_internal_gemmt_kernelIiLi16ELi32ELi8ELc67ELc78ELc85ELb1ELb0E19rocblas_complex_numIdES1_PKS1_PS1_EviT_T9_T10_S5_lS7_S5_lS6_T11_S5_li
	.p2align	8
	.type	_ZL29rocblas_internal_gemmt_kernelIiLi16ELi32ELi8ELc67ELc78ELc85ELb1ELb0E19rocblas_complex_numIdES1_PKS1_PS1_EviT_T9_T10_S5_lS7_S5_lS6_T11_S5_li,@function
_ZL29rocblas_internal_gemmt_kernelIiLi16ELi32ELi8ELc67ELc78ELc85ELb1ELb0E19rocblas_complex_numIdES1_PKS1_PS1_EviT_T9_T10_S5_lS7_S5_lS6_T11_S5_li: ; @_ZL29rocblas_internal_gemmt_kernelIiLi16ELi32ELi8ELc67ELc78ELc85ELb1ELb0E19rocblas_complex_numIdES1_PKS1_PS1_EviT_T9_T10_S5_lS7_S5_lS6_T11_S5_li
; %bb.0:
	s_clause 0x2
	s_load_b256 s[8:15], s[0:1], 0x40
	s_load_b64 s[6:7], s[0:1], 0x0
	s_load_b128 s[16:19], s[0:1], 0x8
	s_wait_kmcnt 0x0
	v_cmp_eq_f64_e64 s2, s[10:11], 1.0
	v_cmp_eq_f64_e64 s33, s[12:13], 0
	s_and_b32 s2, s2, s33
	s_delay_alu instid0(SALU_CYCLE_1)
	s_and_not1_b32 vcc_lo, exec_lo, s2
	s_mov_b32 s2, -1
	s_cbranch_vccnz .LBB132_3
; %bb.1:
	s_cmp_lg_u32 s7, 0
	s_cbranch_scc0 .LBB132_36
; %bb.2:
	v_cmp_neq_f64_e64 s2, s[16:17], 0
	v_cmp_neq_f64_e64 s3, s[18:19], 0
	s_or_b32 s2, s2, s3
.LBB132_3:
	s_delay_alu instid0(SALU_CYCLE_1)
	s_and_b32 vcc_lo, exec_lo, s2
	s_cbranch_vccz .LBB132_37
; %bb.4:
	s_load_b32 s27, s[0:1], 0x70
	s_bfe_u32 s2, ttmp6, 0x40014
	s_lshr_b32 s3, ttmp7, 16
	s_add_co_i32 s2, s2, 1
	s_bfe_u32 s4, ttmp6, 0x40008
	s_mul_i32 s2, s3, s2
	s_getreg_b32 s34, hwreg(HW_REG_IB_STS2, 6, 4)
	s_add_co_i32 s4, s4, s2
	s_cmp_eq_u32 s34, 0
	s_mov_b32 s29, 0
	s_cselect_b32 s28, s3, s4
	s_wait_kmcnt 0x0
	s_cmp_ge_u32 s28, s27
	s_cbranch_scc1 .LBB132_37
; %bb.5:
	s_clause 0x2
	s_load_b96 s[24:26], s[0:1], 0x18
	s_load_b32 s2, s[0:1], 0x38
	s_load_b32 s4, s[0:1], 0x60
	v_and_b32_e32 v1, 0x3ff, v0
	v_bfe_u32 v7, v0, 10, 10
	s_clause 0x1
	s_load_b128 s[20:23], s[0:1], 0x28
	s_load_b64 s[30:31], s[0:1], 0x68
	s_wait_xcnt 0x0
	s_bfe_u32 s1, ttmp6, 0x4000c
	s_bfe_u32 s3, ttmp6, 0x40010
	s_and_b32 s37, ttmp7, 0xffff
	s_add_co_i32 s1, s1, 1
	s_add_co_i32 s3, s3, 1
	v_lshl_add_u32 v3, v7, 4, v1
	s_and_b32 s0, ttmp6, 15
	s_mul_i32 s38, ttmp9, s1
	s_mul_i32 s39, s37, s3
	s_bfe_u32 s40, ttmp6, 0x40004
	s_add_co_i32 s0, s0, s38
	s_add_co_i32 s40, s40, s39
	v_dual_lshrrev_b32 v38, 5, v3 :: v_dual_bitop2_b32 v6, 31, v3 bitop3:0x40
	s_wait_kmcnt 0x0
	s_ashr_i32 s1, s26, 31
	s_ashr_i32 s3, s2, 31
	;; [unrolled: 1-line block ×3, first 2 shown]
	s_cmp_eq_u32 s34, 0
	v_cmp_neq_f64_e64 s35, s[16:17], 0
	s_cselect_b32 s0, ttmp9, s0
	s_cselect_b32 s34, s37, s40
	s_lshl_b32 s37, s0, 5
	s_mov_b32 s0, s26
	v_dual_lshrrev_b32 v8, 3, v3 :: v_dual_bitop2_b32 v2, s37, v6 bitop3:0x54
	s_lshl_b32 s26, s34, 5
	v_cmp_neq_f64_e64 s36, s[18:19], 0
	v_dual_add_nc_u32 v16, s26, v7 :: v_dual_bitop2_b32 v39, 7, v0 bitop3:0x40
	s_delay_alu instid0(VALU_DEP_3) | instskip(SKIP_1) | instid1(VALU_DEP_3)
	v_dual_ashrrev_i32 v3, 31, v2 :: v_dual_add_nc_u32 v4, s26, v8
	v_cmp_neq_f64_e64 s34, s[10:11], 0
	v_dual_lshlrev_b32 v0, 4, v6 :: v_dual_lshlrev_b32 v18, 4, v39
	s_delay_alu instid0(VALU_DEP_3) | instskip(NEXT) | instid1(VALU_DEP_4)
	v_mul_u64_e32 v[14:15], s[0:1], v[2:3]
	v_ashrrev_i32_e32 v5, 31, v4
	v_cmp_gt_i32_e64 s0, s6, v2
	v_dual_add_nc_u32 v2, 16, v16 :: v_dual_ashrrev_i32 v17, 31, v16
	v_lshl_or_b32 v40, v38, 9, v0
	s_delay_alu instid0(VALU_DEP_4) | instskip(SKIP_1) | instid1(VALU_DEP_4)
	v_mul_u64_e32 v[20:21], s[2:3], v[4:5]
	v_lshl_or_b32 v5, v8, 7, v18
	v_ashrrev_i32_e32 v3, 31, v2
	v_mul_u64_e32 v[8:9], s[4:5], v[16:17]
	v_mov_b32_e32 v0, 0
	v_cmp_gt_i32_e32 vcc_lo, s6, v4
	v_add_nc_u32_e32 v41, 0x1000, v5
	v_mul_u64_e32 v[10:11], s[4:5], v[2:3]
	s_delay_alu instid0(VALU_DEP_4) | instskip(SKIP_3) | instid1(VALU_DEP_3)
	v_dual_mov_b32 v5, v0 :: v_dual_lshlrev_b32 v4, 4, v38
	v_dual_lshlrev_b32 v42, 4, v1 :: v_dual_add_nc_u32 v6, s37, v1
	v_lshl_add_u32 v43, v7, 7, 0x1000
	v_cmp_gt_i32_e64 s1, s6, v16
	v_dual_add_nc_u32 v12, 16, v6 :: v_dual_ashrrev_i32 v7, 31, v6
	s_or_b32 s35, s35, s36
	v_mov_b32_e32 v19, v0
	s_cmp_gt_i32 s7, 0
	v_cmp_le_i32_e64 s2, v6, v16
	s_cselect_b32 s36, -1, 0
	s_xor_b32 s3, s33, -1
	v_cmp_le_i32_e64 s4, v6, v2
	s_or_b32 s26, s34, s3
	v_lshl_add_u64 v[4:5], v[14:15], 4, v[4:5]
	v_cmp_gt_i32_e64 s3, s6, v2
	v_cmp_le_i32_e64 s5, v12, v2
	v_ashrrev_i32_e32 v13, 31, v12
	s_and_b32 s33, s1, s2
	v_add_nc_u64_e32 v[4:5], s[24:25], v[4:5]
	v_lshl_add_u64 v[2:3], v[20:21], 4, v[18:19]
	v_cmp_le_i32_e64 s2, v12, v16
	s_and_b32 s6, s3, s4
	s_and_b32 s24, s3, s5
	s_lshl_b64 s[4:5], s[8:9], 4
	v_add_nc_u64_e32 v[16:17], s[22:23], v[2:3]
	v_add_nc_u64_e32 v[14:15], 8, v[4:5]
	s_and_b32 s1, s1, s2
	s_and_b32 s22, s35, s36
	s_lshl_b64 s[2:3], s[20:21], 4
	s_xor_b32 s20, vcc_lo, -1
	s_branch .LBB132_7
.LBB132_6:                              ;   in Loop: Header=BB132_7 Depth=1
	s_wait_xcnt 0x0
	s_or_b32 exec_lo, exec_lo, s8
	s_add_co_i32 s28, s28, 0x10000
	s_delay_alu instid0(SALU_CYCLE_1)
	s_cmp_lt_u32 s28, s27
	s_cbranch_scc0 .LBB132_37
.LBB132_7:                              ; =>This Loop Header: Depth=1
                                        ;     Child Loop BB132_10 Depth 2
	v_mov_b64_e32 v[34:35], 0
	v_mov_b64_e32 v[36:37], 0
	;; [unrolled: 1-line block ×8, first 2 shown]
	s_and_not1_b32 vcc_lo, exec_lo, s22
	s_cbranch_vccnz .LBB132_16
; %bb.8:                                ;   in Loop: Header=BB132_7 Depth=1
	v_mad_nc_u64_u32 v[22:23], s2, s28, v[14:15]
	v_mad_nc_u64_u32 v[24:25], s4, s28, v[16:17]
	v_mov_b64_e32 v[18:19], 0
	v_mov_b64_e32 v[20:21], 0
	;; [unrolled: 1-line block ×8, first 2 shown]
	s_mov_b32 s8, 0
	v_mad_u32 v23, s3, s28, v23
	v_mad_u32 v25, s5, s28, v25
	s_branch .LBB132_10
.LBB132_9:                              ;   in Loop: Header=BB132_10 Depth=2
	s_wait_xcnt 0x0
	s_or_b32 exec_lo, exec_lo, s9
	s_wait_dscnt 0x0
	s_barrier_signal -1
	s_barrier_wait -1
	ds_load_b128 v[2:5], v43
	ds_load_b128 v[44:47], v42
	ds_load_b128 v[48:51], v42 offset:256
	ds_load_b128 v[52:55], v43 offset:2048
	;; [unrolled: 1-line block ×10, first 2 shown]
	v_add_nc_u64_e32 v[22:23], 0x80, v[22:23]
	v_add_nc_u64_e32 v[24:25], 0x80, v[24:25]
	s_add_co_i32 s8, s8, 8
	s_delay_alu instid0(SALU_CYCLE_1)
	s_cmp_lt_i32 s8, s7
	s_wait_dscnt 0xa
	v_mul_f64_e32 v[88:89], v[4:5], v[46:47]
	v_mul_f64_e32 v[90:91], v[2:3], v[46:47]
	s_wait_dscnt 0x9
	v_mul_f64_e32 v[92:93], v[4:5], v[50:51]
	v_mul_f64_e32 v[94:95], v[2:3], v[50:51]
	s_wait_dscnt 0x8
	v_mul_f64_e32 v[96:97], v[54:55], v[46:47]
	v_mul_f64_e32 v[98:99], v[52:53], v[46:47]
	v_mul_f64_e32 v[46:47], v[54:55], v[50:51]
	v_mul_f64_e32 v[100:101], v[52:53], v[50:51]
	s_wait_dscnt 0x6
	v_mul_f64_e32 v[102:103], v[58:59], v[62:63]
	v_mul_f64_e32 v[104:105], v[56:57], v[62:63]
	s_wait_dscnt 0x5
	v_mul_f64_e32 v[106:107], v[58:59], v[66:67]
	v_mul_f64_e32 v[108:109], v[56:57], v[66:67]
	s_wait_dscnt 0x4
	v_mul_f64_e32 v[110:111], v[70:71], v[62:63]
	v_mul_f64_e32 v[62:63], v[68:69], v[62:63]
	v_mul_f64_e32 v[112:113], v[70:71], v[66:67]
	v_mul_f64_e32 v[66:67], v[68:69], v[66:67]
	;; [unrolled: 11-line block ×3, first 2 shown]
	v_fma_f64 v[88:89], v[2:3], v[44:45], -v[88:89]
	v_fmac_f64_e32 v[90:91], v[4:5], v[44:45]
	v_fma_f64 v[92:93], v[2:3], v[48:49], -v[92:93]
	v_fmac_f64_e32 v[94:95], v[4:5], v[48:49]
	;; [unrolled: 2-line block ×8, first 2 shown]
	ds_load_b128 v[2:5], v43 offset:48
	ds_load_b128 v[44:47], v43 offset:2096
	ds_load_b128 v[48:51], v42 offset:1536
	ds_load_b128 v[52:55], v42 offset:1792
	v_fma_f64 v[116:117], v[72:73], v[76:77], -v[116:117]
	v_fmac_f64_e32 v[118:119], v[74:75], v[76:77]
	v_fma_f64 v[72:73], v[72:73], v[80:81], -v[120:121]
	v_fmac_f64_e32 v[122:123], v[74:75], v[80:81]
	;; [unrolled: 2-line block ×4, first 2 shown]
	v_add_f64_e32 v[64:65], v[34:35], v[88:89]
	v_add_f64_e32 v[68:69], v[90:91], v[36:37]
	;; [unrolled: 1-line block ×8, first 2 shown]
	s_wait_dscnt 0x1
	v_mul_f64_e32 v[98:99], v[4:5], v[50:51]
	v_mul_f64_e32 v[100:101], v[2:3], v[50:51]
	s_wait_dscnt 0x0
	v_mul_f64_e32 v[106:107], v[4:5], v[54:55]
	v_mul_f64_e32 v[110:111], v[2:3], v[54:55]
	;; [unrolled: 1-line block ×6, first 2 shown]
	ds_load_b128 v[18:21], v43 offset:64
	ds_load_b128 v[26:29], v42 offset:2048
	;; [unrolled: 1-line block ×4, first 2 shown]
	v_add_f64_e32 v[80:81], v[64:65], v[102:103]
	v_add_f64_e32 v[84:85], v[104:105], v[68:69]
	;; [unrolled: 1-line block ×8, first 2 shown]
	s_wait_dscnt 0x2
	v_mul_f64_e32 v[96:97], v[20:21], v[28:29]
	v_mul_f64_e32 v[102:103], v[18:19], v[28:29]
	s_wait_dscnt 0x1
	v_mul_f64_e32 v[104:105], v[20:21], v[32:33]
	v_mul_f64_e32 v[108:109], v[18:19], v[32:33]
	;; [unrolled: 3-line block ×3, first 2 shown]
	v_mul_f64_e32 v[28:29], v[36:37], v[32:33]
	v_mul_f64_e32 v[126:127], v[34:35], v[32:33]
	v_fma_f64 v[32:33], v[2:3], v[48:49], -v[98:99]
	v_fmac_f64_e32 v[100:101], v[4:5], v[48:49]
	v_fma_f64 v[98:99], v[2:3], v[52:53], -v[106:107]
	v_fmac_f64_e32 v[110:111], v[4:5], v[52:53]
	;; [unrolled: 2-line block ×4, first 2 shown]
	ds_load_b128 v[54:57], v43 offset:80
	ds_load_b128 v[58:61], v43 offset:2128
	;; [unrolled: 1-line block ×4, first 2 shown]
	v_add_f64_e32 v[52:53], v[80:81], v[116:117]
	v_add_f64_e32 v[80:81], v[118:119], v[84:85]
	;; [unrolled: 1-line block ×8, first 2 shown]
	v_fma_f64 v[96:97], v[18:19], v[26:27], -v[96:97]
	v_fmac_f64_e32 v[102:103], v[20:21], v[26:27]
	v_fma_f64 v[104:105], v[18:19], v[30:31], -v[104:105]
	s_wait_dscnt 0x1
	v_mul_f64_e32 v[88:89], v[56:57], v[64:65]
	v_mul_f64_e32 v[90:91], v[54:55], v[64:65]
	s_wait_dscnt 0x0
	v_mul_f64_e32 v[92:93], v[56:57], v[68:69]
	v_mul_f64_e32 v[94:95], v[54:55], v[68:69]
	;; [unrolled: 1-line block ×6, first 2 shown]
	v_fmac_f64_e32 v[108:109], v[20:21], v[30:31]
	v_fma_f64 v[120:121], v[34:35], v[26:27], -v[120:121]
	v_fmac_f64_e32 v[124:125], v[36:37], v[26:27]
	v_fma_f64 v[122:123], v[34:35], v[30:31], -v[28:29]
	v_fmac_f64_e32 v[126:127], v[36:37], v[30:31]
	ds_load_b128 v[2:5], v43 offset:96
	ds_load_b128 v[44:47], v42 offset:3072
	;; [unrolled: 1-line block ×4, first 2 shown]
	v_add_f64_e32 v[52:53], v[52:53], v[32:33]
	v_add_f64_e32 v[80:81], v[100:101], v[80:81]
	v_add_f64_e32 v[84:85], v[84:85], v[98:99]
	v_add_f64_e32 v[86:87], v[110:111], v[86:87]
	v_add_f64_e32 v[74:75], v[74:75], v[106:107]
	v_add_f64_e32 v[78:79], v[114:115], v[78:79]
	v_add_f64_e32 v[76:77], v[76:77], v[112:113]
	v_add_f64_e32 v[82:83], v[128:129], v[82:83]
	ds_load_b128 v[18:21], v43 offset:112
	ds_load_b128 v[26:29], v43 offset:2160
	;; [unrolled: 1-line block ×4, first 2 shown]
	s_wait_dscnt 0x0
	v_mul_f64_e32 v[98:99], v[4:5], v[46:47]
	v_mul_f64_e32 v[100:101], v[2:3], v[46:47]
	v_mul_f64_e32 v[106:107], v[4:5], v[50:51]
	v_mul_f64_e32 v[110:111], v[2:3], v[50:51]
	v_mul_f64_e32 v[112:113], v[72:73], v[46:47]
	v_mul_f64_e32 v[46:47], v[70:71], v[46:47]
	v_mul_f64_e32 v[114:115], v[72:73], v[50:51]
	v_mul_f64_e32 v[50:51], v[70:71], v[50:51]
	v_fma_f64 v[88:89], v[54:55], v[62:63], -v[88:89]
	v_fmac_f64_e32 v[90:91], v[56:57], v[62:63]
	v_fma_f64 v[54:55], v[54:55], v[66:67], -v[92:93]
	v_fmac_f64_e32 v[94:95], v[56:57], v[66:67]
	;; [unrolled: 2-line block ×4, first 2 shown]
	s_barrier_signal -1
	s_barrier_wait -1
	v_mul_f64_e32 v[92:93], v[18:19], v[36:37]
	v_add_f64_e32 v[52:53], v[52:53], v[96:97]
	v_add_f64_e32 v[60:61], v[102:103], v[80:81]
	;; [unrolled: 1-line block ×8, first 2 shown]
	v_mul_f64_e32 v[82:83], v[20:21], v[32:33]
	v_mul_f64_e32 v[84:85], v[18:19], v[32:33]
	;; [unrolled: 1-line block ×7, first 2 shown]
	v_fma_f64 v[36:37], v[2:3], v[44:45], -v[98:99]
	v_fmac_f64_e32 v[100:101], v[4:5], v[44:45]
	v_fma_f64 v[2:3], v[2:3], v[48:49], -v[106:107]
	v_fmac_f64_e32 v[110:111], v[4:5], v[48:49]
	;; [unrolled: 2-line block ×4, first 2 shown]
	v_fmac_f64_e32 v[92:93], v[20:21], v[34:35]
	v_add_f64_e32 v[48:49], v[52:53], v[88:89]
	v_add_f64_e32 v[52:53], v[90:91], v[60:61]
	;; [unrolled: 1-line block ×8, first 2 shown]
	v_fma_f64 v[66:67], v[18:19], v[30:31], -v[82:83]
	v_fmac_f64_e32 v[84:85], v[20:21], v[30:31]
	v_fma_f64 v[18:19], v[18:19], v[34:35], -v[86:87]
	v_fma_f64 v[20:21], v[26:27], v[30:31], -v[96:97]
	v_fmac_f64_e32 v[102:103], v[28:29], v[30:31]
	v_fma_f64 v[68:69], v[26:27], v[34:35], -v[32:33]
	v_fmac_f64_e32 v[104:105], v[28:29], v[34:35]
	v_add_f64_e32 v[26:27], v[48:49], v[36:37]
	v_add_f64_e32 v[28:29], v[100:101], v[52:53]
	;; [unrolled: 1-line block ×16, first 2 shown]
	s_cbranch_scc0 .LBB132_16
.LBB132_10:                             ;   Parent Loop BB132_7 Depth=1
                                        ; =>  This Inner Loop Header: Depth=2
	v_add_nc_u32_e32 v1, s8, v38
	v_mov_b64_e32 v[2:3], 0
	v_mov_b64_e32 v[4:5], 0
	s_delay_alu instid0(VALU_DEP_3) | instskip(SKIP_1) | instid1(SALU_CYCLE_1)
	v_cmp_gt_i32_e32 vcc_lo, s7, v1
	s_and_b32 s21, s0, vcc_lo
	s_and_saveexec_b32 s9, s21
	s_cbranch_execz .LBB132_12
; %bb.11:                               ;   in Loop: Header=BB132_10 Depth=2
	global_load_b128 v[2:5], v[22:23], off offset:-8
	s_wait_loadcnt 0x0
	v_xor_b32_e32 v5, 0x80000000, v5
.LBB132_12:                             ;   in Loop: Header=BB132_10 Depth=2
	s_wait_xcnt 0x0
	s_or_b32 exec_lo, exec_lo, s9
	v_add_nc_u32_e32 v1, s8, v39
	ds_store_b128 v40, v[2:5]
	v_cmp_le_i32_e32 vcc_lo, s7, v1
	s_or_b32 s9, vcc_lo, s20
	s_delay_alu instid0(SALU_CYCLE_1) | instskip(NEXT) | instid1(SALU_CYCLE_1)
	s_and_saveexec_b32 s21, s9
	s_xor_b32 s9, exec_lo, s21
; %bb.13:                               ;   in Loop: Header=BB132_10 Depth=2
	v_dual_mov_b32 v1, v0 :: v_dual_mov_b32 v2, v0
	v_mov_b32_e32 v3, v0
	ds_store_b128 v41, v[0:3]
; %bb.14:                               ;   in Loop: Header=BB132_10 Depth=2
	s_and_not1_saveexec_b32 s9, s9
	s_cbranch_execz .LBB132_9
; %bb.15:                               ;   in Loop: Header=BB132_10 Depth=2
	global_load_b128 v[2:5], v[24:25], off
	s_wait_loadcnt 0x0
	ds_store_2addr_b64 v41, v[2:3], v[4:5] offset1:1
	s_branch .LBB132_9
.LBB132_16:                             ;   in Loop: Header=BB132_7 Depth=1
	s_mul_u64 s[8:9], s[30:31], s[28:29]
	s_delay_alu instid0(SALU_CYCLE_1) | instskip(NEXT) | instid1(SALU_CYCLE_1)
	s_lshl_b64 s[8:9], s[8:9], 4
	s_add_nc_u64 s[8:9], s[14:15], s[8:9]
	s_delay_alu instid0(SALU_CYCLE_1)
	v_lshl_add_u64 v[22:23], v[8:9], 4, s[8:9]
	s_and_saveexec_b32 s21, s33
	s_cbranch_execz .LBB132_21
; %bb.17:                               ;   in Loop: Header=BB132_7 Depth=1
	v_mul_f64_e32 v[2:3], s[18:19], v[36:37]
	v_mul_f64_e32 v[4:5], s[16:17], v[36:37]
	v_lshl_add_u64 v[24:25], v[6:7], 4, v[22:23]
	s_and_b32 vcc_lo, exec_lo, s26
	s_mov_b32 s23, -1
	s_delay_alu instid0(VALU_DEP_3) | instskip(NEXT) | instid1(VALU_DEP_3)
	v_fma_f64 v[2:3], s[16:17], v[34:35], -v[2:3]
	v_fmac_f64_e32 v[4:5], s[18:19], v[34:35]
	s_cbranch_vccz .LBB132_19
; %bb.18:                               ;   in Loop: Header=BB132_7 Depth=1
	global_load_b128 v[34:37], v[24:25], off
	s_mov_b32 s23, 0
	s_wait_loadcnt 0x0
	v_mul_f64_e32 v[44:45], s[12:13], v[36:37]
	v_mul_f64_e32 v[36:37], s[10:11], v[36:37]
	s_delay_alu instid0(VALU_DEP_2) | instskip(NEXT) | instid1(VALU_DEP_2)
	v_fma_f64 v[44:45], s[10:11], v[34:35], -v[44:45]
	v_fmac_f64_e32 v[36:37], s[12:13], v[34:35]
	s_delay_alu instid0(VALU_DEP_2) | instskip(NEXT) | instid1(VALU_DEP_2)
	v_add_f64_e32 v[34:35], v[2:3], v[44:45]
	v_add_f64_e32 v[36:37], v[4:5], v[36:37]
	global_store_b128 v[24:25], v[34:37], off
.LBB132_19:                             ;   in Loop: Header=BB132_7 Depth=1
	s_and_not1_b32 vcc_lo, exec_lo, s23
	s_cbranch_vccnz .LBB132_21
; %bb.20:                               ;   in Loop: Header=BB132_7 Depth=1
	global_store_b128 v[24:25], v[2:5], off
.LBB132_21:                             ;   in Loop: Header=BB132_7 Depth=1
	s_wait_xcnt 0x0
	s_or_b32 exec_lo, exec_lo, s21
	s_and_saveexec_b32 s21, s1
	s_cbranch_execz .LBB132_26
; %bb.22:                               ;   in Loop: Header=BB132_7 Depth=1
	v_mul_f64_e32 v[2:3], s[18:19], v[32:33]
	v_mul_f64_e32 v[4:5], s[16:17], v[32:33]
	v_lshl_add_u64 v[22:23], v[12:13], 4, v[22:23]
	s_and_not1_b32 vcc_lo, exec_lo, s26
	s_mov_b32 s23, -1
	s_delay_alu instid0(VALU_DEP_3) | instskip(NEXT) | instid1(VALU_DEP_3)
	v_fma_f64 v[2:3], s[16:17], v[30:31], -v[2:3]
	v_fmac_f64_e32 v[4:5], s[18:19], v[30:31]
	s_cbranch_vccnz .LBB132_24
; %bb.23:                               ;   in Loop: Header=BB132_7 Depth=1
	global_load_b128 v[30:33], v[22:23], off
	s_mov_b32 s23, 0
	s_wait_loadcnt 0x0
	v_mul_f64_e32 v[24:25], s[12:13], v[32:33]
	v_mul_f64_e32 v[32:33], s[10:11], v[32:33]
	s_delay_alu instid0(VALU_DEP_2) | instskip(NEXT) | instid1(VALU_DEP_2)
	v_fma_f64 v[24:25], s[10:11], v[30:31], -v[24:25]
	v_fmac_f64_e32 v[32:33], s[12:13], v[30:31]
	s_delay_alu instid0(VALU_DEP_2) | instskip(NEXT) | instid1(VALU_DEP_2)
	v_add_f64_e32 v[30:31], v[2:3], v[24:25]
	v_add_f64_e32 v[32:33], v[4:5], v[32:33]
	global_store_b128 v[22:23], v[30:33], off
.LBB132_24:                             ;   in Loop: Header=BB132_7 Depth=1
	s_and_not1_b32 vcc_lo, exec_lo, s23
	s_cbranch_vccnz .LBB132_26
; %bb.25:                               ;   in Loop: Header=BB132_7 Depth=1
	global_store_b128 v[22:23], v[2:5], off
.LBB132_26:                             ;   in Loop: Header=BB132_7 Depth=1
	s_wait_xcnt 0x0
	s_or_b32 exec_lo, exec_lo, s21
	v_lshl_add_u64 v[22:23], v[10:11], 4, s[8:9]
	s_and_saveexec_b32 s8, s6
	s_cbranch_execz .LBB132_31
; %bb.27:                               ;   in Loop: Header=BB132_7 Depth=1
	v_mul_f64_e32 v[2:3], s[18:19], v[28:29]
	v_mul_f64_e32 v[4:5], s[16:17], v[28:29]
	v_lshl_add_u64 v[24:25], v[6:7], 4, v[22:23]
	s_and_not1_b32 vcc_lo, exec_lo, s26
	s_mov_b32 s9, -1
	s_delay_alu instid0(VALU_DEP_3) | instskip(NEXT) | instid1(VALU_DEP_3)
	v_fma_f64 v[2:3], s[16:17], v[26:27], -v[2:3]
	v_fmac_f64_e32 v[4:5], s[18:19], v[26:27]
	s_cbranch_vccnz .LBB132_29
; %bb.28:                               ;   in Loop: Header=BB132_7 Depth=1
	global_load_b128 v[26:29], v[24:25], off
	s_mov_b32 s9, 0
	s_wait_loadcnt 0x0
	v_mul_f64_e32 v[30:31], s[12:13], v[28:29]
	v_mul_f64_e32 v[28:29], s[10:11], v[28:29]
	s_delay_alu instid0(VALU_DEP_2) | instskip(NEXT) | instid1(VALU_DEP_2)
	v_fma_f64 v[30:31], s[10:11], v[26:27], -v[30:31]
	v_fmac_f64_e32 v[28:29], s[12:13], v[26:27]
	s_delay_alu instid0(VALU_DEP_2) | instskip(NEXT) | instid1(VALU_DEP_2)
	v_add_f64_e32 v[26:27], v[2:3], v[30:31]
	v_add_f64_e32 v[28:29], v[4:5], v[28:29]
	global_store_b128 v[24:25], v[26:29], off
.LBB132_29:                             ;   in Loop: Header=BB132_7 Depth=1
	s_and_not1_b32 vcc_lo, exec_lo, s9
	s_cbranch_vccnz .LBB132_31
; %bb.30:                               ;   in Loop: Header=BB132_7 Depth=1
	global_store_b128 v[24:25], v[2:5], off
.LBB132_31:                             ;   in Loop: Header=BB132_7 Depth=1
	s_wait_xcnt 0x0
	s_or_b32 exec_lo, exec_lo, s8
	s_and_saveexec_b32 s8, s24
	s_cbranch_execz .LBB132_6
; %bb.32:                               ;   in Loop: Header=BB132_7 Depth=1
	s_delay_alu instid0(VALU_DEP_3) | instskip(SKIP_4) | instid1(VALU_DEP_3)
	v_mul_f64_e32 v[2:3], s[18:19], v[18:19]
	v_mul_f64_e32 v[4:5], s[16:17], v[18:19]
	v_lshl_add_u64 v[18:19], v[12:13], 4, v[22:23]
	s_and_not1_b32 vcc_lo, exec_lo, s26
	s_mov_b32 s9, -1
	v_fma_f64 v[2:3], s[16:17], v[20:21], -v[2:3]
	s_delay_alu instid0(VALU_DEP_3)
	v_fmac_f64_e32 v[4:5], s[18:19], v[20:21]
	s_cbranch_vccnz .LBB132_34
; %bb.33:                               ;   in Loop: Header=BB132_7 Depth=1
	global_load_b128 v[20:23], v[18:19], off
	s_mov_b32 s9, 0
	s_wait_loadcnt 0x0
	v_mul_f64_e32 v[24:25], s[12:13], v[22:23]
	v_mul_f64_e32 v[22:23], s[10:11], v[22:23]
	s_delay_alu instid0(VALU_DEP_2) | instskip(NEXT) | instid1(VALU_DEP_2)
	v_fma_f64 v[24:25], s[10:11], v[20:21], -v[24:25]
	v_fmac_f64_e32 v[22:23], s[12:13], v[20:21]
	s_delay_alu instid0(VALU_DEP_2) | instskip(NEXT) | instid1(VALU_DEP_2)
	v_add_f64_e32 v[20:21], v[2:3], v[24:25]
	v_add_f64_e32 v[22:23], v[4:5], v[22:23]
	global_store_b128 v[18:19], v[20:23], off
.LBB132_34:                             ;   in Loop: Header=BB132_7 Depth=1
	s_and_not1_b32 vcc_lo, exec_lo, s9
	s_cbranch_vccnz .LBB132_6
; %bb.35:                               ;   in Loop: Header=BB132_7 Depth=1
	global_store_b128 v[18:19], v[2:5], off
	s_branch .LBB132_6
.LBB132_36:
.LBB132_37:
	s_sendmsg sendmsg(MSG_DEALLOC_VGPRS)
	s_endpgm
	.section	.rodata,"a",@progbits
	.p2align	6, 0x0
	.amdhsa_kernel _ZL29rocblas_internal_gemmt_kernelIiLi16ELi32ELi8ELc67ELc78ELc85ELb1ELb0E19rocblas_complex_numIdES1_PKS1_PS1_EviT_T9_T10_S5_lS7_S5_lS6_T11_S5_li
		.amdhsa_group_segment_fixed_size 8192
		.amdhsa_private_segment_fixed_size 0
		.amdhsa_kernarg_size 116
		.amdhsa_user_sgpr_count 2
		.amdhsa_user_sgpr_dispatch_ptr 0
		.amdhsa_user_sgpr_queue_ptr 0
		.amdhsa_user_sgpr_kernarg_segment_ptr 1
		.amdhsa_user_sgpr_dispatch_id 0
		.amdhsa_user_sgpr_kernarg_preload_length 0
		.amdhsa_user_sgpr_kernarg_preload_offset 0
		.amdhsa_user_sgpr_private_segment_size 0
		.amdhsa_wavefront_size32 1
		.amdhsa_uses_dynamic_stack 0
		.amdhsa_enable_private_segment 0
		.amdhsa_system_sgpr_workgroup_id_x 1
		.amdhsa_system_sgpr_workgroup_id_y 1
		.amdhsa_system_sgpr_workgroup_id_z 1
		.amdhsa_system_sgpr_workgroup_info 0
		.amdhsa_system_vgpr_workitem_id 1
		.amdhsa_next_free_vgpr 130
		.amdhsa_next_free_sgpr 41
		.amdhsa_named_barrier_count 0
		.amdhsa_reserve_vcc 1
		.amdhsa_float_round_mode_32 0
		.amdhsa_float_round_mode_16_64 0
		.amdhsa_float_denorm_mode_32 3
		.amdhsa_float_denorm_mode_16_64 3
		.amdhsa_fp16_overflow 0
		.amdhsa_memory_ordered 1
		.amdhsa_forward_progress 1
		.amdhsa_inst_pref_size 23
		.amdhsa_round_robin_scheduling 0
		.amdhsa_exception_fp_ieee_invalid_op 0
		.amdhsa_exception_fp_denorm_src 0
		.amdhsa_exception_fp_ieee_div_zero 0
		.amdhsa_exception_fp_ieee_overflow 0
		.amdhsa_exception_fp_ieee_underflow 0
		.amdhsa_exception_fp_ieee_inexact 0
		.amdhsa_exception_int_div_zero 0
	.end_amdhsa_kernel
	.section	.text._ZL29rocblas_internal_gemmt_kernelIiLi16ELi32ELi8ELc67ELc78ELc85ELb1ELb0E19rocblas_complex_numIdES1_PKS1_PS1_EviT_T9_T10_S5_lS7_S5_lS6_T11_S5_li,"axG",@progbits,_ZL29rocblas_internal_gemmt_kernelIiLi16ELi32ELi8ELc67ELc78ELc85ELb1ELb0E19rocblas_complex_numIdES1_PKS1_PS1_EviT_T9_T10_S5_lS7_S5_lS6_T11_S5_li,comdat
.Lfunc_end132:
	.size	_ZL29rocblas_internal_gemmt_kernelIiLi16ELi32ELi8ELc67ELc78ELc85ELb1ELb0E19rocblas_complex_numIdES1_PKS1_PS1_EviT_T9_T10_S5_lS7_S5_lS6_T11_S5_li, .Lfunc_end132-_ZL29rocblas_internal_gemmt_kernelIiLi16ELi32ELi8ELc67ELc78ELc85ELb1ELb0E19rocblas_complex_numIdES1_PKS1_PS1_EviT_T9_T10_S5_lS7_S5_lS6_T11_S5_li
                                        ; -- End function
	.set _ZL29rocblas_internal_gemmt_kernelIiLi16ELi32ELi8ELc67ELc78ELc85ELb1ELb0E19rocblas_complex_numIdES1_PKS1_PS1_EviT_T9_T10_S5_lS7_S5_lS6_T11_S5_li.num_vgpr, 130
	.set _ZL29rocblas_internal_gemmt_kernelIiLi16ELi32ELi8ELc67ELc78ELc85ELb1ELb0E19rocblas_complex_numIdES1_PKS1_PS1_EviT_T9_T10_S5_lS7_S5_lS6_T11_S5_li.num_agpr, 0
	.set _ZL29rocblas_internal_gemmt_kernelIiLi16ELi32ELi8ELc67ELc78ELc85ELb1ELb0E19rocblas_complex_numIdES1_PKS1_PS1_EviT_T9_T10_S5_lS7_S5_lS6_T11_S5_li.numbered_sgpr, 41
	.set _ZL29rocblas_internal_gemmt_kernelIiLi16ELi32ELi8ELc67ELc78ELc85ELb1ELb0E19rocblas_complex_numIdES1_PKS1_PS1_EviT_T9_T10_S5_lS7_S5_lS6_T11_S5_li.num_named_barrier, 0
	.set _ZL29rocblas_internal_gemmt_kernelIiLi16ELi32ELi8ELc67ELc78ELc85ELb1ELb0E19rocblas_complex_numIdES1_PKS1_PS1_EviT_T9_T10_S5_lS7_S5_lS6_T11_S5_li.private_seg_size, 0
	.set _ZL29rocblas_internal_gemmt_kernelIiLi16ELi32ELi8ELc67ELc78ELc85ELb1ELb0E19rocblas_complex_numIdES1_PKS1_PS1_EviT_T9_T10_S5_lS7_S5_lS6_T11_S5_li.uses_vcc, 1
	.set _ZL29rocblas_internal_gemmt_kernelIiLi16ELi32ELi8ELc67ELc78ELc85ELb1ELb0E19rocblas_complex_numIdES1_PKS1_PS1_EviT_T9_T10_S5_lS7_S5_lS6_T11_S5_li.uses_flat_scratch, 0
	.set _ZL29rocblas_internal_gemmt_kernelIiLi16ELi32ELi8ELc67ELc78ELc85ELb1ELb0E19rocblas_complex_numIdES1_PKS1_PS1_EviT_T9_T10_S5_lS7_S5_lS6_T11_S5_li.has_dyn_sized_stack, 0
	.set _ZL29rocblas_internal_gemmt_kernelIiLi16ELi32ELi8ELc67ELc78ELc85ELb1ELb0E19rocblas_complex_numIdES1_PKS1_PS1_EviT_T9_T10_S5_lS7_S5_lS6_T11_S5_li.has_recursion, 0
	.set _ZL29rocblas_internal_gemmt_kernelIiLi16ELi32ELi8ELc67ELc78ELc85ELb1ELb0E19rocblas_complex_numIdES1_PKS1_PS1_EviT_T9_T10_S5_lS7_S5_lS6_T11_S5_li.has_indirect_call, 0
	.section	.AMDGPU.csdata,"",@progbits
; Kernel info:
; codeLenInByte = 2920
; TotalNumSgprs: 43
; NumVgprs: 130
; ScratchSize: 0
; MemoryBound: 1
; FloatMode: 240
; IeeeMode: 1
; LDSByteSize: 8192 bytes/workgroup (compile time only)
; SGPRBlocks: 0
; VGPRBlocks: 8
; NumSGPRsForWavesPerEU: 43
; NumVGPRsForWavesPerEU: 130
; NamedBarCnt: 0
; Occupancy: 7
; WaveLimiterHint : 0
; COMPUTE_PGM_RSRC2:SCRATCH_EN: 0
; COMPUTE_PGM_RSRC2:USER_SGPR: 2
; COMPUTE_PGM_RSRC2:TRAP_HANDLER: 0
; COMPUTE_PGM_RSRC2:TGID_X_EN: 1
; COMPUTE_PGM_RSRC2:TGID_Y_EN: 1
; COMPUTE_PGM_RSRC2:TGID_Z_EN: 1
; COMPUTE_PGM_RSRC2:TIDIG_COMP_CNT: 1
	.section	.text._ZL29rocblas_internal_gemmt_kernelIiLi16ELi32ELi8ELc67ELc84ELc85ELb1ELb0E19rocblas_complex_numIdES1_PKS1_PS1_EviT_T9_T10_S5_lS7_S5_lS6_T11_S5_li,"axG",@progbits,_ZL29rocblas_internal_gemmt_kernelIiLi16ELi32ELi8ELc67ELc84ELc85ELb1ELb0E19rocblas_complex_numIdES1_PKS1_PS1_EviT_T9_T10_S5_lS7_S5_lS6_T11_S5_li,comdat
	.globl	_ZL29rocblas_internal_gemmt_kernelIiLi16ELi32ELi8ELc67ELc84ELc85ELb1ELb0E19rocblas_complex_numIdES1_PKS1_PS1_EviT_T9_T10_S5_lS7_S5_lS6_T11_S5_li ; -- Begin function _ZL29rocblas_internal_gemmt_kernelIiLi16ELi32ELi8ELc67ELc84ELc85ELb1ELb0E19rocblas_complex_numIdES1_PKS1_PS1_EviT_T9_T10_S5_lS7_S5_lS6_T11_S5_li
	.p2align	8
	.type	_ZL29rocblas_internal_gemmt_kernelIiLi16ELi32ELi8ELc67ELc84ELc85ELb1ELb0E19rocblas_complex_numIdES1_PKS1_PS1_EviT_T9_T10_S5_lS7_S5_lS6_T11_S5_li,@function
_ZL29rocblas_internal_gemmt_kernelIiLi16ELi32ELi8ELc67ELc84ELc85ELb1ELb0E19rocblas_complex_numIdES1_PKS1_PS1_EviT_T9_T10_S5_lS7_S5_lS6_T11_S5_li: ; @_ZL29rocblas_internal_gemmt_kernelIiLi16ELi32ELi8ELc67ELc84ELc85ELb1ELb0E19rocblas_complex_numIdES1_PKS1_PS1_EviT_T9_T10_S5_lS7_S5_lS6_T11_S5_li
; %bb.0:
	s_clause 0x2
	s_load_b256 s[8:15], s[0:1], 0x40
	s_load_b64 s[6:7], s[0:1], 0x0
	s_load_b128 s[16:19], s[0:1], 0x8
	s_wait_kmcnt 0x0
	v_cmp_eq_f64_e64 s2, s[10:11], 1.0
	v_cmp_eq_f64_e64 s4, s[12:13], 0
	s_and_b32 s2, s2, s4
	s_delay_alu instid0(SALU_CYCLE_1)
	s_and_not1_b32 vcc_lo, exec_lo, s2
	s_mov_b32 s2, -1
	s_cbranch_vccnz .LBB133_3
; %bb.1:
	s_cmp_lg_u32 s7, 0
	s_cbranch_scc0 .LBB133_36
; %bb.2:
	v_cmp_neq_f64_e64 s2, s[16:17], 0
	v_cmp_neq_f64_e64 s3, s[18:19], 0
	s_or_b32 s2, s2, s3
.LBB133_3:
	s_delay_alu instid0(SALU_CYCLE_1)
	s_and_b32 vcc_lo, exec_lo, s2
	s_cbranch_vccz .LBB133_37
; %bb.4:
	s_load_b32 s27, s[0:1], 0x70
	s_bfe_u32 s2, ttmp6, 0x40014
	s_lshr_b32 s3, ttmp7, 16
	s_add_co_i32 s2, s2, 1
	s_bfe_u32 s20, ttmp6, 0x40008
	s_mul_i32 s2, s3, s2
	s_getreg_b32 s5, hwreg(HW_REG_IB_STS2, 6, 4)
	s_add_co_i32 s20, s20, s2
	s_cmp_eq_u32 s5, 0
	s_mov_b32 s29, 0
	s_cselect_b32 s28, s3, s20
	s_wait_kmcnt 0x0
	s_cmp_ge_u32 s28, s27
	s_cbranch_scc1 .LBB133_37
; %bb.5:
	s_clause 0x2
	s_load_b96 s[24:26], s[0:1], 0x18
	s_load_b32 s34, s[0:1], 0x38
	s_load_b32 s2, s[0:1], 0x60
	v_and_b32_e32 v1, 0x3ff, v0
	v_bfe_u32 v9, v0, 10, 10
	s_clause 0x1
	s_load_b128 s[20:23], s[0:1], 0x28
	s_load_b64 s[30:31], s[0:1], 0x68
	s_wait_xcnt 0x0
	s_bfe_u32 s1, ttmp6, 0x4000c
	s_bfe_u32 s3, ttmp6, 0x40010
	s_and_b32 s37, ttmp7, 0xffff
	s_add_co_i32 s1, s1, 1
	s_add_co_i32 s3, s3, 1
	v_lshl_add_u32 v3, v9, 4, v1
	s_and_b32 s0, ttmp6, 15
	s_mul_i32 s38, ttmp9, s1
	s_mul_i32 s39, s37, s3
	s_bfe_u32 s40, ttmp6, 0x40004
	s_add_co_i32 s0, s0, s38
	s_add_co_i32 s40, s40, s39
	v_dual_lshrrev_b32 v40, 5, v3 :: v_dual_bitop2_b32 v5, 31, v3 bitop3:0x40
	s_wait_kmcnt 0x0
	s_ashr_i32 s1, s26, 31
	s_ashr_i32 s35, s34, 31
	;; [unrolled: 1-line block ×3, first 2 shown]
	s_cmp_eq_u32 s5, 0
	v_cmp_neq_f64_e64 s33, s[16:17], 0
	s_cselect_b32 s0, ttmp9, s0
	s_cselect_b32 s5, s37, s40
	s_lshl_b32 s37, s0, 5
	s_lshl_b32 s5, s5, 5
	v_dual_lshrrev_b32 v8, 3, v3 :: v_dual_bitop2_b32 v2, s37, v5 bitop3:0x54
	v_and_b32_e32 v6, 7, v0
	s_mov_b32 s0, s26
	v_cmp_neq_f64_e64 s36, s[18:19], 0
	s_delay_alu instid0(VALU_DEP_3) | instskip(SKIP_2) | instid1(VALU_DEP_3)
	v_dual_ashrrev_i32 v3, 31, v2 :: v_dual_add_nc_u32 v4, s5, v8
	v_dual_mov_b32 v0, 0 :: v_dual_add_nc_u32 v18, s5, v9
	v_cmp_neq_f64_e64 s26, s[10:11], 0
	v_mul_u64_e32 v[16:17], s[0:1], v[2:3]
	s_delay_alu instid0(VALU_DEP_3) | instskip(SKIP_3) | instid1(VALU_DEP_4)
	v_dual_lshlrev_b32 v3, 4, v6 :: v_dual_mov_b32 v7, v0
	v_lshlrev_b32_e32 v5, 4, v5
	v_cmp_gt_i32_e64 s0, s6, v2
	v_add_nc_u32_e32 v2, 16, v18
	v_lshl_or_b32 v3, v8, 7, v3
	v_mul_u64_e32 v[20:21], s[34:35], v[6:7]
	v_lshl_or_b32 v7, v40, 9, v5
	v_dual_mov_b32 v23, v0 :: v_dual_lshlrev_b32 v22, 4, v40
	s_delay_alu instid0(VALU_DEP_4) | instskip(SKIP_3) | instid1(VALU_DEP_3)
	v_add_nc_u32_e32 v41, 0x1000, v3
	v_ashrrev_i32_e32 v3, 31, v2
	v_dual_ashrrev_i32 v19, 31, v18 :: v_dual_ashrrev_i32 v5, 31, v4
	v_dual_lshlrev_b32 v42, 4, v1 :: v_dual_add_nc_u32 v8, s37, v1
	v_mul_u64_e32 v[12:13], s[2:3], v[2:3]
	s_delay_alu instid0(VALU_DEP_3)
	v_mul_u64_e32 v[10:11], s[2:3], v[18:19]
	v_cmp_gt_i32_e32 vcc_lo, s6, v4
	v_lshlrev_b64_e32 v[4:5], 4, v[4:5]
	v_add_nc_u32_e32 v14, 16, v8
	v_lshl_add_u32 v43, v9, 7, 0x1000
	v_cmp_gt_i32_e64 s1, s6, v18
	v_cmp_le_i32_e64 s2, v8, v18
	v_ashrrev_i32_e32 v9, 31, v8
	s_or_b32 s36, s33, s36
	s_cmp_gt_i32 s7, 0
	v_cmp_le_i32_e64 s5, v14, v2
	s_cselect_b32 s38, -1, 0
	s_xor_b32 s3, s4, -1
	v_cmp_le_i32_e64 s4, v8, v2
	v_lshl_add_u64 v[16:17], v[16:17], 4, v[22:23]
	s_or_b32 s26, s26, s3
	v_cmp_gt_i32_e64 s3, s6, v2
	s_and_b32 s33, s1, s2
	v_cmp_le_i32_e64 s2, v14, v18
	v_add_nc_u64_e32 v[16:17], s[24:25], v[16:17]
	v_ashrrev_i32_e32 v15, 31, v14
	v_lshl_add_u64 v[2:3], v[20:21], 4, v[4:5]
	s_and_b32 s6, s3, s4
	s_and_b32 s1, s1, s2
	s_and_b32 s24, s3, s5
	s_lshl_b64 s[2:3], s[20:21], 4
	v_add_nc_u64_e32 v[16:17], 8, v[16:17]
	v_add_nc_u64_e32 v[18:19], s[22:23], v[2:3]
	s_and_b32 s22, s36, s38
	s_lshl_b64 s[4:5], s[8:9], 4
	s_lshl_b64 s[8:9], s[34:35], 7
	s_xor_b32 s23, vcc_lo, -1
	s_branch .LBB133_7
.LBB133_6:                              ;   in Loop: Header=BB133_7 Depth=1
	s_wait_xcnt 0x0
	s_or_b32 exec_lo, exec_lo, s20
	s_add_co_i32 s28, s28, 0x10000
	s_delay_alu instid0(SALU_CYCLE_1)
	s_cmp_lt_u32 s28, s27
	s_cbranch_scc0 .LBB133_37
.LBB133_7:                              ; =>This Loop Header: Depth=1
                                        ;     Child Loop BB133_10 Depth 2
	v_mov_b64_e32 v[36:37], 0
	v_mov_b64_e32 v[38:39], 0
	;; [unrolled: 1-line block ×8, first 2 shown]
	s_and_not1_b32 vcc_lo, exec_lo, s22
	s_cbranch_vccnz .LBB133_16
; %bb.8:                                ;   in Loop: Header=BB133_7 Depth=1
	v_mad_nc_u64_u32 v[24:25], s2, s28, v[16:17]
	v_mad_nc_u64_u32 v[26:27], s4, s28, v[18:19]
	v_mov_b64_e32 v[20:21], 0
	v_mov_b64_e32 v[22:23], 0
	;; [unrolled: 1-line block ×8, first 2 shown]
	s_mov_b32 s20, 0
	v_mad_u32 v25, s3, s28, v25
	v_mad_u32 v27, s5, s28, v27
	s_branch .LBB133_10
.LBB133_9:                              ;   in Loop: Header=BB133_10 Depth=2
	s_wait_xcnt 0x0
	s_or_b32 exec_lo, exec_lo, s21
	s_wait_dscnt 0x0
	s_barrier_signal -1
	s_barrier_wait -1
	ds_load_b128 v[2:5], v43
	ds_load_b128 v[44:47], v42
	ds_load_b128 v[48:51], v42 offset:256
	ds_load_b128 v[52:55], v43 offset:2048
	;; [unrolled: 1-line block ×10, first 2 shown]
	v_add_nc_u64_e32 v[24:25], 0x80, v[24:25]
	v_add_nc_u64_e32 v[26:27], s[8:9], v[26:27]
	s_add_co_i32 s20, s20, 8
	s_delay_alu instid0(SALU_CYCLE_1)
	s_cmp_lt_i32 s20, s7
	s_wait_dscnt 0xa
	v_mul_f64_e32 v[88:89], v[4:5], v[46:47]
	v_mul_f64_e32 v[90:91], v[2:3], v[46:47]
	s_wait_dscnt 0x9
	v_mul_f64_e32 v[92:93], v[4:5], v[50:51]
	v_mul_f64_e32 v[94:95], v[2:3], v[50:51]
	s_wait_dscnt 0x8
	v_mul_f64_e32 v[96:97], v[54:55], v[46:47]
	v_mul_f64_e32 v[98:99], v[52:53], v[46:47]
	v_mul_f64_e32 v[46:47], v[54:55], v[50:51]
	v_mul_f64_e32 v[100:101], v[52:53], v[50:51]
	s_wait_dscnt 0x6
	v_mul_f64_e32 v[102:103], v[58:59], v[62:63]
	v_mul_f64_e32 v[104:105], v[56:57], v[62:63]
	s_wait_dscnt 0x5
	v_mul_f64_e32 v[106:107], v[58:59], v[66:67]
	v_mul_f64_e32 v[108:109], v[56:57], v[66:67]
	s_wait_dscnt 0x4
	v_mul_f64_e32 v[110:111], v[70:71], v[62:63]
	v_mul_f64_e32 v[62:63], v[68:69], v[62:63]
	v_mul_f64_e32 v[112:113], v[70:71], v[66:67]
	v_mul_f64_e32 v[66:67], v[68:69], v[66:67]
	;; [unrolled: 11-line block ×3, first 2 shown]
	v_fma_f64 v[88:89], v[2:3], v[44:45], -v[88:89]
	v_fmac_f64_e32 v[90:91], v[4:5], v[44:45]
	v_fma_f64 v[92:93], v[2:3], v[48:49], -v[92:93]
	v_fmac_f64_e32 v[94:95], v[4:5], v[48:49]
	;; [unrolled: 2-line block ×8, first 2 shown]
	ds_load_b128 v[2:5], v43 offset:48
	ds_load_b128 v[44:47], v43 offset:2096
	;; [unrolled: 1-line block ×4, first 2 shown]
	v_fma_f64 v[116:117], v[72:73], v[76:77], -v[116:117]
	v_fmac_f64_e32 v[118:119], v[74:75], v[76:77]
	v_fma_f64 v[72:73], v[72:73], v[80:81], -v[120:121]
	v_fmac_f64_e32 v[122:123], v[74:75], v[80:81]
	;; [unrolled: 2-line block ×4, first 2 shown]
	v_add_f64_e32 v[64:65], v[36:37], v[88:89]
	v_add_f64_e32 v[68:69], v[90:91], v[38:39]
	;; [unrolled: 1-line block ×8, first 2 shown]
	s_wait_dscnt 0x1
	v_mul_f64_e32 v[98:99], v[4:5], v[50:51]
	v_mul_f64_e32 v[100:101], v[2:3], v[50:51]
	s_wait_dscnt 0x0
	v_mul_f64_e32 v[106:107], v[4:5], v[54:55]
	v_mul_f64_e32 v[110:111], v[2:3], v[54:55]
	;; [unrolled: 1-line block ×6, first 2 shown]
	ds_load_b128 v[20:23], v43 offset:64
	ds_load_b128 v[28:31], v42 offset:2048
	;; [unrolled: 1-line block ×4, first 2 shown]
	v_add_f64_e32 v[80:81], v[64:65], v[102:103]
	v_add_f64_e32 v[84:85], v[104:105], v[68:69]
	;; [unrolled: 1-line block ×8, first 2 shown]
	s_wait_dscnt 0x2
	v_mul_f64_e32 v[96:97], v[22:23], v[30:31]
	v_mul_f64_e32 v[102:103], v[20:21], v[30:31]
	s_wait_dscnt 0x1
	v_mul_f64_e32 v[104:105], v[22:23], v[34:35]
	v_mul_f64_e32 v[108:109], v[20:21], v[34:35]
	;; [unrolled: 3-line block ×3, first 2 shown]
	v_mul_f64_e32 v[30:31], v[38:39], v[34:35]
	v_mul_f64_e32 v[126:127], v[36:37], v[34:35]
	v_fma_f64 v[34:35], v[2:3], v[48:49], -v[98:99]
	v_fmac_f64_e32 v[100:101], v[4:5], v[48:49]
	v_fma_f64 v[98:99], v[2:3], v[52:53], -v[106:107]
	v_fmac_f64_e32 v[110:111], v[4:5], v[52:53]
	;; [unrolled: 2-line block ×4, first 2 shown]
	ds_load_b128 v[54:57], v43 offset:80
	ds_load_b128 v[58:61], v43 offset:2128
	ds_load_b128 v[62:65], v42 offset:2560
	ds_load_b128 v[66:69], v42 offset:2816
	v_add_f64_e32 v[52:53], v[80:81], v[116:117]
	v_add_f64_e32 v[80:81], v[118:119], v[84:85]
	;; [unrolled: 1-line block ×8, first 2 shown]
	v_fma_f64 v[96:97], v[20:21], v[28:29], -v[96:97]
	v_fmac_f64_e32 v[102:103], v[22:23], v[28:29]
	v_fma_f64 v[104:105], v[20:21], v[32:33], -v[104:105]
	s_wait_dscnt 0x1
	v_mul_f64_e32 v[88:89], v[56:57], v[64:65]
	v_mul_f64_e32 v[90:91], v[54:55], v[64:65]
	s_wait_dscnt 0x0
	v_mul_f64_e32 v[92:93], v[56:57], v[68:69]
	v_mul_f64_e32 v[94:95], v[54:55], v[68:69]
	v_mul_f64_e32 v[116:117], v[60:61], v[64:65]
	v_mul_f64_e32 v[64:65], v[58:59], v[64:65]
	v_mul_f64_e32 v[118:119], v[60:61], v[68:69]
	v_mul_f64_e32 v[68:69], v[58:59], v[68:69]
	v_fmac_f64_e32 v[108:109], v[22:23], v[32:33]
	v_fma_f64 v[120:121], v[36:37], v[28:29], -v[120:121]
	v_fmac_f64_e32 v[124:125], v[38:39], v[28:29]
	v_fma_f64 v[122:123], v[36:37], v[32:33], -v[30:31]
	v_fmac_f64_e32 v[126:127], v[38:39], v[32:33]
	ds_load_b128 v[2:5], v43 offset:96
	ds_load_b128 v[44:47], v42 offset:3072
	;; [unrolled: 1-line block ×4, first 2 shown]
	v_add_f64_e32 v[52:53], v[52:53], v[34:35]
	v_add_f64_e32 v[80:81], v[100:101], v[80:81]
	;; [unrolled: 1-line block ×8, first 2 shown]
	ds_load_b128 v[20:23], v43 offset:112
	ds_load_b128 v[28:31], v43 offset:2160
	;; [unrolled: 1-line block ×4, first 2 shown]
	s_wait_dscnt 0x0
	v_mul_f64_e32 v[98:99], v[4:5], v[46:47]
	v_mul_f64_e32 v[100:101], v[2:3], v[46:47]
	;; [unrolled: 1-line block ×8, first 2 shown]
	v_fma_f64 v[88:89], v[54:55], v[62:63], -v[88:89]
	v_fmac_f64_e32 v[90:91], v[56:57], v[62:63]
	v_fma_f64 v[54:55], v[54:55], v[66:67], -v[92:93]
	v_fmac_f64_e32 v[94:95], v[56:57], v[66:67]
	;; [unrolled: 2-line block ×4, first 2 shown]
	s_barrier_signal -1
	s_barrier_wait -1
	v_mul_f64_e32 v[92:93], v[20:21], v[38:39]
	v_add_f64_e32 v[52:53], v[52:53], v[96:97]
	v_add_f64_e32 v[60:61], v[102:103], v[80:81]
	;; [unrolled: 1-line block ×8, first 2 shown]
	v_mul_f64_e32 v[82:83], v[22:23], v[34:35]
	v_mul_f64_e32 v[84:85], v[20:21], v[34:35]
	;; [unrolled: 1-line block ×7, first 2 shown]
	v_fma_f64 v[38:39], v[2:3], v[44:45], -v[98:99]
	v_fmac_f64_e32 v[100:101], v[4:5], v[44:45]
	v_fma_f64 v[2:3], v[2:3], v[48:49], -v[106:107]
	v_fmac_f64_e32 v[110:111], v[4:5], v[48:49]
	;; [unrolled: 2-line block ×4, first 2 shown]
	v_fmac_f64_e32 v[92:93], v[22:23], v[36:37]
	v_add_f64_e32 v[48:49], v[52:53], v[88:89]
	v_add_f64_e32 v[52:53], v[90:91], v[60:61]
	;; [unrolled: 1-line block ×8, first 2 shown]
	v_fma_f64 v[66:67], v[20:21], v[32:33], -v[82:83]
	v_fmac_f64_e32 v[84:85], v[22:23], v[32:33]
	v_fma_f64 v[20:21], v[20:21], v[36:37], -v[86:87]
	v_fma_f64 v[22:23], v[28:29], v[32:33], -v[96:97]
	v_fmac_f64_e32 v[102:103], v[30:31], v[32:33]
	v_fma_f64 v[68:69], v[28:29], v[36:37], -v[34:35]
	v_fmac_f64_e32 v[104:105], v[30:31], v[36:37]
	v_add_f64_e32 v[28:29], v[48:49], v[38:39]
	v_add_f64_e32 v[30:31], v[100:101], v[52:53]
	;; [unrolled: 1-line block ×16, first 2 shown]
	s_cbranch_scc0 .LBB133_16
.LBB133_10:                             ;   Parent Loop BB133_7 Depth=1
                                        ; =>  This Inner Loop Header: Depth=2
	v_add_nc_u32_e32 v1, s20, v40
	v_mov_b64_e32 v[2:3], 0
	v_mov_b64_e32 v[4:5], 0
	s_delay_alu instid0(VALU_DEP_3) | instskip(SKIP_1) | instid1(SALU_CYCLE_1)
	v_cmp_gt_i32_e32 vcc_lo, s7, v1
	s_and_b32 s25, s0, vcc_lo
	s_and_saveexec_b32 s21, s25
	s_cbranch_execz .LBB133_12
; %bb.11:                               ;   in Loop: Header=BB133_10 Depth=2
	global_load_b128 v[2:5], v[24:25], off offset:-8
	s_wait_loadcnt 0x0
	v_xor_b32_e32 v5, 0x80000000, v5
.LBB133_12:                             ;   in Loop: Header=BB133_10 Depth=2
	s_wait_xcnt 0x0
	s_or_b32 exec_lo, exec_lo, s21
	v_add_nc_u32_e32 v1, s20, v6
	ds_store_b128 v7, v[2:5]
	v_cmp_le_i32_e32 vcc_lo, s7, v1
	s_or_b32 s21, vcc_lo, s23
	s_delay_alu instid0(SALU_CYCLE_1) | instskip(NEXT) | instid1(SALU_CYCLE_1)
	s_and_saveexec_b32 s25, s21
	s_xor_b32 s21, exec_lo, s25
; %bb.13:                               ;   in Loop: Header=BB133_10 Depth=2
	v_dual_mov_b32 v1, v0 :: v_dual_mov_b32 v2, v0
	v_mov_b32_e32 v3, v0
	ds_store_b128 v41, v[0:3]
; %bb.14:                               ;   in Loop: Header=BB133_10 Depth=2
	s_and_not1_saveexec_b32 s21, s21
	s_cbranch_execz .LBB133_9
; %bb.15:                               ;   in Loop: Header=BB133_10 Depth=2
	global_load_b128 v[2:5], v[26:27], off
	s_wait_loadcnt 0x0
	ds_store_2addr_b64 v41, v[2:3], v[4:5] offset1:1
	s_branch .LBB133_9
.LBB133_16:                             ;   in Loop: Header=BB133_7 Depth=1
	s_mul_u64 s[20:21], s[30:31], s[28:29]
	s_delay_alu instid0(SALU_CYCLE_1) | instskip(NEXT) | instid1(SALU_CYCLE_1)
	s_lshl_b64 s[20:21], s[20:21], 4
	s_add_nc_u64 s[20:21], s[14:15], s[20:21]
	s_delay_alu instid0(SALU_CYCLE_1)
	v_lshl_add_u64 v[24:25], v[10:11], 4, s[20:21]
	s_and_saveexec_b32 s25, s33
	s_cbranch_execz .LBB133_21
; %bb.17:                               ;   in Loop: Header=BB133_7 Depth=1
	v_mul_f64_e32 v[2:3], s[18:19], v[38:39]
	v_mul_f64_e32 v[4:5], s[16:17], v[38:39]
	v_lshl_add_u64 v[26:27], v[8:9], 4, v[24:25]
	s_and_b32 vcc_lo, exec_lo, s26
	s_mov_b32 s34, -1
	s_delay_alu instid0(VALU_DEP_3) | instskip(NEXT) | instid1(VALU_DEP_3)
	v_fma_f64 v[2:3], s[16:17], v[36:37], -v[2:3]
	v_fmac_f64_e32 v[4:5], s[18:19], v[36:37]
	s_cbranch_vccz .LBB133_19
; %bb.18:                               ;   in Loop: Header=BB133_7 Depth=1
	global_load_b128 v[36:39], v[26:27], off
	s_mov_b32 s34, 0
	s_wait_loadcnt 0x0
	v_mul_f64_e32 v[44:45], s[12:13], v[38:39]
	v_mul_f64_e32 v[38:39], s[10:11], v[38:39]
	s_delay_alu instid0(VALU_DEP_2) | instskip(NEXT) | instid1(VALU_DEP_2)
	v_fma_f64 v[44:45], s[10:11], v[36:37], -v[44:45]
	v_fmac_f64_e32 v[38:39], s[12:13], v[36:37]
	s_delay_alu instid0(VALU_DEP_2) | instskip(NEXT) | instid1(VALU_DEP_2)
	v_add_f64_e32 v[36:37], v[2:3], v[44:45]
	v_add_f64_e32 v[38:39], v[4:5], v[38:39]
	global_store_b128 v[26:27], v[36:39], off
.LBB133_19:                             ;   in Loop: Header=BB133_7 Depth=1
	s_and_not1_b32 vcc_lo, exec_lo, s34
	s_cbranch_vccnz .LBB133_21
; %bb.20:                               ;   in Loop: Header=BB133_7 Depth=1
	global_store_b128 v[26:27], v[2:5], off
.LBB133_21:                             ;   in Loop: Header=BB133_7 Depth=1
	s_wait_xcnt 0x0
	s_or_b32 exec_lo, exec_lo, s25
	s_and_saveexec_b32 s25, s1
	s_cbranch_execz .LBB133_26
; %bb.22:                               ;   in Loop: Header=BB133_7 Depth=1
	v_mul_f64_e32 v[2:3], s[18:19], v[34:35]
	v_mul_f64_e32 v[4:5], s[16:17], v[34:35]
	v_lshl_add_u64 v[24:25], v[14:15], 4, v[24:25]
	s_and_not1_b32 vcc_lo, exec_lo, s26
	s_mov_b32 s34, -1
	s_delay_alu instid0(VALU_DEP_3) | instskip(NEXT) | instid1(VALU_DEP_3)
	v_fma_f64 v[2:3], s[16:17], v[32:33], -v[2:3]
	v_fmac_f64_e32 v[4:5], s[18:19], v[32:33]
	s_cbranch_vccnz .LBB133_24
; %bb.23:                               ;   in Loop: Header=BB133_7 Depth=1
	global_load_b128 v[32:35], v[24:25], off
	s_mov_b32 s34, 0
	s_wait_loadcnt 0x0
	v_mul_f64_e32 v[26:27], s[12:13], v[34:35]
	v_mul_f64_e32 v[34:35], s[10:11], v[34:35]
	s_delay_alu instid0(VALU_DEP_2) | instskip(NEXT) | instid1(VALU_DEP_2)
	v_fma_f64 v[26:27], s[10:11], v[32:33], -v[26:27]
	v_fmac_f64_e32 v[34:35], s[12:13], v[32:33]
	s_delay_alu instid0(VALU_DEP_2) | instskip(NEXT) | instid1(VALU_DEP_2)
	v_add_f64_e32 v[32:33], v[2:3], v[26:27]
	v_add_f64_e32 v[34:35], v[4:5], v[34:35]
	global_store_b128 v[24:25], v[32:35], off
.LBB133_24:                             ;   in Loop: Header=BB133_7 Depth=1
	s_and_not1_b32 vcc_lo, exec_lo, s34
	s_cbranch_vccnz .LBB133_26
; %bb.25:                               ;   in Loop: Header=BB133_7 Depth=1
	global_store_b128 v[24:25], v[2:5], off
.LBB133_26:                             ;   in Loop: Header=BB133_7 Depth=1
	s_wait_xcnt 0x0
	s_or_b32 exec_lo, exec_lo, s25
	v_lshl_add_u64 v[24:25], v[12:13], 4, s[20:21]
	s_and_saveexec_b32 s20, s6
	s_cbranch_execz .LBB133_31
; %bb.27:                               ;   in Loop: Header=BB133_7 Depth=1
	v_mul_f64_e32 v[2:3], s[18:19], v[30:31]
	v_mul_f64_e32 v[4:5], s[16:17], v[30:31]
	v_lshl_add_u64 v[26:27], v[8:9], 4, v[24:25]
	s_and_not1_b32 vcc_lo, exec_lo, s26
	s_mov_b32 s21, -1
	s_delay_alu instid0(VALU_DEP_3) | instskip(NEXT) | instid1(VALU_DEP_3)
	v_fma_f64 v[2:3], s[16:17], v[28:29], -v[2:3]
	v_fmac_f64_e32 v[4:5], s[18:19], v[28:29]
	s_cbranch_vccnz .LBB133_29
; %bb.28:                               ;   in Loop: Header=BB133_7 Depth=1
	global_load_b128 v[28:31], v[26:27], off
	s_mov_b32 s21, 0
	s_wait_loadcnt 0x0
	v_mul_f64_e32 v[32:33], s[12:13], v[30:31]
	v_mul_f64_e32 v[30:31], s[10:11], v[30:31]
	s_delay_alu instid0(VALU_DEP_2) | instskip(NEXT) | instid1(VALU_DEP_2)
	v_fma_f64 v[32:33], s[10:11], v[28:29], -v[32:33]
	v_fmac_f64_e32 v[30:31], s[12:13], v[28:29]
	s_delay_alu instid0(VALU_DEP_2) | instskip(NEXT) | instid1(VALU_DEP_2)
	v_add_f64_e32 v[28:29], v[2:3], v[32:33]
	v_add_f64_e32 v[30:31], v[4:5], v[30:31]
	global_store_b128 v[26:27], v[28:31], off
.LBB133_29:                             ;   in Loop: Header=BB133_7 Depth=1
	s_and_not1_b32 vcc_lo, exec_lo, s21
	s_cbranch_vccnz .LBB133_31
; %bb.30:                               ;   in Loop: Header=BB133_7 Depth=1
	global_store_b128 v[26:27], v[2:5], off
.LBB133_31:                             ;   in Loop: Header=BB133_7 Depth=1
	s_wait_xcnt 0x0
	s_or_b32 exec_lo, exec_lo, s20
	s_and_saveexec_b32 s20, s24
	s_cbranch_execz .LBB133_6
; %bb.32:                               ;   in Loop: Header=BB133_7 Depth=1
	s_delay_alu instid0(VALU_DEP_3) | instskip(SKIP_4) | instid1(VALU_DEP_3)
	v_mul_f64_e32 v[2:3], s[18:19], v[20:21]
	v_mul_f64_e32 v[4:5], s[16:17], v[20:21]
	v_lshl_add_u64 v[20:21], v[14:15], 4, v[24:25]
	s_and_not1_b32 vcc_lo, exec_lo, s26
	s_mov_b32 s21, -1
	v_fma_f64 v[2:3], s[16:17], v[22:23], -v[2:3]
	s_delay_alu instid0(VALU_DEP_3)
	v_fmac_f64_e32 v[4:5], s[18:19], v[22:23]
	s_cbranch_vccnz .LBB133_34
; %bb.33:                               ;   in Loop: Header=BB133_7 Depth=1
	global_load_b128 v[22:25], v[20:21], off
	s_mov_b32 s21, 0
	s_wait_loadcnt 0x0
	v_mul_f64_e32 v[26:27], s[12:13], v[24:25]
	v_mul_f64_e32 v[24:25], s[10:11], v[24:25]
	s_delay_alu instid0(VALU_DEP_2) | instskip(NEXT) | instid1(VALU_DEP_2)
	v_fma_f64 v[26:27], s[10:11], v[22:23], -v[26:27]
	v_fmac_f64_e32 v[24:25], s[12:13], v[22:23]
	s_delay_alu instid0(VALU_DEP_2) | instskip(NEXT) | instid1(VALU_DEP_2)
	v_add_f64_e32 v[22:23], v[2:3], v[26:27]
	v_add_f64_e32 v[24:25], v[4:5], v[24:25]
	global_store_b128 v[20:21], v[22:25], off
.LBB133_34:                             ;   in Loop: Header=BB133_7 Depth=1
	s_and_not1_b32 vcc_lo, exec_lo, s21
	s_cbranch_vccnz .LBB133_6
; %bb.35:                               ;   in Loop: Header=BB133_7 Depth=1
	global_store_b128 v[20:21], v[2:5], off
	s_branch .LBB133_6
.LBB133_36:
.LBB133_37:
	s_sendmsg sendmsg(MSG_DEALLOC_VGPRS)
	s_endpgm
	.section	.rodata,"a",@progbits
	.p2align	6, 0x0
	.amdhsa_kernel _ZL29rocblas_internal_gemmt_kernelIiLi16ELi32ELi8ELc67ELc84ELc85ELb1ELb0E19rocblas_complex_numIdES1_PKS1_PS1_EviT_T9_T10_S5_lS7_S5_lS6_T11_S5_li
		.amdhsa_group_segment_fixed_size 8192
		.amdhsa_private_segment_fixed_size 0
		.amdhsa_kernarg_size 116
		.amdhsa_user_sgpr_count 2
		.amdhsa_user_sgpr_dispatch_ptr 0
		.amdhsa_user_sgpr_queue_ptr 0
		.amdhsa_user_sgpr_kernarg_segment_ptr 1
		.amdhsa_user_sgpr_dispatch_id 0
		.amdhsa_user_sgpr_kernarg_preload_length 0
		.amdhsa_user_sgpr_kernarg_preload_offset 0
		.amdhsa_user_sgpr_private_segment_size 0
		.amdhsa_wavefront_size32 1
		.amdhsa_uses_dynamic_stack 0
		.amdhsa_enable_private_segment 0
		.amdhsa_system_sgpr_workgroup_id_x 1
		.amdhsa_system_sgpr_workgroup_id_y 1
		.amdhsa_system_sgpr_workgroup_id_z 1
		.amdhsa_system_sgpr_workgroup_info 0
		.amdhsa_system_vgpr_workitem_id 1
		.amdhsa_next_free_vgpr 130
		.amdhsa_next_free_sgpr 41
		.amdhsa_named_barrier_count 0
		.amdhsa_reserve_vcc 1
		.amdhsa_float_round_mode_32 0
		.amdhsa_float_round_mode_16_64 0
		.amdhsa_float_denorm_mode_32 3
		.amdhsa_float_denorm_mode_16_64 3
		.amdhsa_fp16_overflow 0
		.amdhsa_memory_ordered 1
		.amdhsa_forward_progress 1
		.amdhsa_inst_pref_size 23
		.amdhsa_round_robin_scheduling 0
		.amdhsa_exception_fp_ieee_invalid_op 0
		.amdhsa_exception_fp_denorm_src 0
		.amdhsa_exception_fp_ieee_div_zero 0
		.amdhsa_exception_fp_ieee_overflow 0
		.amdhsa_exception_fp_ieee_underflow 0
		.amdhsa_exception_fp_ieee_inexact 0
		.amdhsa_exception_int_div_zero 0
	.end_amdhsa_kernel
	.section	.text._ZL29rocblas_internal_gemmt_kernelIiLi16ELi32ELi8ELc67ELc84ELc85ELb1ELb0E19rocblas_complex_numIdES1_PKS1_PS1_EviT_T9_T10_S5_lS7_S5_lS6_T11_S5_li,"axG",@progbits,_ZL29rocblas_internal_gemmt_kernelIiLi16ELi32ELi8ELc67ELc84ELc85ELb1ELb0E19rocblas_complex_numIdES1_PKS1_PS1_EviT_T9_T10_S5_lS7_S5_lS6_T11_S5_li,comdat
.Lfunc_end133:
	.size	_ZL29rocblas_internal_gemmt_kernelIiLi16ELi32ELi8ELc67ELc84ELc85ELb1ELb0E19rocblas_complex_numIdES1_PKS1_PS1_EviT_T9_T10_S5_lS7_S5_lS6_T11_S5_li, .Lfunc_end133-_ZL29rocblas_internal_gemmt_kernelIiLi16ELi32ELi8ELc67ELc84ELc85ELb1ELb0E19rocblas_complex_numIdES1_PKS1_PS1_EviT_T9_T10_S5_lS7_S5_lS6_T11_S5_li
                                        ; -- End function
	.set _ZL29rocblas_internal_gemmt_kernelIiLi16ELi32ELi8ELc67ELc84ELc85ELb1ELb0E19rocblas_complex_numIdES1_PKS1_PS1_EviT_T9_T10_S5_lS7_S5_lS6_T11_S5_li.num_vgpr, 130
	.set _ZL29rocblas_internal_gemmt_kernelIiLi16ELi32ELi8ELc67ELc84ELc85ELb1ELb0E19rocblas_complex_numIdES1_PKS1_PS1_EviT_T9_T10_S5_lS7_S5_lS6_T11_S5_li.num_agpr, 0
	.set _ZL29rocblas_internal_gemmt_kernelIiLi16ELi32ELi8ELc67ELc84ELc85ELb1ELb0E19rocblas_complex_numIdES1_PKS1_PS1_EviT_T9_T10_S5_lS7_S5_lS6_T11_S5_li.numbered_sgpr, 41
	.set _ZL29rocblas_internal_gemmt_kernelIiLi16ELi32ELi8ELc67ELc84ELc85ELb1ELb0E19rocblas_complex_numIdES1_PKS1_PS1_EviT_T9_T10_S5_lS7_S5_lS6_T11_S5_li.num_named_barrier, 0
	.set _ZL29rocblas_internal_gemmt_kernelIiLi16ELi32ELi8ELc67ELc84ELc85ELb1ELb0E19rocblas_complex_numIdES1_PKS1_PS1_EviT_T9_T10_S5_lS7_S5_lS6_T11_S5_li.private_seg_size, 0
	.set _ZL29rocblas_internal_gemmt_kernelIiLi16ELi32ELi8ELc67ELc84ELc85ELb1ELb0E19rocblas_complex_numIdES1_PKS1_PS1_EviT_T9_T10_S5_lS7_S5_lS6_T11_S5_li.uses_vcc, 1
	.set _ZL29rocblas_internal_gemmt_kernelIiLi16ELi32ELi8ELc67ELc84ELc85ELb1ELb0E19rocblas_complex_numIdES1_PKS1_PS1_EviT_T9_T10_S5_lS7_S5_lS6_T11_S5_li.uses_flat_scratch, 0
	.set _ZL29rocblas_internal_gemmt_kernelIiLi16ELi32ELi8ELc67ELc84ELc85ELb1ELb0E19rocblas_complex_numIdES1_PKS1_PS1_EviT_T9_T10_S5_lS7_S5_lS6_T11_S5_li.has_dyn_sized_stack, 0
	.set _ZL29rocblas_internal_gemmt_kernelIiLi16ELi32ELi8ELc67ELc84ELc85ELb1ELb0E19rocblas_complex_numIdES1_PKS1_PS1_EviT_T9_T10_S5_lS7_S5_lS6_T11_S5_li.has_recursion, 0
	.set _ZL29rocblas_internal_gemmt_kernelIiLi16ELi32ELi8ELc67ELc84ELc85ELb1ELb0E19rocblas_complex_numIdES1_PKS1_PS1_EviT_T9_T10_S5_lS7_S5_lS6_T11_S5_li.has_indirect_call, 0
	.section	.AMDGPU.csdata,"",@progbits
; Kernel info:
; codeLenInByte = 2920
; TotalNumSgprs: 43
; NumVgprs: 130
; ScratchSize: 0
; MemoryBound: 1
; FloatMode: 240
; IeeeMode: 1
; LDSByteSize: 8192 bytes/workgroup (compile time only)
; SGPRBlocks: 0
; VGPRBlocks: 8
; NumSGPRsForWavesPerEU: 43
; NumVGPRsForWavesPerEU: 130
; NamedBarCnt: 0
; Occupancy: 7
; WaveLimiterHint : 0
; COMPUTE_PGM_RSRC2:SCRATCH_EN: 0
; COMPUTE_PGM_RSRC2:USER_SGPR: 2
; COMPUTE_PGM_RSRC2:TRAP_HANDLER: 0
; COMPUTE_PGM_RSRC2:TGID_X_EN: 1
; COMPUTE_PGM_RSRC2:TGID_Y_EN: 1
; COMPUTE_PGM_RSRC2:TGID_Z_EN: 1
; COMPUTE_PGM_RSRC2:TIDIG_COMP_CNT: 1
	.section	.text._ZL29rocblas_internal_gemmt_kernelIiLi16ELi32ELi8ELc67ELc67ELc85ELb1ELb1E19rocblas_complex_numIdES1_PKS1_PS1_EviT_T9_T10_S5_lS7_S5_lS6_T11_S5_li,"axG",@progbits,_ZL29rocblas_internal_gemmt_kernelIiLi16ELi32ELi8ELc67ELc67ELc85ELb1ELb1E19rocblas_complex_numIdES1_PKS1_PS1_EviT_T9_T10_S5_lS7_S5_lS6_T11_S5_li,comdat
	.globl	_ZL29rocblas_internal_gemmt_kernelIiLi16ELi32ELi8ELc67ELc67ELc85ELb1ELb1E19rocblas_complex_numIdES1_PKS1_PS1_EviT_T9_T10_S5_lS7_S5_lS6_T11_S5_li ; -- Begin function _ZL29rocblas_internal_gemmt_kernelIiLi16ELi32ELi8ELc67ELc67ELc85ELb1ELb1E19rocblas_complex_numIdES1_PKS1_PS1_EviT_T9_T10_S5_lS7_S5_lS6_T11_S5_li
	.p2align	8
	.type	_ZL29rocblas_internal_gemmt_kernelIiLi16ELi32ELi8ELc67ELc67ELc85ELb1ELb1E19rocblas_complex_numIdES1_PKS1_PS1_EviT_T9_T10_S5_lS7_S5_lS6_T11_S5_li,@function
_ZL29rocblas_internal_gemmt_kernelIiLi16ELi32ELi8ELc67ELc67ELc85ELb1ELb1E19rocblas_complex_numIdES1_PKS1_PS1_EviT_T9_T10_S5_lS7_S5_lS6_T11_S5_li: ; @_ZL29rocblas_internal_gemmt_kernelIiLi16ELi32ELi8ELc67ELc67ELc85ELb1ELb1E19rocblas_complex_numIdES1_PKS1_PS1_EviT_T9_T10_S5_lS7_S5_lS6_T11_S5_li
; %bb.0:
	s_clause 0x2
	s_load_b256 s[8:15], s[0:1], 0x40
	s_load_b64 s[6:7], s[0:1], 0x0
	s_load_b128 s[16:19], s[0:1], 0x8
	s_wait_kmcnt 0x0
	v_cmp_eq_f64_e64 s2, s[10:11], 1.0
	v_cmp_eq_f64_e64 s4, s[12:13], 0
	s_and_b32 s2, s2, s4
	s_delay_alu instid0(SALU_CYCLE_1)
	s_and_not1_b32 vcc_lo, exec_lo, s2
	s_mov_b32 s2, -1
	s_cbranch_vccnz .LBB134_3
; %bb.1:
	s_cmp_lg_u32 s7, 0
	s_cbranch_scc0 .LBB134_34
; %bb.2:
	v_cmp_neq_f64_e64 s2, s[16:17], 0
	v_cmp_neq_f64_e64 s3, s[18:19], 0
	s_or_b32 s2, s2, s3
.LBB134_3:
	s_delay_alu instid0(SALU_CYCLE_1)
	s_and_b32 vcc_lo, exec_lo, s2
	s_cbranch_vccz .LBB134_35
; %bb.4:
	s_load_b32 s27, s[0:1], 0x70
	s_bfe_u32 s2, ttmp6, 0x40014
	s_lshr_b32 s3, ttmp7, 16
	s_add_co_i32 s2, s2, 1
	s_bfe_u32 s20, ttmp6, 0x40008
	s_mul_i32 s2, s3, s2
	s_getreg_b32 s5, hwreg(HW_REG_IB_STS2, 6, 4)
	s_add_co_i32 s20, s20, s2
	s_cmp_eq_u32 s5, 0
	s_mov_b32 s29, 0
	s_cselect_b32 s28, s3, s20
	s_wait_kmcnt 0x0
	s_cmp_ge_u32 s28, s27
	s_cbranch_scc1 .LBB134_35
; %bb.5:
	s_clause 0x2
	s_load_b96 s[24:26], s[0:1], 0x18
	s_load_b32 s34, s[0:1], 0x38
	s_load_b32 s2, s[0:1], 0x60
	v_and_b32_e32 v11, 0x3ff, v0
	v_bfe_u32 v17, v0, 10, 10
	s_clause 0x1
	s_load_b128 s[20:23], s[0:1], 0x28
	s_load_b64 s[30:31], s[0:1], 0x68
	s_wait_xcnt 0x0
	s_bfe_u32 s1, ttmp6, 0x4000c
	s_bfe_u32 s3, ttmp6, 0x40010
	s_and_b32 s33, ttmp7, 0xffff
	s_add_co_i32 s1, s1, 1
	s_add_co_i32 s3, s3, 1
	v_lshl_add_u32 v3, v17, 4, v11
	s_and_b32 s0, ttmp6, 15
	s_mul_i32 s38, ttmp9, s1
	s_mul_i32 s39, s33, s3
	s_bfe_u32 s40, ttmp6, 0x40004
	s_add_co_i32 s0, s0, s38
	s_add_co_i32 s40, s40, s39
	v_dual_mov_b32 v1, 0 :: v_dual_bitop2_b32 v10, 31, v3 bitop3:0x40
	s_wait_kmcnt 0x0
	s_ashr_i32 s1, s26, 31
	s_ashr_i32 s35, s34, 31
	;; [unrolled: 1-line block ×3, first 2 shown]
	s_cmp_eq_u32 s5, 0
	v_dual_lshrrev_b32 v0, 3, v3 :: v_dual_bitop2_b32 v8, 7, v0 bitop3:0x40
	s_cselect_b32 s0, ttmp9, s0
	s_cselect_b32 s5, s33, s40
	s_lshl_b32 s33, s0, 5
	s_delay_alu instid0(SALU_CYCLE_1) | instskip(SKIP_3) | instid1(VALU_DEP_3)
	v_dual_lshrrev_b32 v42, 5, v3 :: v_dual_bitop2_b32 v2, s33, v10 bitop3:0x54
	s_mov_b32 s0, s26
	v_cmp_neq_f64_e64 s36, s[16:17], 0
	v_cmp_neq_f64_e64 s37, s[18:19], 0
	v_dual_mov_b32 v9, v1 :: v_dual_ashrrev_i32 v3, 31, v2
	s_lshl_b32 s5, s5, 5
	v_cmp_neq_f64_e64 s38, s[10:11], 0
	v_dual_add_nc_u32 v18, s5, v0 :: v_dual_add_nc_u32 v20, s5, v17
	s_delay_alu instid0(VALU_DEP_3) | instskip(SKIP_4) | instid1(VALU_DEP_3)
	v_mul_u64_e32 v[4:5], s[0:1], v[2:3]
	v_mul_u64_e32 v[6:7], s[34:35], v[8:9]
	v_dual_lshlrev_b32 v3, 4, v8 :: v_dual_lshlrev_b32 v9, 4, v10
	v_cmp_gt_i32_e64 s0, s6, v2
	v_dual_add_nc_u32 v2, 16, v20 :: v_dual_ashrrev_i32 v21, 31, v20
	v_lshl_or_b32 v0, v0, 7, v3
	v_dual_add_nc_u32 v10, s33, v11 :: v_dual_ashrrev_i32 v19, 31, v18
	s_delay_alu instid0(VALU_DEP_3) | instskip(NEXT) | instid1(VALU_DEP_4)
	v_dual_lshlrev_b32 v44, 4, v11 :: v_dual_ashrrev_i32 v3, 31, v2
	v_mul_u64_e32 v[12:13], s[2:3], v[20:21]
	v_cmp_gt_i32_e64 s1, s6, v18
	s_delay_alu instid0(VALU_DEP_4)
	v_lshlrev_b64_e32 v[18:19], 4, v[18:19]
	v_add_nc_u32_e32 v43, 0x1000, v0
	v_mul_u64_e32 v[14:15], s[2:3], v[2:3]
	v_dual_add_nc_u32 v16, 16, v10 :: v_dual_ashrrev_i32 v11, 31, v10
	v_lshlrev_b32_e32 v0, 4, v42
	v_lshl_add_u32 v45, v17, 7, 0x1000
	v_cmp_gt_i32_e32 vcc_lo, s6, v20
	s_delay_alu instid0(VALU_DEP_4)
	v_ashrrev_i32_e32 v17, 31, v16
	v_cmp_le_i32_e64 s5, v16, v2
	v_cmp_le_i32_e64 s2, v10, v20
	s_or_b32 s36, s36, s37
	s_cmp_gt_i32 s7, 0
	v_lshl_or_b32 v9, v42, 9, v9
	s_cselect_b32 s37, -1, 0
	s_xor_b32 s3, s4, -1
	v_cmp_le_i32_e64 s4, v10, v2
	s_or_b32 s26, s38, s3
	v_lshl_add_u64 v[0:1], v[4:5], 4, v[0:1]
	v_lshl_add_u64 v[4:5], v[6:7], 4, v[18:19]
	v_cmp_gt_i32_e64 s3, s6, v2
	s_and_b32 s33, vcc_lo, s2
	v_cmp_le_i32_e64 s2, v16, v20
	v_add_nc_u64_e32 v[0:1], s[24:25], v[0:1]
	v_add_nc_u64_e32 v[2:3], s[22:23], v[4:5]
	s_and_b32 s22, s3, s4
	s_and_b32 s23, s3, s5
	s_and_b32 s6, vcc_lo, s2
	s_and_b32 s24, s36, s37
	s_lshl_b64 s[2:3], s[20:21], 4
	v_add_nc_u64_e32 v[18:19], 8, v[0:1]
	v_add_nc_u64_e32 v[20:21], 8, v[2:3]
	s_lshl_b64 s[4:5], s[8:9], 4
	s_lshl_b64 s[8:9], s[34:35], 7
	s_branch .LBB134_7
.LBB134_6:                              ;   in Loop: Header=BB134_7 Depth=1
	s_wait_xcnt 0x0
	s_or_b32 exec_lo, exec_lo, s20
	s_add_co_i32 s28, s28, 0x10000
	s_delay_alu instid0(SALU_CYCLE_1)
	s_cmp_lt_u32 s28, s27
	s_cbranch_scc0 .LBB134_35
.LBB134_7:                              ; =>This Loop Header: Depth=1
                                        ;     Child Loop BB134_10 Depth 2
	v_mov_b64_e32 v[38:39], 0
	v_mov_b64_e32 v[40:41], 0
	;; [unrolled: 1-line block ×8, first 2 shown]
	s_and_not1_b32 vcc_lo, exec_lo, s24
	s_cbranch_vccnz .LBB134_14
; %bb.8:                                ;   in Loop: Header=BB134_7 Depth=1
	v_mad_nc_u64_u32 v[26:27], s2, s28, v[18:19]
	v_mad_nc_u64_u32 v[28:29], s4, s28, v[20:21]
	v_mov_b64_e32 v[22:23], 0
	v_mov_b64_e32 v[24:25], 0
	v_mov_b64_e32 v[32:33], 0
	v_mov_b64_e32 v[30:31], 0
	v_mov_b64_e32 v[36:37], 0
	v_mov_b64_e32 v[34:35], 0
	v_mov_b64_e32 v[40:41], 0
	v_mov_b64_e32 v[38:39], 0
	s_mov_b32 s20, 0
	v_mad_u32 v27, s3, s28, v27
	v_mad_u32 v29, s5, s28, v29
	s_branch .LBB134_10
.LBB134_9:                              ;   in Loop: Header=BB134_10 Depth=2
	s_wait_xcnt 0x0
	s_or_b32 exec_lo, exec_lo, s21
	ds_store_b128 v43, v[4:7]
	s_wait_dscnt 0x0
	s_barrier_signal -1
	s_barrier_wait -1
	ds_load_b128 v[0:3], v45
	ds_load_b128 v[4:7], v44
	ds_load_b128 v[46:49], v44 offset:256
	ds_load_b128 v[50:53], v45 offset:2048
	;; [unrolled: 1-line block ×10, first 2 shown]
	v_add_nc_u64_e32 v[26:27], 0x80, v[26:27]
	v_add_nc_u64_e32 v[28:29], s[8:9], v[28:29]
	s_add_co_i32 s20, s20, 8
	s_delay_alu instid0(SALU_CYCLE_1)
	s_cmp_lt_i32 s20, s7
	s_wait_dscnt 0xa
	v_mul_f64_e32 v[86:87], v[2:3], v[6:7]
	v_mul_f64_e32 v[88:89], v[0:1], v[6:7]
	s_wait_dscnt 0x9
	v_mul_f64_e32 v[90:91], v[2:3], v[48:49]
	v_mul_f64_e32 v[92:93], v[0:1], v[48:49]
	s_wait_dscnt 0x8
	v_mul_f64_e32 v[94:95], v[52:53], v[6:7]
	v_mul_f64_e32 v[96:97], v[50:51], v[6:7]
	v_mul_f64_e32 v[6:7], v[52:53], v[48:49]
	v_mul_f64_e32 v[98:99], v[50:51], v[48:49]
	s_wait_dscnt 0x6
	v_mul_f64_e32 v[100:101], v[56:57], v[60:61]
	v_mul_f64_e32 v[102:103], v[54:55], v[60:61]
	s_wait_dscnt 0x5
	v_mul_f64_e32 v[104:105], v[56:57], v[64:65]
	v_mul_f64_e32 v[106:107], v[54:55], v[64:65]
	s_wait_dscnt 0x4
	v_mul_f64_e32 v[108:109], v[68:69], v[60:61]
	v_mul_f64_e32 v[60:61], v[66:67], v[60:61]
	v_mul_f64_e32 v[110:111], v[68:69], v[64:65]
	v_mul_f64_e32 v[64:65], v[66:67], v[64:65]
	;; [unrolled: 11-line block ×3, first 2 shown]
	v_fma_f64 v[86:87], v[0:1], v[4:5], -v[86:87]
	v_fmac_f64_e32 v[88:89], v[2:3], v[4:5]
	v_fma_f64 v[90:91], v[0:1], v[46:47], -v[90:91]
	v_fmac_f64_e32 v[92:93], v[2:3], v[46:47]
	v_fma_f64 v[94:95], v[50:51], v[4:5], -v[94:95]
	v_fmac_f64_e32 v[96:97], v[52:53], v[4:5]
	v_fma_f64 v[112:113], v[50:51], v[46:47], -v[6:7]
	v_fmac_f64_e32 v[98:99], v[52:53], v[46:47]
	v_fma_f64 v[100:101], v[54:55], v[58:59], -v[100:101]
	v_fmac_f64_e32 v[102:103], v[56:57], v[58:59]
	v_fma_f64 v[54:55], v[54:55], v[62:63], -v[104:105]
	v_fmac_f64_e32 v[106:107], v[56:57], v[62:63]
	v_fma_f64 v[56:57], v[66:67], v[58:59], -v[108:109]
	v_fmac_f64_e32 v[60:61], v[68:69], v[58:59]
	v_fma_f64 v[58:59], v[66:67], v[62:63], -v[110:111]
	v_fmac_f64_e32 v[64:65], v[68:69], v[62:63]
	ds_load_b128 v[0:3], v45 offset:48
	ds_load_b128 v[4:7], v45 offset:2096
	;; [unrolled: 1-line block ×4, first 2 shown]
	v_fma_f64 v[114:115], v[70:71], v[74:75], -v[114:115]
	v_fmac_f64_e32 v[116:117], v[72:73], v[74:75]
	v_fma_f64 v[70:71], v[70:71], v[78:79], -v[118:119]
	v_fmac_f64_e32 v[120:121], v[72:73], v[78:79]
	;; [unrolled: 2-line block ×4, first 2 shown]
	v_add_f64_e32 v[62:63], v[38:39], v[86:87]
	v_add_f64_e32 v[66:67], v[88:89], v[40:41]
	v_add_f64_e32 v[68:69], v[34:35], v[90:91]
	v_add_f64_e32 v[86:87], v[92:93], v[36:37]
	v_add_f64_e32 v[88:89], v[30:31], v[94:95]
	v_add_f64_e32 v[90:91], v[96:97], v[32:33]
	v_add_f64_e32 v[92:93], v[24:25], v[112:113]
	v_add_f64_e32 v[94:95], v[98:99], v[22:23]
	s_wait_dscnt 0x1
	v_mul_f64_e32 v[96:97], v[2:3], v[48:49]
	v_mul_f64_e32 v[98:99], v[0:1], v[48:49]
	s_wait_dscnt 0x0
	v_mul_f64_e32 v[104:105], v[2:3], v[52:53]
	v_mul_f64_e32 v[108:109], v[0:1], v[52:53]
	;; [unrolled: 1-line block ×6, first 2 shown]
	ds_load_b128 v[22:25], v45 offset:64
	ds_load_b128 v[30:33], v44 offset:2048
	;; [unrolled: 1-line block ×4, first 2 shown]
	v_add_f64_e32 v[78:79], v[62:63], v[100:101]
	v_add_f64_e32 v[82:83], v[102:103], v[66:67]
	;; [unrolled: 1-line block ×8, first 2 shown]
	s_wait_dscnt 0x2
	v_mul_f64_e32 v[94:95], v[24:25], v[32:33]
	v_mul_f64_e32 v[100:101], v[22:23], v[32:33]
	s_wait_dscnt 0x1
	v_mul_f64_e32 v[102:103], v[24:25], v[36:37]
	v_mul_f64_e32 v[106:107], v[22:23], v[36:37]
	;; [unrolled: 3-line block ×3, first 2 shown]
	v_mul_f64_e32 v[32:33], v[40:41], v[36:37]
	v_mul_f64_e32 v[124:125], v[38:39], v[36:37]
	v_fma_f64 v[36:37], v[0:1], v[46:47], -v[96:97]
	v_fmac_f64_e32 v[98:99], v[2:3], v[46:47]
	v_fma_f64 v[96:97], v[0:1], v[50:51], -v[104:105]
	v_fmac_f64_e32 v[108:109], v[2:3], v[50:51]
	;; [unrolled: 2-line block ×4, first 2 shown]
	ds_load_b128 v[52:55], v45 offset:80
	ds_load_b128 v[56:59], v45 offset:2128
	;; [unrolled: 1-line block ×4, first 2 shown]
	v_add_f64_e32 v[50:51], v[78:79], v[114:115]
	v_add_f64_e32 v[78:79], v[116:117], v[82:83]
	;; [unrolled: 1-line block ×8, first 2 shown]
	v_fma_f64 v[94:95], v[22:23], v[30:31], -v[94:95]
	v_fmac_f64_e32 v[100:101], v[24:25], v[30:31]
	v_fma_f64 v[102:103], v[22:23], v[34:35], -v[102:103]
	s_wait_dscnt 0x1
	v_mul_f64_e32 v[86:87], v[54:55], v[62:63]
	v_mul_f64_e32 v[88:89], v[52:53], v[62:63]
	s_wait_dscnt 0x0
	v_mul_f64_e32 v[90:91], v[54:55], v[66:67]
	v_mul_f64_e32 v[92:93], v[52:53], v[66:67]
	v_mul_f64_e32 v[114:115], v[58:59], v[62:63]
	v_mul_f64_e32 v[62:63], v[56:57], v[62:63]
	v_mul_f64_e32 v[116:117], v[58:59], v[66:67]
	v_mul_f64_e32 v[66:67], v[56:57], v[66:67]
	v_fmac_f64_e32 v[106:107], v[24:25], v[34:35]
	v_fma_f64 v[118:119], v[38:39], v[30:31], -v[118:119]
	v_fmac_f64_e32 v[122:123], v[40:41], v[30:31]
	v_fma_f64 v[120:121], v[38:39], v[34:35], -v[32:33]
	v_fmac_f64_e32 v[124:125], v[40:41], v[34:35]
	ds_load_b128 v[0:3], v45 offset:96
	ds_load_b128 v[4:7], v44 offset:3072
	;; [unrolled: 1-line block ×4, first 2 shown]
	v_add_f64_e32 v[50:51], v[50:51], v[36:37]
	v_add_f64_e32 v[78:79], v[98:99], v[78:79]
	;; [unrolled: 1-line block ×8, first 2 shown]
	ds_load_b128 v[22:25], v45 offset:112
	ds_load_b128 v[30:33], v45 offset:2160
	;; [unrolled: 1-line block ×4, first 2 shown]
	s_wait_dscnt 0x0
	v_mul_f64_e32 v[96:97], v[2:3], v[6:7]
	v_mul_f64_e32 v[98:99], v[0:1], v[6:7]
	v_mul_f64_e32 v[104:105], v[2:3], v[48:49]
	v_mul_f64_e32 v[108:109], v[0:1], v[48:49]
	v_mul_f64_e32 v[110:111], v[70:71], v[6:7]
	v_mul_f64_e32 v[6:7], v[68:69], v[6:7]
	v_mul_f64_e32 v[112:113], v[70:71], v[48:49]
	v_mul_f64_e32 v[48:49], v[68:69], v[48:49]
	v_fma_f64 v[86:87], v[52:53], v[60:61], -v[86:87]
	v_fmac_f64_e32 v[88:89], v[54:55], v[60:61]
	v_fma_f64 v[52:53], v[52:53], v[64:65], -v[90:91]
	v_fmac_f64_e32 v[92:93], v[54:55], v[64:65]
	;; [unrolled: 2-line block ×4, first 2 shown]
	s_barrier_signal -1
	s_barrier_wait -1
	v_mul_f64_e32 v[90:91], v[22:23], v[40:41]
	v_add_f64_e32 v[50:51], v[50:51], v[94:95]
	v_add_f64_e32 v[58:59], v[100:101], v[78:79]
	;; [unrolled: 1-line block ×8, first 2 shown]
	v_mul_f64_e32 v[80:81], v[24:25], v[36:37]
	v_mul_f64_e32 v[82:83], v[22:23], v[36:37]
	;; [unrolled: 1-line block ×7, first 2 shown]
	v_fma_f64 v[40:41], v[0:1], v[4:5], -v[96:97]
	v_fmac_f64_e32 v[98:99], v[2:3], v[4:5]
	v_fma_f64 v[0:1], v[0:1], v[46:47], -v[104:105]
	v_fmac_f64_e32 v[108:109], v[2:3], v[46:47]
	;; [unrolled: 2-line block ×4, first 2 shown]
	v_fmac_f64_e32 v[90:91], v[24:25], v[38:39]
	v_add_f64_e32 v[46:47], v[50:51], v[86:87]
	v_add_f64_e32 v[50:51], v[88:89], v[58:59]
	v_add_f64_e32 v[52:53], v[60:61], v[52:53]
	v_add_f64_e32 v[58:59], v[92:93], v[64:65]
	v_add_f64_e32 v[54:55], v[72:73], v[54:55]
	v_add_f64_e32 v[60:61], v[62:63], v[76:77]
	v_add_f64_e32 v[56:57], v[74:75], v[56:57]
	v_add_f64_e32 v[62:63], v[66:67], v[78:79]
	v_fma_f64 v[64:65], v[22:23], v[34:35], -v[80:81]
	v_fmac_f64_e32 v[82:83], v[24:25], v[34:35]
	v_fma_f64 v[22:23], v[22:23], v[38:39], -v[84:85]
	v_fma_f64 v[24:25], v[30:31], v[34:35], -v[94:95]
	v_fmac_f64_e32 v[100:101], v[32:33], v[34:35]
	v_fma_f64 v[66:67], v[30:31], v[38:39], -v[36:37]
	v_fmac_f64_e32 v[102:103], v[32:33], v[38:39]
	v_add_f64_e32 v[30:31], v[46:47], v[40:41]
	v_add_f64_e32 v[32:33], v[98:99], v[50:51]
	v_add_f64_e32 v[0:1], v[52:53], v[0:1]
	v_add_f64_e32 v[36:37], v[108:109], v[58:59]
	v_add_f64_e32 v[2:3], v[54:55], v[2:3]
	v_add_f64_e32 v[6:7], v[6:7], v[60:61]
	v_add_f64_e32 v[4:5], v[56:57], v[4:5]
	v_add_f64_e32 v[46:47], v[48:49], v[62:63]
	v_add_f64_e32 v[38:39], v[30:31], v[64:65]
	v_add_f64_e32 v[40:41], v[82:83], v[32:33]
	v_add_f64_e32 v[34:35], v[0:1], v[22:23]
	v_add_f64_e32 v[36:37], v[90:91], v[36:37]
	v_add_f64_e32 v[30:31], v[2:3], v[24:25]
	v_add_f64_e32 v[32:33], v[100:101], v[6:7]
	v_add_f64_e32 v[24:25], v[4:5], v[66:67]
	v_add_f64_e32 v[22:23], v[102:103], v[46:47]
	s_cbranch_scc0 .LBB134_14
.LBB134_10:                             ;   Parent Loop BB134_7 Depth=1
                                        ; =>  This Inner Loop Header: Depth=2
	v_add_nc_u32_e32 v2, s20, v42
	v_mov_b64_e32 v[0:1], 0
	s_delay_alu instid0(VALU_DEP_2) | instskip(SKIP_2) | instid1(SALU_CYCLE_1)
	v_cmp_gt_i32_e32 vcc_lo, s7, v2
	v_mov_b64_e32 v[2:3], 0
	s_and_b32 s25, s0, vcc_lo
	s_and_saveexec_b32 s21, s25
	s_cbranch_execz .LBB134_12
; %bb.11:                               ;   in Loop: Header=BB134_10 Depth=2
	global_load_b128 v[0:3], v[26:27], off offset:-8
	s_wait_loadcnt 0x0
	v_xor_b32_e32 v3, 0x80000000, v3
.LBB134_12:                             ;   in Loop: Header=BB134_10 Depth=2
	s_wait_xcnt 0x0
	s_or_b32 exec_lo, exec_lo, s21
	v_add_nc_u32_e32 v6, s20, v8
	v_mov_b64_e32 v[4:5], 0
	ds_store_b128 v9, v[0:3]
	v_cmp_gt_i32_e32 vcc_lo, s7, v6
	v_mov_b64_e32 v[6:7], 0
	s_and_b32 s25, vcc_lo, s1
	s_delay_alu instid0(SALU_CYCLE_1)
	s_and_saveexec_b32 s21, s25
	s_cbranch_execz .LBB134_9
; %bb.13:                               ;   in Loop: Header=BB134_10 Depth=2
	global_load_b128 v[4:7], v[28:29], off offset:-8
	s_wait_loadcnt 0x0
	v_xor_b32_e32 v7, 0x80000000, v7
	s_branch .LBB134_9
.LBB134_14:                             ;   in Loop: Header=BB134_7 Depth=1
	s_mul_u64 s[20:21], s[30:31], s[28:29]
	s_delay_alu instid0(SALU_CYCLE_1) | instskip(NEXT) | instid1(SALU_CYCLE_1)
	s_lshl_b64 s[20:21], s[20:21], 4
	s_add_nc_u64 s[20:21], s[14:15], s[20:21]
	s_delay_alu instid0(SALU_CYCLE_1)
	v_lshl_add_u64 v[4:5], v[12:13], 4, s[20:21]
	s_and_saveexec_b32 s25, s33
	s_cbranch_execz .LBB134_19
; %bb.15:                               ;   in Loop: Header=BB134_7 Depth=1
	v_mul_f64_e32 v[0:1], s[18:19], v[40:41]
	v_mul_f64_e32 v[2:3], s[16:17], v[40:41]
	v_lshl_add_u64 v[6:7], v[10:11], 4, v[4:5]
	s_and_b32 vcc_lo, exec_lo, s26
	s_mov_b32 s34, -1
	s_delay_alu instid0(VALU_DEP_3) | instskip(NEXT) | instid1(VALU_DEP_3)
	v_fma_f64 v[0:1], s[16:17], v[38:39], -v[0:1]
	v_fmac_f64_e32 v[2:3], s[18:19], v[38:39]
	s_cbranch_vccz .LBB134_17
; %bb.16:                               ;   in Loop: Header=BB134_7 Depth=1
	global_load_b128 v[26:29], v[6:7], off
	s_mov_b32 s34, 0
	s_wait_loadcnt 0x0
	v_mul_f64_e32 v[38:39], s[12:13], v[28:29]
	v_mul_f64_e32 v[28:29], s[10:11], v[28:29]
	s_delay_alu instid0(VALU_DEP_2) | instskip(NEXT) | instid1(VALU_DEP_2)
	v_fma_f64 v[38:39], s[10:11], v[26:27], -v[38:39]
	v_fmac_f64_e32 v[28:29], s[12:13], v[26:27]
	s_delay_alu instid0(VALU_DEP_2) | instskip(NEXT) | instid1(VALU_DEP_2)
	v_add_f64_e32 v[26:27], v[0:1], v[38:39]
	v_add_f64_e32 v[28:29], v[2:3], v[28:29]
	global_store_b128 v[6:7], v[26:29], off
.LBB134_17:                             ;   in Loop: Header=BB134_7 Depth=1
	s_and_not1_b32 vcc_lo, exec_lo, s34
	s_cbranch_vccnz .LBB134_19
; %bb.18:                               ;   in Loop: Header=BB134_7 Depth=1
	global_store_b128 v[6:7], v[0:3], off
.LBB134_19:                             ;   in Loop: Header=BB134_7 Depth=1
	s_wait_xcnt 0x0
	s_or_b32 exec_lo, exec_lo, s25
	s_and_saveexec_b32 s25, s6
	s_cbranch_execz .LBB134_24
; %bb.20:                               ;   in Loop: Header=BB134_7 Depth=1
	v_mul_f64_e32 v[0:1], s[18:19], v[36:37]
	v_mul_f64_e32 v[2:3], s[16:17], v[36:37]
	v_lshl_add_u64 v[4:5], v[16:17], 4, v[4:5]
	s_and_not1_b32 vcc_lo, exec_lo, s26
	s_mov_b32 s34, -1
	s_delay_alu instid0(VALU_DEP_3) | instskip(NEXT) | instid1(VALU_DEP_3)
	v_fma_f64 v[0:1], s[16:17], v[34:35], -v[0:1]
	v_fmac_f64_e32 v[2:3], s[18:19], v[34:35]
	s_cbranch_vccnz .LBB134_22
; %bb.21:                               ;   in Loop: Header=BB134_7 Depth=1
	global_load_b128 v[26:29], v[4:5], off
	s_mov_b32 s34, 0
	s_wait_loadcnt 0x0
	v_mul_f64_e32 v[6:7], s[12:13], v[28:29]
	v_mul_f64_e32 v[28:29], s[10:11], v[28:29]
	s_delay_alu instid0(VALU_DEP_2) | instskip(NEXT) | instid1(VALU_DEP_2)
	v_fma_f64 v[6:7], s[10:11], v[26:27], -v[6:7]
	v_fmac_f64_e32 v[28:29], s[12:13], v[26:27]
	s_delay_alu instid0(VALU_DEP_2) | instskip(NEXT) | instid1(VALU_DEP_2)
	v_add_f64_e32 v[26:27], v[0:1], v[6:7]
	v_add_f64_e32 v[28:29], v[2:3], v[28:29]
	global_store_b128 v[4:5], v[26:29], off
.LBB134_22:                             ;   in Loop: Header=BB134_7 Depth=1
	s_and_not1_b32 vcc_lo, exec_lo, s34
	s_cbranch_vccnz .LBB134_24
; %bb.23:                               ;   in Loop: Header=BB134_7 Depth=1
	global_store_b128 v[4:5], v[0:3], off
.LBB134_24:                             ;   in Loop: Header=BB134_7 Depth=1
	s_wait_xcnt 0x0
	s_or_b32 exec_lo, exec_lo, s25
	v_lshl_add_u64 v[4:5], v[14:15], 4, s[20:21]
	s_and_saveexec_b32 s20, s22
	s_cbranch_execz .LBB134_29
; %bb.25:                               ;   in Loop: Header=BB134_7 Depth=1
	v_mul_f64_e32 v[0:1], s[18:19], v[32:33]
	v_mul_f64_e32 v[2:3], s[16:17], v[32:33]
	v_lshl_add_u64 v[6:7], v[10:11], 4, v[4:5]
	s_and_not1_b32 vcc_lo, exec_lo, s26
	s_mov_b32 s21, -1
	s_delay_alu instid0(VALU_DEP_3) | instskip(NEXT) | instid1(VALU_DEP_3)
	v_fma_f64 v[0:1], s[16:17], v[30:31], -v[0:1]
	v_fmac_f64_e32 v[2:3], s[18:19], v[30:31]
	s_cbranch_vccnz .LBB134_27
; %bb.26:                               ;   in Loop: Header=BB134_7 Depth=1
	global_load_b128 v[26:29], v[6:7], off
	s_mov_b32 s21, 0
	s_wait_loadcnt 0x0
	v_mul_f64_e32 v[30:31], s[12:13], v[28:29]
	v_mul_f64_e32 v[28:29], s[10:11], v[28:29]
	s_delay_alu instid0(VALU_DEP_2) | instskip(NEXT) | instid1(VALU_DEP_2)
	v_fma_f64 v[30:31], s[10:11], v[26:27], -v[30:31]
	v_fmac_f64_e32 v[28:29], s[12:13], v[26:27]
	s_delay_alu instid0(VALU_DEP_2) | instskip(NEXT) | instid1(VALU_DEP_2)
	v_add_f64_e32 v[26:27], v[0:1], v[30:31]
	v_add_f64_e32 v[28:29], v[2:3], v[28:29]
	global_store_b128 v[6:7], v[26:29], off
.LBB134_27:                             ;   in Loop: Header=BB134_7 Depth=1
	s_and_not1_b32 vcc_lo, exec_lo, s21
	s_cbranch_vccnz .LBB134_29
; %bb.28:                               ;   in Loop: Header=BB134_7 Depth=1
	global_store_b128 v[6:7], v[0:3], off
.LBB134_29:                             ;   in Loop: Header=BB134_7 Depth=1
	s_wait_xcnt 0x0
	s_or_b32 exec_lo, exec_lo, s20
	s_and_saveexec_b32 s20, s23
	s_cbranch_execz .LBB134_6
; %bb.30:                               ;   in Loop: Header=BB134_7 Depth=1
	s_delay_alu instid0(VALU_DEP_3) | instskip(SKIP_4) | instid1(VALU_DEP_3)
	v_mul_f64_e32 v[0:1], s[18:19], v[22:23]
	v_mul_f64_e32 v[2:3], s[16:17], v[22:23]
	v_lshl_add_u64 v[4:5], v[16:17], 4, v[4:5]
	s_and_not1_b32 vcc_lo, exec_lo, s26
	s_mov_b32 s21, -1
	v_fma_f64 v[0:1], s[16:17], v[24:25], -v[0:1]
	s_delay_alu instid0(VALU_DEP_3)
	v_fmac_f64_e32 v[2:3], s[18:19], v[24:25]
	s_cbranch_vccnz .LBB134_32
; %bb.31:                               ;   in Loop: Header=BB134_7 Depth=1
	global_load_b128 v[22:25], v[4:5], off
	s_mov_b32 s21, 0
	s_wait_loadcnt 0x0
	v_mul_f64_e32 v[6:7], s[12:13], v[24:25]
	v_mul_f64_e32 v[24:25], s[10:11], v[24:25]
	s_delay_alu instid0(VALU_DEP_2) | instskip(NEXT) | instid1(VALU_DEP_2)
	v_fma_f64 v[6:7], s[10:11], v[22:23], -v[6:7]
	v_fmac_f64_e32 v[24:25], s[12:13], v[22:23]
	s_delay_alu instid0(VALU_DEP_2) | instskip(NEXT) | instid1(VALU_DEP_2)
	v_add_f64_e32 v[22:23], v[0:1], v[6:7]
	v_add_f64_e32 v[24:25], v[2:3], v[24:25]
	global_store_b128 v[4:5], v[22:25], off
.LBB134_32:                             ;   in Loop: Header=BB134_7 Depth=1
	s_and_not1_b32 vcc_lo, exec_lo, s21
	s_cbranch_vccnz .LBB134_6
; %bb.33:                               ;   in Loop: Header=BB134_7 Depth=1
	global_store_b128 v[4:5], v[0:3], off
	s_branch .LBB134_6
.LBB134_34:
.LBB134_35:
	s_sendmsg sendmsg(MSG_DEALLOC_VGPRS)
	s_endpgm
	.section	.rodata,"a",@progbits
	.p2align	6, 0x0
	.amdhsa_kernel _ZL29rocblas_internal_gemmt_kernelIiLi16ELi32ELi8ELc67ELc67ELc85ELb1ELb1E19rocblas_complex_numIdES1_PKS1_PS1_EviT_T9_T10_S5_lS7_S5_lS6_T11_S5_li
		.amdhsa_group_segment_fixed_size 8192
		.amdhsa_private_segment_fixed_size 0
		.amdhsa_kernarg_size 116
		.amdhsa_user_sgpr_count 2
		.amdhsa_user_sgpr_dispatch_ptr 0
		.amdhsa_user_sgpr_queue_ptr 0
		.amdhsa_user_sgpr_kernarg_segment_ptr 1
		.amdhsa_user_sgpr_dispatch_id 0
		.amdhsa_user_sgpr_kernarg_preload_length 0
		.amdhsa_user_sgpr_kernarg_preload_offset 0
		.amdhsa_user_sgpr_private_segment_size 0
		.amdhsa_wavefront_size32 1
		.amdhsa_uses_dynamic_stack 0
		.amdhsa_enable_private_segment 0
		.amdhsa_system_sgpr_workgroup_id_x 1
		.amdhsa_system_sgpr_workgroup_id_y 1
		.amdhsa_system_sgpr_workgroup_id_z 1
		.amdhsa_system_sgpr_workgroup_info 0
		.amdhsa_system_vgpr_workitem_id 1
		.amdhsa_next_free_vgpr 128
		.amdhsa_next_free_sgpr 41
		.amdhsa_named_barrier_count 0
		.amdhsa_reserve_vcc 1
		.amdhsa_float_round_mode_32 0
		.amdhsa_float_round_mode_16_64 0
		.amdhsa_float_denorm_mode_32 3
		.amdhsa_float_denorm_mode_16_64 3
		.amdhsa_fp16_overflow 0
		.amdhsa_memory_ordered 1
		.amdhsa_forward_progress 1
		.amdhsa_inst_pref_size 23
		.amdhsa_round_robin_scheduling 0
		.amdhsa_exception_fp_ieee_invalid_op 0
		.amdhsa_exception_fp_denorm_src 0
		.amdhsa_exception_fp_ieee_div_zero 0
		.amdhsa_exception_fp_ieee_overflow 0
		.amdhsa_exception_fp_ieee_underflow 0
		.amdhsa_exception_fp_ieee_inexact 0
		.amdhsa_exception_int_div_zero 0
	.end_amdhsa_kernel
	.section	.text._ZL29rocblas_internal_gemmt_kernelIiLi16ELi32ELi8ELc67ELc67ELc85ELb1ELb1E19rocblas_complex_numIdES1_PKS1_PS1_EviT_T9_T10_S5_lS7_S5_lS6_T11_S5_li,"axG",@progbits,_ZL29rocblas_internal_gemmt_kernelIiLi16ELi32ELi8ELc67ELc67ELc85ELb1ELb1E19rocblas_complex_numIdES1_PKS1_PS1_EviT_T9_T10_S5_lS7_S5_lS6_T11_S5_li,comdat
.Lfunc_end134:
	.size	_ZL29rocblas_internal_gemmt_kernelIiLi16ELi32ELi8ELc67ELc67ELc85ELb1ELb1E19rocblas_complex_numIdES1_PKS1_PS1_EviT_T9_T10_S5_lS7_S5_lS6_T11_S5_li, .Lfunc_end134-_ZL29rocblas_internal_gemmt_kernelIiLi16ELi32ELi8ELc67ELc67ELc85ELb1ELb1E19rocblas_complex_numIdES1_PKS1_PS1_EviT_T9_T10_S5_lS7_S5_lS6_T11_S5_li
                                        ; -- End function
	.set _ZL29rocblas_internal_gemmt_kernelIiLi16ELi32ELi8ELc67ELc67ELc85ELb1ELb1E19rocblas_complex_numIdES1_PKS1_PS1_EviT_T9_T10_S5_lS7_S5_lS6_T11_S5_li.num_vgpr, 128
	.set _ZL29rocblas_internal_gemmt_kernelIiLi16ELi32ELi8ELc67ELc67ELc85ELb1ELb1E19rocblas_complex_numIdES1_PKS1_PS1_EviT_T9_T10_S5_lS7_S5_lS6_T11_S5_li.num_agpr, 0
	.set _ZL29rocblas_internal_gemmt_kernelIiLi16ELi32ELi8ELc67ELc67ELc85ELb1ELb1E19rocblas_complex_numIdES1_PKS1_PS1_EviT_T9_T10_S5_lS7_S5_lS6_T11_S5_li.numbered_sgpr, 41
	.set _ZL29rocblas_internal_gemmt_kernelIiLi16ELi32ELi8ELc67ELc67ELc85ELb1ELb1E19rocblas_complex_numIdES1_PKS1_PS1_EviT_T9_T10_S5_lS7_S5_lS6_T11_S5_li.num_named_barrier, 0
	.set _ZL29rocblas_internal_gemmt_kernelIiLi16ELi32ELi8ELc67ELc67ELc85ELb1ELb1E19rocblas_complex_numIdES1_PKS1_PS1_EviT_T9_T10_S5_lS7_S5_lS6_T11_S5_li.private_seg_size, 0
	.set _ZL29rocblas_internal_gemmt_kernelIiLi16ELi32ELi8ELc67ELc67ELc85ELb1ELb1E19rocblas_complex_numIdES1_PKS1_PS1_EviT_T9_T10_S5_lS7_S5_lS6_T11_S5_li.uses_vcc, 1
	.set _ZL29rocblas_internal_gemmt_kernelIiLi16ELi32ELi8ELc67ELc67ELc85ELb1ELb1E19rocblas_complex_numIdES1_PKS1_PS1_EviT_T9_T10_S5_lS7_S5_lS6_T11_S5_li.uses_flat_scratch, 0
	.set _ZL29rocblas_internal_gemmt_kernelIiLi16ELi32ELi8ELc67ELc67ELc85ELb1ELb1E19rocblas_complex_numIdES1_PKS1_PS1_EviT_T9_T10_S5_lS7_S5_lS6_T11_S5_li.has_dyn_sized_stack, 0
	.set _ZL29rocblas_internal_gemmt_kernelIiLi16ELi32ELi8ELc67ELc67ELc85ELb1ELb1E19rocblas_complex_numIdES1_PKS1_PS1_EviT_T9_T10_S5_lS7_S5_lS6_T11_S5_li.has_recursion, 0
	.set _ZL29rocblas_internal_gemmt_kernelIiLi16ELi32ELi8ELc67ELc67ELc85ELb1ELb1E19rocblas_complex_numIdES1_PKS1_PS1_EviT_T9_T10_S5_lS7_S5_lS6_T11_S5_li.has_indirect_call, 0
	.section	.AMDGPU.csdata,"",@progbits
; Kernel info:
; codeLenInByte = 2920
; TotalNumSgprs: 43
; NumVgprs: 128
; ScratchSize: 0
; MemoryBound: 1
; FloatMode: 240
; IeeeMode: 1
; LDSByteSize: 8192 bytes/workgroup (compile time only)
; SGPRBlocks: 0
; VGPRBlocks: 7
; NumSGPRsForWavesPerEU: 43
; NumVGPRsForWavesPerEU: 128
; NamedBarCnt: 0
; Occupancy: 8
; WaveLimiterHint : 0
; COMPUTE_PGM_RSRC2:SCRATCH_EN: 0
; COMPUTE_PGM_RSRC2:USER_SGPR: 2
; COMPUTE_PGM_RSRC2:TRAP_HANDLER: 0
; COMPUTE_PGM_RSRC2:TGID_X_EN: 1
; COMPUTE_PGM_RSRC2:TGID_Y_EN: 1
; COMPUTE_PGM_RSRC2:TGID_Z_EN: 1
; COMPUTE_PGM_RSRC2:TIDIG_COMP_CNT: 1
	.section	.text._ZL29rocblas_internal_gemmt_kernelIiLi16ELi32ELi8ELc78ELc78ELc76ELb0ELb0E19rocblas_complex_numIdES1_PKS1_PS1_EviT_T9_T10_S5_lS7_S5_lS6_T11_S5_li,"axG",@progbits,_ZL29rocblas_internal_gemmt_kernelIiLi16ELi32ELi8ELc78ELc78ELc76ELb0ELb0E19rocblas_complex_numIdES1_PKS1_PS1_EviT_T9_T10_S5_lS7_S5_lS6_T11_S5_li,comdat
	.globl	_ZL29rocblas_internal_gemmt_kernelIiLi16ELi32ELi8ELc78ELc78ELc76ELb0ELb0E19rocblas_complex_numIdES1_PKS1_PS1_EviT_T9_T10_S5_lS7_S5_lS6_T11_S5_li ; -- Begin function _ZL29rocblas_internal_gemmt_kernelIiLi16ELi32ELi8ELc78ELc78ELc76ELb0ELb0E19rocblas_complex_numIdES1_PKS1_PS1_EviT_T9_T10_S5_lS7_S5_lS6_T11_S5_li
	.p2align	8
	.type	_ZL29rocblas_internal_gemmt_kernelIiLi16ELi32ELi8ELc78ELc78ELc76ELb0ELb0E19rocblas_complex_numIdES1_PKS1_PS1_EviT_T9_T10_S5_lS7_S5_lS6_T11_S5_li,@function
_ZL29rocblas_internal_gemmt_kernelIiLi16ELi32ELi8ELc78ELc78ELc76ELb0ELb0E19rocblas_complex_numIdES1_PKS1_PS1_EviT_T9_T10_S5_lS7_S5_lS6_T11_S5_li: ; @_ZL29rocblas_internal_gemmt_kernelIiLi16ELi32ELi8ELc78ELc78ELc76ELb0ELb0E19rocblas_complex_numIdES1_PKS1_PS1_EviT_T9_T10_S5_lS7_S5_lS6_T11_S5_li
; %bb.0:
	s_clause 0x2
	s_load_b256 s[8:15], s[0:1], 0x40
	s_load_b64 s[4:5], s[0:1], 0x0
	s_load_b128 s[16:19], s[0:1], 0x8
	s_wait_kmcnt 0x0
	v_cmp_eq_f64_e64 s2, s[10:11], 1.0
	v_cmp_eq_f64_e64 s34, s[12:13], 0
	s_and_b32 s2, s2, s34
	s_delay_alu instid0(SALU_CYCLE_1)
	s_and_not1_b32 vcc_lo, exec_lo, s2
	s_mov_b32 s2, -1
	s_cbranch_vccnz .LBB135_3
; %bb.1:
	s_cmp_lg_u32 s5, 0
	s_cbranch_scc0 .LBB135_38
; %bb.2:
	v_cmp_neq_f64_e64 s2, s[16:17], 0
	v_cmp_neq_f64_e64 s3, s[18:19], 0
	s_or_b32 s2, s2, s3
.LBB135_3:
	s_delay_alu instid0(SALU_CYCLE_1)
	s_and_b32 vcc_lo, exec_lo, s2
	s_cbranch_vccz .LBB135_39
; %bb.4:
	s_load_b32 s33, s[0:1], 0x70
	s_bfe_u32 s2, ttmp6, 0x40014
	s_lshr_b32 s3, ttmp7, 16
	s_add_co_i32 s2, s2, 1
	s_bfe_u32 s6, ttmp6, 0x40008
	s_mul_i32 s2, s3, s2
	s_getreg_b32 s35, hwreg(HW_REG_IB_STS2, 6, 4)
	s_add_co_i32 s6, s6, s2
	s_cmp_eq_u32 s35, 0
	s_mov_b32 s7, 0
	s_cselect_b32 s6, s3, s6
	s_wait_kmcnt 0x0
	s_cmp_ge_u32 s6, s33
	s_cbranch_scc1 .LBB135_39
; %bb.5:
	s_clause 0x2
	s_load_b96 s[24:26], s[0:1], 0x18
	s_load_b32 s2, s[0:1], 0x38
	s_load_b32 s30, s[0:1], 0x60
	v_and_b32_e32 v1, 0x3ff, v0
	v_bfe_u32 v5, v0, 10, 10
	s_clause 0x1
	s_load_b128 s[20:23], s[0:1], 0x28
	s_load_b64 s[28:29], s[0:1], 0x68
	s_wait_xcnt 0x0
	s_bfe_u32 s1, ttmp6, 0x4000c
	s_bfe_u32 s38, ttmp6, 0x40010
	s_add_co_i32 s1, s1, 1
	s_and_b32 s39, ttmp7, 0xffff
	s_add_co_i32 s38, s38, 1
	v_and_b32_e32 v38, 7, v0
	v_lshl_add_u32 v0, v5, 4, v1
	s_and_b32 s0, ttmp6, 15
	s_mul_i32 s1, ttmp9, s1
	s_mul_i32 s38, s39, s38
	s_bfe_u32 s40, ttmp6, 0x40004
	s_add_co_i32 s0, s0, s1
	s_add_co_i32 s40, s40, s38
	v_dual_lshrrev_b32 v8, 3, v0 :: v_dual_bitop2_b32 v9, 31, v0 bitop3:0x40
	s_wait_kmcnt 0x0
	s_ashr_i32 s27, s26, 31
	s_ashr_i32 s3, s2, 31
	;; [unrolled: 1-line block ×3, first 2 shown]
	s_cmp_eq_u32 s35, 0
	v_lshrrev_b32_e32 v6, 5, v0
	s_cselect_b32 s0, ttmp9, s0
	s_cselect_b32 s1, s39, s40
	s_lshl_b32 s35, s0, 5
	s_lshl_b32 s0, s1, 5
	s_delay_alu instid0(SALU_CYCLE_1) | instskip(SKIP_2) | instid1(VALU_DEP_3)
	v_dual_mov_b32 v0, 0 :: v_dual_add_nc_u32 v2, s0, v8
	v_or_b32_e32 v4, s35, v9
	v_cmp_neq_f64_e64 s36, s[16:17], 0
	v_dual_mov_b32 v7, v0 :: v_dual_add_nc_u32 v16, s0, v5
	s_delay_alu instid0(VALU_DEP_4) | instskip(SKIP_1) | instid1(VALU_DEP_3)
	v_ashrrev_i32_e32 v3, 31, v2
	v_cmp_neq_f64_e64 s37, s[18:19], 0
	v_dual_lshlrev_b32 v20, 4, v38 :: v_dual_add_nc_u32 v24, 16, v16
	v_ashrrev_i32_e32 v17, 31, v16
	v_mul_u64_e32 v[18:19], s[26:27], v[6:7]
	v_mul_u64_e32 v[22:23], s[2:3], v[2:3]
	v_cmp_neq_f64_e64 s38, s[10:11], 0
	v_dual_ashrrev_i32 v25, 31, v24 :: v_dual_lshlrev_b32 v7, 4, v9
	v_lshl_or_b32 v3, v8, 7, v20
	v_add_nc_u32_e32 v8, s35, v1
	v_mul_u64_e32 v[10:11], s[30:31], v[16:17]
	s_delay_alu instid0(VALU_DEP_4)
	v_mul_u64_e32 v[12:13], s[30:31], v[24:25]
	v_lshl_add_u32 v41, v5, 7, 0x1000
	v_dual_ashrrev_i32 v5, 31, v4 :: v_dual_mov_b32 v21, v0
	v_cmp_gt_i32_e64 s0, s4, v2
	v_add_nc_u32_e32 v39, 0x1000, v3
	v_dual_lshlrev_b32 v40, 4, v1 :: v_dual_add_nc_u32 v14, 16, v8
	s_delay_alu instid0(VALU_DEP_4)
	v_lshlrev_b64_e32 v[2:3], 4, v[4:5]
	v_cmp_gt_i32_e32 vcc_lo, s4, v4
	v_cmp_le_i32_e64 s1, v16, v8
	v_cmp_gt_i32_e64 s2, s4, v8
	v_cmp_le_i32_e64 s3, v16, v14
	v_cmp_gt_i32_e64 s4, s4, v14
	v_lshl_or_b32 v7, v6, 9, v7
	v_dual_ashrrev_i32 v9, 31, v8 :: v_dual_ashrrev_i32 v15, 31, v14
	s_or_b32 s36, s36, s37
	s_cmp_gt_i32 s5, 0
	s_cselect_b32 s37, -1, 0
	v_lshl_add_u64 v[2:3], v[18:19], 4, v[2:3]
	v_lshl_add_u64 v[4:5], v[22:23], 4, v[20:21]
	s_xor_b32 s30, s34, -1
	s_and_b32 s31, s1, s2
	s_and_b32 s34, s3, s4
	v_cmp_le_i32_e64 s1, v24, v8
	v_cmp_le_i32_e64 s3, v24, v14
	v_add_nc_u64_e32 v[16:17], s[24:25], v[2:3]
	v_add_nc_u64_e32 v[18:19], s[22:23], v[4:5]
	s_or_b32 s30, s38, s30
	s_and_b32 s35, s1, s2
	s_and_b32 s4, s3, s4
	s_lshl_b64 s[2:3], s[20:21], 4
	s_lshl_b64 s[20:21], s[26:27], 7
	s_and_b32 s22, s36, s37
	s_lshl_b64 s[8:9], s[8:9], 4
	s_xor_b32 s23, vcc_lo, -1
	s_xor_b32 s24, s0, -1
	s_branch .LBB135_7
.LBB135_6:                              ;   in Loop: Header=BB135_7 Depth=1
	s_wait_xcnt 0x0
	s_or_b32 exec_lo, exec_lo, s0
	s_add_co_i32 s6, s6, 0x10000
	s_delay_alu instid0(SALU_CYCLE_1)
	s_cmp_lt_u32 s6, s33
	s_cbranch_scc0 .LBB135_39
.LBB135_7:                              ; =>This Loop Header: Depth=1
                                        ;     Child Loop BB135_10 Depth 2
	v_mov_b64_e32 v[30:31], 0
	v_mov_b64_e32 v[32:33], 0
	;; [unrolled: 1-line block ×8, first 2 shown]
	s_and_not1_b32 vcc_lo, exec_lo, s22
	s_cbranch_vccnz .LBB135_18
; %bb.8:                                ;   in Loop: Header=BB135_7 Depth=1
	v_mad_nc_u64_u32 v[4:5], s2, s6, v[16:17]
	v_mad_nc_u64_u32 v[20:21], s8, s6, v[18:19]
	v_mov_b64_e32 v[34:35], 0
	v_mov_b64_e32 v[36:37], 0
	v_mov_b64_e32 v[28:29], 0
	v_mov_b64_e32 v[26:27], 0
	v_mov_b64_e32 v[24:25], 0
	v_mov_b64_e32 v[22:23], 0
	v_mov_b64_e32 v[32:33], 0
	v_mov_b64_e32 v[30:31], 0
	s_mov_b32 s0, 0
	v_mad_u32 v5, s3, s6, v5
	v_mad_u32 v21, s9, s6, v21
	s_branch .LBB135_10
.LBB135_9:                              ;   in Loop: Header=BB135_10 Depth=2
	s_wait_xcnt 0x0
	s_or_b32 exec_lo, exec_lo, s1
	s_wait_dscnt 0x0
	s_barrier_signal -1
	s_barrier_wait -1
	ds_load_b128 v[42:45], v41
	ds_load_b128 v[46:49], v41 offset:16
	ds_load_b128 v[50:53], v41 offset:32
	;; [unrolled: 1-line block ×3, first 2 shown]
	ds_load_b128 v[58:61], v40
	v_add_nc_u64_e32 v[4:5], s[20:21], v[4:5]
	v_add_nc_u64_e32 v[20:21], 0x80, v[20:21]
	s_add_co_i32 s0, s0, 8
	s_delay_alu instid0(SALU_CYCLE_1) | instskip(SKIP_3) | instid1(VALU_DEP_2)
	s_cmp_lt_i32 s0, s5
	s_wait_dscnt 0x0
	v_mul_f64_e32 v[2:3], v[44:45], v[60:61]
	v_mul_f64_e32 v[62:63], v[42:43], v[60:61]
	v_fma_f64 v[2:3], v[42:43], v[58:59], -v[2:3]
	s_delay_alu instid0(VALU_DEP_2) | instskip(NEXT) | instid1(VALU_DEP_2)
	v_fmac_f64_e32 v[62:63], v[44:45], v[58:59]
	v_add_f64_e32 v[2:3], v[30:31], v[2:3]
	s_delay_alu instid0(VALU_DEP_2) | instskip(SKIP_3) | instid1(VALU_DEP_1)
	v_add_f64_e32 v[62:63], v[62:63], v[32:33]
	ds_load_b128 v[30:33], v40 offset:256
	s_wait_dscnt 0x0
	v_mul_f64_e32 v[64:65], v[44:45], v[32:33]
	v_fma_f64 v[64:65], v[42:43], v[30:31], -v[64:65]
	v_mul_f64_e32 v[42:43], v[42:43], v[32:33]
	s_delay_alu instid0(VALU_DEP_1) | instskip(NEXT) | instid1(VALU_DEP_3)
	v_fmac_f64_e32 v[42:43], v[44:45], v[30:31]
	v_add_f64_e32 v[44:45], v[22:23], v[64:65]
	s_delay_alu instid0(VALU_DEP_2) | instskip(SKIP_4) | instid1(VALU_DEP_2)
	v_add_f64_e32 v[42:43], v[42:43], v[24:25]
	ds_load_b128 v[22:25], v41 offset:2048
	s_wait_dscnt 0x0
	v_mul_f64_e32 v[64:65], v[24:25], v[60:61]
	v_mul_f64_e32 v[60:61], v[22:23], v[60:61]
	v_fma_f64 v[64:65], v[22:23], v[58:59], -v[64:65]
	s_delay_alu instid0(VALU_DEP_2) | instskip(NEXT) | instid1(VALU_DEP_2)
	v_fmac_f64_e32 v[60:61], v[24:25], v[58:59]
	v_add_f64_e32 v[58:59], v[26:27], v[64:65]
	v_mul_f64_e32 v[26:27], v[24:25], v[32:33]
	s_delay_alu instid0(VALU_DEP_3) | instskip(NEXT) | instid1(VALU_DEP_2)
	v_add_f64_e32 v[60:61], v[60:61], v[28:29]
	v_fma_f64 v[26:27], v[22:23], v[30:31], -v[26:27]
	v_mul_f64_e32 v[22:23], v[22:23], v[32:33]
	s_delay_alu instid0(VALU_DEP_2) | instskip(NEXT) | instid1(VALU_DEP_2)
	v_add_f64_e32 v[36:37], v[36:37], v[26:27]
	v_fmac_f64_e32 v[22:23], v[24:25], v[30:31]
	s_delay_alu instid0(VALU_DEP_1) | instskip(SKIP_4) | instid1(VALU_DEP_2)
	v_add_f64_e32 v[34:35], v[22:23], v[34:35]
	ds_load_b128 v[22:25], v40 offset:512
	s_wait_dscnt 0x0
	v_mul_f64_e32 v[26:27], v[48:49], v[24:25]
	v_mul_f64_e32 v[28:29], v[46:47], v[24:25]
	v_fma_f64 v[26:27], v[46:47], v[22:23], -v[26:27]
	s_delay_alu instid0(VALU_DEP_2) | instskip(NEXT) | instid1(VALU_DEP_2)
	v_fmac_f64_e32 v[28:29], v[48:49], v[22:23]
	v_add_f64_e32 v[2:3], v[2:3], v[26:27]
	s_delay_alu instid0(VALU_DEP_2) | instskip(SKIP_4) | instid1(VALU_DEP_2)
	v_add_f64_e32 v[62:63], v[28:29], v[62:63]
	ds_load_b128 v[26:29], v40 offset:768
	s_wait_dscnt 0x0
	v_mul_f64_e32 v[30:31], v[48:49], v[28:29]
	v_mul_f64_e32 v[32:33], v[46:47], v[28:29]
	v_fma_f64 v[30:31], v[46:47], v[26:27], -v[30:31]
	s_delay_alu instid0(VALU_DEP_2) | instskip(NEXT) | instid1(VALU_DEP_2)
	v_fmac_f64_e32 v[32:33], v[48:49], v[26:27]
	v_add_f64_e32 v[44:45], v[44:45], v[30:31]
	s_delay_alu instid0(VALU_DEP_2) | instskip(SKIP_4) | instid1(VALU_DEP_2)
	v_add_f64_e32 v[42:43], v[32:33], v[42:43]
	ds_load_b128 v[30:33], v41 offset:2064
	s_wait_dscnt 0x0
	v_mul_f64_e32 v[46:47], v[32:33], v[24:25]
	v_mul_f64_e32 v[24:25], v[30:31], v[24:25]
	v_fma_f64 v[46:47], v[30:31], v[22:23], -v[46:47]
	s_delay_alu instid0(VALU_DEP_2) | instskip(SKIP_1) | instid1(VALU_DEP_3)
	v_fmac_f64_e32 v[24:25], v[32:33], v[22:23]
	v_mul_f64_e32 v[22:23], v[32:33], v[28:29]
	v_add_f64_e32 v[46:47], v[58:59], v[46:47]
	s_delay_alu instid0(VALU_DEP_3) | instskip(SKIP_1) | instid1(VALU_DEP_4)
	v_add_f64_e32 v[48:49], v[24:25], v[60:61]
	v_mul_f64_e32 v[24:25], v[30:31], v[28:29]
	v_fma_f64 v[22:23], v[30:31], v[26:27], -v[22:23]
	s_delay_alu instid0(VALU_DEP_2) | instskip(NEXT) | instid1(VALU_DEP_2)
	v_fmac_f64_e32 v[24:25], v[32:33], v[26:27]
	v_add_f64_e32 v[36:37], v[36:37], v[22:23]
	s_delay_alu instid0(VALU_DEP_2) | instskip(SKIP_4) | instid1(VALU_DEP_2)
	v_add_f64_e32 v[34:35], v[24:25], v[34:35]
	ds_load_b128 v[22:25], v40 offset:1024
	s_wait_dscnt 0x0
	v_mul_f64_e32 v[26:27], v[52:53], v[24:25]
	v_mul_f64_e32 v[28:29], v[50:51], v[24:25]
	v_fma_f64 v[26:27], v[50:51], v[22:23], -v[26:27]
	s_delay_alu instid0(VALU_DEP_2) | instskip(NEXT) | instid1(VALU_DEP_2)
	v_fmac_f64_e32 v[28:29], v[52:53], v[22:23]
	v_add_f64_e32 v[2:3], v[2:3], v[26:27]
	s_delay_alu instid0(VALU_DEP_2) | instskip(SKIP_4) | instid1(VALU_DEP_2)
	v_add_f64_e32 v[58:59], v[28:29], v[62:63]
	ds_load_b128 v[26:29], v40 offset:1280
	s_wait_dscnt 0x0
	v_mul_f64_e32 v[30:31], v[52:53], v[28:29]
	;; [unrolled: 10-line block ×3, first 2 shown]
	v_mul_f64_e32 v[24:25], v[30:31], v[24:25]
	v_fma_f64 v[50:51], v[30:31], v[22:23], -v[50:51]
	s_delay_alu instid0(VALU_DEP_2) | instskip(SKIP_1) | instid1(VALU_DEP_3)
	v_fmac_f64_e32 v[24:25], v[32:33], v[22:23]
	v_mul_f64_e32 v[22:23], v[32:33], v[28:29]
	v_add_f64_e32 v[46:47], v[46:47], v[50:51]
	s_delay_alu instid0(VALU_DEP_3) | instskip(SKIP_1) | instid1(VALU_DEP_4)
	v_add_f64_e32 v[48:49], v[24:25], v[48:49]
	v_mul_f64_e32 v[24:25], v[30:31], v[28:29]
	v_fma_f64 v[22:23], v[30:31], v[26:27], -v[22:23]
	s_delay_alu instid0(VALU_DEP_2) | instskip(NEXT) | instid1(VALU_DEP_2)
	v_fmac_f64_e32 v[24:25], v[32:33], v[26:27]
	v_add_f64_e32 v[36:37], v[36:37], v[22:23]
	s_delay_alu instid0(VALU_DEP_2) | instskip(SKIP_4) | instid1(VALU_DEP_2)
	v_add_f64_e32 v[34:35], v[24:25], v[34:35]
	ds_load_b128 v[22:25], v40 offset:1536
	s_wait_dscnt 0x0
	v_mul_f64_e32 v[26:27], v[56:57], v[24:25]
	v_mul_f64_e32 v[28:29], v[54:55], v[24:25]
	v_fma_f64 v[26:27], v[54:55], v[22:23], -v[26:27]
	s_delay_alu instid0(VALU_DEP_2) | instskip(NEXT) | instid1(VALU_DEP_2)
	v_fmac_f64_e32 v[28:29], v[56:57], v[22:23]
	v_add_f64_e32 v[2:3], v[2:3], v[26:27]
	s_delay_alu instid0(VALU_DEP_2) | instskip(SKIP_4) | instid1(VALU_DEP_2)
	v_add_f64_e32 v[50:51], v[28:29], v[58:59]
	ds_load_b128 v[26:29], v40 offset:1792
	s_wait_dscnt 0x0
	v_mul_f64_e32 v[30:31], v[56:57], v[28:29]
	;; [unrolled: 10-line block ×3, first 2 shown]
	v_mul_f64_e32 v[24:25], v[30:31], v[24:25]
	v_fma_f64 v[52:53], v[30:31], v[22:23], -v[52:53]
	s_delay_alu instid0(VALU_DEP_2) | instskip(SKIP_1) | instid1(VALU_DEP_3)
	v_fmac_f64_e32 v[24:25], v[32:33], v[22:23]
	v_mul_f64_e32 v[22:23], v[32:33], v[28:29]
	v_add_f64_e32 v[46:47], v[46:47], v[52:53]
	s_delay_alu instid0(VALU_DEP_3) | instskip(SKIP_1) | instid1(VALU_DEP_4)
	v_add_f64_e32 v[48:49], v[24:25], v[48:49]
	v_mul_f64_e32 v[24:25], v[30:31], v[28:29]
	v_fma_f64 v[22:23], v[30:31], v[26:27], -v[22:23]
	s_delay_alu instid0(VALU_DEP_2) | instskip(NEXT) | instid1(VALU_DEP_2)
	v_fmac_f64_e32 v[24:25], v[32:33], v[26:27]
	v_add_f64_e32 v[36:37], v[36:37], v[22:23]
	s_delay_alu instid0(VALU_DEP_2)
	v_add_f64_e32 v[34:35], v[24:25], v[34:35]
	ds_load_b128 v[22:25], v41 offset:64
	ds_load_b128 v[26:29], v40 offset:2048
	s_wait_dscnt 0x0
	v_mul_f64_e32 v[30:31], v[24:25], v[28:29]
	v_mul_f64_e32 v[32:33], v[22:23], v[28:29]
	s_delay_alu instid0(VALU_DEP_2) | instskip(NEXT) | instid1(VALU_DEP_2)
	v_fma_f64 v[30:31], v[22:23], v[26:27], -v[30:31]
	v_fmac_f64_e32 v[32:33], v[24:25], v[26:27]
	s_delay_alu instid0(VALU_DEP_2) | instskip(NEXT) | instid1(VALU_DEP_2)
	v_add_f64_e32 v[2:3], v[2:3], v[30:31]
	v_add_f64_e32 v[50:51], v[32:33], v[50:51]
	ds_load_b128 v[30:33], v40 offset:2304
	s_wait_dscnt 0x0
	v_mul_f64_e32 v[52:53], v[24:25], v[32:33]
	s_delay_alu instid0(VALU_DEP_1) | instskip(SKIP_1) | instid1(VALU_DEP_2)
	v_fma_f64 v[52:53], v[22:23], v[30:31], -v[52:53]
	v_mul_f64_e32 v[22:23], v[22:23], v[32:33]
	v_add_f64_e32 v[44:45], v[44:45], v[52:53]
	s_delay_alu instid0(VALU_DEP_2) | instskip(NEXT) | instid1(VALU_DEP_1)
	v_fmac_f64_e32 v[22:23], v[24:25], v[30:31]
	v_add_f64_e32 v[42:43], v[22:23], v[42:43]
	ds_load_b128 v[22:25], v41 offset:2112
	s_wait_dscnt 0x0
	v_mul_f64_e32 v[52:53], v[24:25], v[28:29]
	v_mul_f64_e32 v[28:29], v[22:23], v[28:29]
	s_delay_alu instid0(VALU_DEP_2) | instskip(NEXT) | instid1(VALU_DEP_2)
	v_fma_f64 v[52:53], v[22:23], v[26:27], -v[52:53]
	v_fmac_f64_e32 v[28:29], v[24:25], v[26:27]
	v_mul_f64_e32 v[26:27], v[24:25], v[32:33]
	s_delay_alu instid0(VALU_DEP_3) | instskip(NEXT) | instid1(VALU_DEP_3)
	v_add_f64_e32 v[46:47], v[46:47], v[52:53]
	v_add_f64_e32 v[48:49], v[28:29], v[48:49]
	s_delay_alu instid0(VALU_DEP_3) | instskip(SKIP_1) | instid1(VALU_DEP_2)
	v_fma_f64 v[26:27], v[22:23], v[30:31], -v[26:27]
	v_mul_f64_e32 v[22:23], v[22:23], v[32:33]
	v_add_f64_e32 v[36:37], v[36:37], v[26:27]
	s_delay_alu instid0(VALU_DEP_2) | instskip(NEXT) | instid1(VALU_DEP_1)
	v_fmac_f64_e32 v[22:23], v[24:25], v[30:31]
	v_add_f64_e32 v[34:35], v[22:23], v[34:35]
	ds_load_b128 v[22:25], v41 offset:80
	ds_load_b128 v[26:29], v40 offset:2560
	s_wait_dscnt 0x0
	v_mul_f64_e32 v[30:31], v[24:25], v[28:29]
	v_mul_f64_e32 v[32:33], v[22:23], v[28:29]
	s_delay_alu instid0(VALU_DEP_2) | instskip(NEXT) | instid1(VALU_DEP_2)
	v_fma_f64 v[30:31], v[22:23], v[26:27], -v[30:31]
	v_fmac_f64_e32 v[32:33], v[24:25], v[26:27]
	s_delay_alu instid0(VALU_DEP_2) | instskip(NEXT) | instid1(VALU_DEP_2)
	v_add_f64_e32 v[2:3], v[2:3], v[30:31]
	v_add_f64_e32 v[50:51], v[32:33], v[50:51]
	ds_load_b128 v[30:33], v40 offset:2816
	s_wait_dscnt 0x0
	v_mul_f64_e32 v[52:53], v[24:25], v[32:33]
	s_delay_alu instid0(VALU_DEP_1) | instskip(SKIP_1) | instid1(VALU_DEP_2)
	v_fma_f64 v[52:53], v[22:23], v[30:31], -v[52:53]
	v_mul_f64_e32 v[22:23], v[22:23], v[32:33]
	v_add_f64_e32 v[44:45], v[44:45], v[52:53]
	s_delay_alu instid0(VALU_DEP_2) | instskip(NEXT) | instid1(VALU_DEP_1)
	v_fmac_f64_e32 v[22:23], v[24:25], v[30:31]
	v_add_f64_e32 v[42:43], v[22:23], v[42:43]
	ds_load_b128 v[22:25], v41 offset:2128
	s_wait_dscnt 0x0
	v_mul_f64_e32 v[52:53], v[24:25], v[28:29]
	v_mul_f64_e32 v[28:29], v[22:23], v[28:29]
	s_delay_alu instid0(VALU_DEP_2) | instskip(NEXT) | instid1(VALU_DEP_2)
	v_fma_f64 v[52:53], v[22:23], v[26:27], -v[52:53]
	v_fmac_f64_e32 v[28:29], v[24:25], v[26:27]
	v_mul_f64_e32 v[26:27], v[24:25], v[32:33]
	s_delay_alu instid0(VALU_DEP_3) | instskip(NEXT) | instid1(VALU_DEP_3)
	v_add_f64_e32 v[46:47], v[46:47], v[52:53]
	v_add_f64_e32 v[48:49], v[28:29], v[48:49]
	s_delay_alu instid0(VALU_DEP_3) | instskip(SKIP_1) | instid1(VALU_DEP_2)
	v_fma_f64 v[26:27], v[22:23], v[30:31], -v[26:27]
	v_mul_f64_e32 v[22:23], v[22:23], v[32:33]
	v_add_f64_e32 v[36:37], v[36:37], v[26:27]
	s_delay_alu instid0(VALU_DEP_2) | instskip(NEXT) | instid1(VALU_DEP_1)
	v_fmac_f64_e32 v[22:23], v[24:25], v[30:31]
	;; [unrolled: 39-line block ×3, first 2 shown]
	v_add_f64_e32 v[54:55], v[22:23], v[34:35]
	ds_load_b128 v[22:25], v41 offset:112
	ds_load_b128 v[26:29], v40 offset:3584
	;; [unrolled: 1-line block ×3, first 2 shown]
	s_wait_dscnt 0x1
	v_mul_f64_e32 v[30:31], v[24:25], v[28:29]
	v_mul_f64_e32 v[32:33], v[22:23], v[28:29]
	s_delay_alu instid0(VALU_DEP_2) | instskip(NEXT) | instid1(VALU_DEP_2)
	v_fma_f64 v[30:31], v[22:23], v[26:27], -v[30:31]
	v_fmac_f64_e32 v[32:33], v[24:25], v[26:27]
	s_delay_alu instid0(VALU_DEP_2) | instskip(NEXT) | instid1(VALU_DEP_2)
	v_add_f64_e32 v[30:31], v[2:3], v[30:31]
	v_add_f64_e32 v[32:33], v[32:33], v[50:51]
	s_wait_dscnt 0x0
	v_mul_f64_e32 v[2:3], v[24:25], v[36:37]
	v_mul_f64_e32 v[50:51], v[22:23], v[36:37]
	s_delay_alu instid0(VALU_DEP_2) | instskip(NEXT) | instid1(VALU_DEP_2)
	v_fma_f64 v[2:3], v[22:23], v[34:35], -v[2:3]
	v_fmac_f64_e32 v[50:51], v[24:25], v[34:35]
	s_delay_alu instid0(VALU_DEP_2) | instskip(NEXT) | instid1(VALU_DEP_2)
	v_add_f64_e32 v[22:23], v[44:45], v[2:3]
	v_add_f64_e32 v[24:25], v[50:51], v[42:43]
	ds_load_b128 v[42:45], v41 offset:2160
	s_wait_dscnt 0x0
	s_barrier_signal -1
	s_barrier_wait -1
	v_mul_f64_e32 v[2:3], v[44:45], v[28:29]
	v_mul_f64_e32 v[28:29], v[42:43], v[28:29]
	s_delay_alu instid0(VALU_DEP_2) | instskip(NEXT) | instid1(VALU_DEP_2)
	v_fma_f64 v[2:3], v[42:43], v[26:27], -v[2:3]
	v_fmac_f64_e32 v[28:29], v[44:45], v[26:27]
	s_delay_alu instid0(VALU_DEP_2) | instskip(SKIP_1) | instid1(VALU_DEP_3)
	v_add_f64_e32 v[26:27], v[46:47], v[2:3]
	v_mul_f64_e32 v[2:3], v[44:45], v[36:37]
	v_add_f64_e32 v[28:29], v[28:29], v[48:49]
	s_delay_alu instid0(VALU_DEP_2) | instskip(SKIP_1) | instid1(VALU_DEP_2)
	v_fma_f64 v[2:3], v[42:43], v[34:35], -v[2:3]
	v_mul_f64_e32 v[42:43], v[42:43], v[36:37]
	v_add_f64_e32 v[36:37], v[52:53], v[2:3]
	s_delay_alu instid0(VALU_DEP_2) | instskip(NEXT) | instid1(VALU_DEP_1)
	v_fmac_f64_e32 v[42:43], v[44:45], v[34:35]
	v_add_f64_e32 v[34:35], v[42:43], v[54:55]
	s_cbranch_scc0 .LBB135_18
.LBB135_10:                             ;   Parent Loop BB135_7 Depth=1
                                        ; =>  This Inner Loop Header: Depth=2
	v_add_nc_u32_e32 v1, s0, v6
	s_delay_alu instid0(VALU_DEP_1) | instskip(SKIP_1) | instid1(SALU_CYCLE_1)
	v_cmp_le_i32_e32 vcc_lo, s5, v1
	s_or_b32 s1, s23, vcc_lo
	s_and_saveexec_b32 s25, s1
	s_delay_alu instid0(SALU_CYCLE_1)
	s_xor_b32 s1, exec_lo, s25
; %bb.11:                               ;   in Loop: Header=BB135_10 Depth=2
	v_dual_mov_b32 v1, v0 :: v_dual_mov_b32 v2, v0
	v_mov_b32_e32 v3, v0
	ds_store_b128 v7, v[0:3]
; %bb.12:                               ;   in Loop: Header=BB135_10 Depth=2
	s_and_not1_saveexec_b32 s1, s1
	s_cbranch_execz .LBB135_14
; %bb.13:                               ;   in Loop: Header=BB135_10 Depth=2
	global_load_b128 v[42:45], v[4:5], off
	s_wait_loadcnt 0x0
	ds_store_2addr_b64 v7, v[42:43], v[44:45] offset1:1
.LBB135_14:                             ;   in Loop: Header=BB135_10 Depth=2
	s_wait_xcnt 0x0
	s_or_b32 exec_lo, exec_lo, s1
	v_add_nc_u32_e32 v1, s0, v38
	s_delay_alu instid0(VALU_DEP_1) | instskip(SKIP_1) | instid1(SALU_CYCLE_1)
	v_cmp_le_i32_e32 vcc_lo, s5, v1
	s_or_b32 s1, vcc_lo, s24
	s_and_saveexec_b32 s25, s1
	s_delay_alu instid0(SALU_CYCLE_1)
	s_xor_b32 s1, exec_lo, s25
; %bb.15:                               ;   in Loop: Header=BB135_10 Depth=2
	v_dual_mov_b32 v1, v0 :: v_dual_mov_b32 v2, v0
	v_mov_b32_e32 v3, v0
	ds_store_b128 v39, v[0:3]
; %bb.16:                               ;   in Loop: Header=BB135_10 Depth=2
	s_and_not1_saveexec_b32 s1, s1
	s_cbranch_execz .LBB135_9
; %bb.17:                               ;   in Loop: Header=BB135_10 Depth=2
	global_load_b128 v[42:45], v[20:21], off
	s_wait_loadcnt 0x0
	ds_store_2addr_b64 v39, v[42:43], v[44:45] offset1:1
	s_branch .LBB135_9
.LBB135_18:                             ;   in Loop: Header=BB135_7 Depth=1
	s_mul_u64 s[0:1], s[28:29], s[6:7]
	s_delay_alu instid0(SALU_CYCLE_1) | instskip(NEXT) | instid1(SALU_CYCLE_1)
	s_lshl_b64 s[0:1], s[0:1], 4
	s_add_nc_u64 s[0:1], s[14:15], s[0:1]
	s_delay_alu instid0(SALU_CYCLE_1)
	v_lshl_add_u64 v[20:21], v[10:11], 4, s[0:1]
	s_and_saveexec_b32 s25, s31
	s_cbranch_execz .LBB135_23
; %bb.19:                               ;   in Loop: Header=BB135_7 Depth=1
	v_mul_f64_e32 v[2:3], s[18:19], v[32:33]
	v_mul_f64_e32 v[4:5], s[16:17], v[32:33]
	s_and_b32 vcc_lo, exec_lo, s30
	s_mov_b32 s26, -1
	s_delay_alu instid0(VALU_DEP_2) | instskip(NEXT) | instid1(VALU_DEP_2)
	v_fma_f64 v[2:3], s[16:17], v[30:31], -v[2:3]
	v_fmac_f64_e32 v[4:5], s[18:19], v[30:31]
	v_lshl_add_u64 v[30:31], v[8:9], 4, v[20:21]
	s_cbranch_vccz .LBB135_21
; %bb.20:                               ;   in Loop: Header=BB135_7 Depth=1
	global_load_b128 v[42:45], v[30:31], off
	s_mov_b32 s26, 0
	s_wait_loadcnt 0x0
	v_mul_f64_e32 v[32:33], s[12:13], v[44:45]
	v_mul_f64_e32 v[44:45], s[10:11], v[44:45]
	s_delay_alu instid0(VALU_DEP_2) | instskip(NEXT) | instid1(VALU_DEP_2)
	v_fma_f64 v[32:33], s[10:11], v[42:43], -v[32:33]
	v_fmac_f64_e32 v[44:45], s[12:13], v[42:43]
	s_delay_alu instid0(VALU_DEP_2) | instskip(NEXT) | instid1(VALU_DEP_2)
	v_add_f64_e32 v[42:43], v[2:3], v[32:33]
	v_add_f64_e32 v[44:45], v[4:5], v[44:45]
	global_store_b128 v[30:31], v[42:45], off
.LBB135_21:                             ;   in Loop: Header=BB135_7 Depth=1
	s_and_not1_b32 vcc_lo, exec_lo, s26
	s_cbranch_vccnz .LBB135_23
; %bb.22:                               ;   in Loop: Header=BB135_7 Depth=1
	global_store_b128 v[30:31], v[2:5], off
.LBB135_23:                             ;   in Loop: Header=BB135_7 Depth=1
	s_wait_xcnt 0x0
	s_or_b32 exec_lo, exec_lo, s25
	s_and_saveexec_b32 s25, s34
	s_cbranch_execz .LBB135_28
; %bb.24:                               ;   in Loop: Header=BB135_7 Depth=1
	v_mul_f64_e32 v[2:3], s[18:19], v[24:25]
	v_mul_f64_e32 v[4:5], s[16:17], v[24:25]
	v_lshl_add_u64 v[20:21], v[14:15], 4, v[20:21]
	s_and_not1_b32 vcc_lo, exec_lo, s30
	s_mov_b32 s26, -1
	s_delay_alu instid0(VALU_DEP_3) | instskip(NEXT) | instid1(VALU_DEP_3)
	v_fma_f64 v[2:3], s[16:17], v[22:23], -v[2:3]
	v_fmac_f64_e32 v[4:5], s[18:19], v[22:23]
	s_cbranch_vccnz .LBB135_26
; %bb.25:                               ;   in Loop: Header=BB135_7 Depth=1
	global_load_b128 v[22:25], v[20:21], off
	s_mov_b32 s26, 0
	s_wait_loadcnt 0x0
	v_mul_f64_e32 v[30:31], s[12:13], v[24:25]
	v_mul_f64_e32 v[24:25], s[10:11], v[24:25]
	s_delay_alu instid0(VALU_DEP_2) | instskip(NEXT) | instid1(VALU_DEP_2)
	v_fma_f64 v[30:31], s[10:11], v[22:23], -v[30:31]
	v_fmac_f64_e32 v[24:25], s[12:13], v[22:23]
	s_delay_alu instid0(VALU_DEP_2) | instskip(NEXT) | instid1(VALU_DEP_2)
	v_add_f64_e32 v[22:23], v[2:3], v[30:31]
	v_add_f64_e32 v[24:25], v[4:5], v[24:25]
	global_store_b128 v[20:21], v[22:25], off
.LBB135_26:                             ;   in Loop: Header=BB135_7 Depth=1
	s_and_not1_b32 vcc_lo, exec_lo, s26
	s_cbranch_vccnz .LBB135_28
; %bb.27:                               ;   in Loop: Header=BB135_7 Depth=1
	global_store_b128 v[20:21], v[2:5], off
.LBB135_28:                             ;   in Loop: Header=BB135_7 Depth=1
	s_wait_xcnt 0x0
	s_or_b32 exec_lo, exec_lo, s25
	v_lshl_add_u64 v[20:21], v[12:13], 4, s[0:1]
	s_and_saveexec_b32 s0, s35
	s_cbranch_execz .LBB135_33
; %bb.29:                               ;   in Loop: Header=BB135_7 Depth=1
	v_mul_f64_e32 v[2:3], s[18:19], v[28:29]
	v_mul_f64_e32 v[4:5], s[16:17], v[28:29]
	v_lshl_add_u64 v[22:23], v[8:9], 4, v[20:21]
	s_and_not1_b32 vcc_lo, exec_lo, s30
	s_mov_b32 s1, -1
	s_delay_alu instid0(VALU_DEP_3) | instskip(NEXT) | instid1(VALU_DEP_3)
	v_fma_f64 v[2:3], s[16:17], v[26:27], -v[2:3]
	v_fmac_f64_e32 v[4:5], s[18:19], v[26:27]
	s_cbranch_vccnz .LBB135_31
; %bb.30:                               ;   in Loop: Header=BB135_7 Depth=1
	global_load_b128 v[24:27], v[22:23], off
	s_mov_b32 s1, 0
	s_wait_loadcnt 0x0
	v_mul_f64_e32 v[28:29], s[12:13], v[26:27]
	v_mul_f64_e32 v[26:27], s[10:11], v[26:27]
	s_delay_alu instid0(VALU_DEP_2) | instskip(NEXT) | instid1(VALU_DEP_2)
	v_fma_f64 v[28:29], s[10:11], v[24:25], -v[28:29]
	v_fmac_f64_e32 v[26:27], s[12:13], v[24:25]
	s_delay_alu instid0(VALU_DEP_2) | instskip(NEXT) | instid1(VALU_DEP_2)
	v_add_f64_e32 v[24:25], v[2:3], v[28:29]
	v_add_f64_e32 v[26:27], v[4:5], v[26:27]
	global_store_b128 v[22:23], v[24:27], off
.LBB135_31:                             ;   in Loop: Header=BB135_7 Depth=1
	s_and_not1_b32 vcc_lo, exec_lo, s1
	s_cbranch_vccnz .LBB135_33
; %bb.32:                               ;   in Loop: Header=BB135_7 Depth=1
	global_store_b128 v[22:23], v[2:5], off
.LBB135_33:                             ;   in Loop: Header=BB135_7 Depth=1
	s_wait_xcnt 0x0
	s_or_b32 exec_lo, exec_lo, s0
	s_and_saveexec_b32 s0, s4
	s_cbranch_execz .LBB135_6
; %bb.34:                               ;   in Loop: Header=BB135_7 Depth=1
	s_delay_alu instid0(VALU_DEP_3) | instskip(SKIP_4) | instid1(VALU_DEP_3)
	v_mul_f64_e32 v[2:3], s[18:19], v[34:35]
	v_mul_f64_e32 v[4:5], s[16:17], v[34:35]
	v_lshl_add_u64 v[20:21], v[14:15], 4, v[20:21]
	s_and_not1_b32 vcc_lo, exec_lo, s30
	s_mov_b32 s1, -1
	v_fma_f64 v[2:3], s[16:17], v[36:37], -v[2:3]
	s_delay_alu instid0(VALU_DEP_3)
	v_fmac_f64_e32 v[4:5], s[18:19], v[36:37]
	s_cbranch_vccnz .LBB135_36
; %bb.35:                               ;   in Loop: Header=BB135_7 Depth=1
	global_load_b128 v[22:25], v[20:21], off
	s_mov_b32 s1, 0
	s_wait_loadcnt 0x0
	v_mul_f64_e32 v[26:27], s[12:13], v[24:25]
	v_mul_f64_e32 v[24:25], s[10:11], v[24:25]
	s_delay_alu instid0(VALU_DEP_2) | instskip(NEXT) | instid1(VALU_DEP_2)
	v_fma_f64 v[26:27], s[10:11], v[22:23], -v[26:27]
	v_fmac_f64_e32 v[24:25], s[12:13], v[22:23]
	s_delay_alu instid0(VALU_DEP_2) | instskip(NEXT) | instid1(VALU_DEP_2)
	v_add_f64_e32 v[22:23], v[2:3], v[26:27]
	v_add_f64_e32 v[24:25], v[4:5], v[24:25]
	global_store_b128 v[20:21], v[22:25], off
.LBB135_36:                             ;   in Loop: Header=BB135_7 Depth=1
	s_and_not1_b32 vcc_lo, exec_lo, s1
	s_cbranch_vccnz .LBB135_6
; %bb.37:                               ;   in Loop: Header=BB135_7 Depth=1
	global_store_b128 v[20:21], v[2:5], off
	s_branch .LBB135_6
.LBB135_38:
.LBB135_39:
	s_sendmsg sendmsg(MSG_DEALLOC_VGPRS)
	s_endpgm
	.section	.rodata,"a",@progbits
	.p2align	6, 0x0
	.amdhsa_kernel _ZL29rocblas_internal_gemmt_kernelIiLi16ELi32ELi8ELc78ELc78ELc76ELb0ELb0E19rocblas_complex_numIdES1_PKS1_PS1_EviT_T9_T10_S5_lS7_S5_lS6_T11_S5_li
		.amdhsa_group_segment_fixed_size 8192
		.amdhsa_private_segment_fixed_size 0
		.amdhsa_kernarg_size 116
		.amdhsa_user_sgpr_count 2
		.amdhsa_user_sgpr_dispatch_ptr 0
		.amdhsa_user_sgpr_queue_ptr 0
		.amdhsa_user_sgpr_kernarg_segment_ptr 1
		.amdhsa_user_sgpr_dispatch_id 0
		.amdhsa_user_sgpr_kernarg_preload_length 0
		.amdhsa_user_sgpr_kernarg_preload_offset 0
		.amdhsa_user_sgpr_private_segment_size 0
		.amdhsa_wavefront_size32 1
		.amdhsa_uses_dynamic_stack 0
		.amdhsa_enable_private_segment 0
		.amdhsa_system_sgpr_workgroup_id_x 1
		.amdhsa_system_sgpr_workgroup_id_y 1
		.amdhsa_system_sgpr_workgroup_id_z 1
		.amdhsa_system_sgpr_workgroup_info 0
		.amdhsa_system_vgpr_workitem_id 1
		.amdhsa_next_free_vgpr 66
		.amdhsa_next_free_sgpr 41
		.amdhsa_named_barrier_count 0
		.amdhsa_reserve_vcc 1
		.amdhsa_float_round_mode_32 0
		.amdhsa_float_round_mode_16_64 0
		.amdhsa_float_denorm_mode_32 3
		.amdhsa_float_denorm_mode_16_64 3
		.amdhsa_fp16_overflow 0
		.amdhsa_memory_ordered 1
		.amdhsa_forward_progress 1
		.amdhsa_inst_pref_size 26
		.amdhsa_round_robin_scheduling 0
		.amdhsa_exception_fp_ieee_invalid_op 0
		.amdhsa_exception_fp_denorm_src 0
		.amdhsa_exception_fp_ieee_div_zero 0
		.amdhsa_exception_fp_ieee_overflow 0
		.amdhsa_exception_fp_ieee_underflow 0
		.amdhsa_exception_fp_ieee_inexact 0
		.amdhsa_exception_int_div_zero 0
	.end_amdhsa_kernel
	.section	.text._ZL29rocblas_internal_gemmt_kernelIiLi16ELi32ELi8ELc78ELc78ELc76ELb0ELb0E19rocblas_complex_numIdES1_PKS1_PS1_EviT_T9_T10_S5_lS7_S5_lS6_T11_S5_li,"axG",@progbits,_ZL29rocblas_internal_gemmt_kernelIiLi16ELi32ELi8ELc78ELc78ELc76ELb0ELb0E19rocblas_complex_numIdES1_PKS1_PS1_EviT_T9_T10_S5_lS7_S5_lS6_T11_S5_li,comdat
.Lfunc_end135:
	.size	_ZL29rocblas_internal_gemmt_kernelIiLi16ELi32ELi8ELc78ELc78ELc76ELb0ELb0E19rocblas_complex_numIdES1_PKS1_PS1_EviT_T9_T10_S5_lS7_S5_lS6_T11_S5_li, .Lfunc_end135-_ZL29rocblas_internal_gemmt_kernelIiLi16ELi32ELi8ELc78ELc78ELc76ELb0ELb0E19rocblas_complex_numIdES1_PKS1_PS1_EviT_T9_T10_S5_lS7_S5_lS6_T11_S5_li
                                        ; -- End function
	.set _ZL29rocblas_internal_gemmt_kernelIiLi16ELi32ELi8ELc78ELc78ELc76ELb0ELb0E19rocblas_complex_numIdES1_PKS1_PS1_EviT_T9_T10_S5_lS7_S5_lS6_T11_S5_li.num_vgpr, 66
	.set _ZL29rocblas_internal_gemmt_kernelIiLi16ELi32ELi8ELc78ELc78ELc76ELb0ELb0E19rocblas_complex_numIdES1_PKS1_PS1_EviT_T9_T10_S5_lS7_S5_lS6_T11_S5_li.num_agpr, 0
	.set _ZL29rocblas_internal_gemmt_kernelIiLi16ELi32ELi8ELc78ELc78ELc76ELb0ELb0E19rocblas_complex_numIdES1_PKS1_PS1_EviT_T9_T10_S5_lS7_S5_lS6_T11_S5_li.numbered_sgpr, 41
	.set _ZL29rocblas_internal_gemmt_kernelIiLi16ELi32ELi8ELc78ELc78ELc76ELb0ELb0E19rocblas_complex_numIdES1_PKS1_PS1_EviT_T9_T10_S5_lS7_S5_lS6_T11_S5_li.num_named_barrier, 0
	.set _ZL29rocblas_internal_gemmt_kernelIiLi16ELi32ELi8ELc78ELc78ELc76ELb0ELb0E19rocblas_complex_numIdES1_PKS1_PS1_EviT_T9_T10_S5_lS7_S5_lS6_T11_S5_li.private_seg_size, 0
	.set _ZL29rocblas_internal_gemmt_kernelIiLi16ELi32ELi8ELc78ELc78ELc76ELb0ELb0E19rocblas_complex_numIdES1_PKS1_PS1_EviT_T9_T10_S5_lS7_S5_lS6_T11_S5_li.uses_vcc, 1
	.set _ZL29rocblas_internal_gemmt_kernelIiLi16ELi32ELi8ELc78ELc78ELc76ELb0ELb0E19rocblas_complex_numIdES1_PKS1_PS1_EviT_T9_T10_S5_lS7_S5_lS6_T11_S5_li.uses_flat_scratch, 0
	.set _ZL29rocblas_internal_gemmt_kernelIiLi16ELi32ELi8ELc78ELc78ELc76ELb0ELb0E19rocblas_complex_numIdES1_PKS1_PS1_EviT_T9_T10_S5_lS7_S5_lS6_T11_S5_li.has_dyn_sized_stack, 0
	.set _ZL29rocblas_internal_gemmt_kernelIiLi16ELi32ELi8ELc78ELc78ELc76ELb0ELb0E19rocblas_complex_numIdES1_PKS1_PS1_EviT_T9_T10_S5_lS7_S5_lS6_T11_S5_li.has_recursion, 0
	.set _ZL29rocblas_internal_gemmt_kernelIiLi16ELi32ELi8ELc78ELc78ELc76ELb0ELb0E19rocblas_complex_numIdES1_PKS1_PS1_EviT_T9_T10_S5_lS7_S5_lS6_T11_S5_li.has_indirect_call, 0
	.section	.AMDGPU.csdata,"",@progbits
; Kernel info:
; codeLenInByte = 3216
; TotalNumSgprs: 43
; NumVgprs: 66
; ScratchSize: 0
; MemoryBound: 0
; FloatMode: 240
; IeeeMode: 1
; LDSByteSize: 8192 bytes/workgroup (compile time only)
; SGPRBlocks: 0
; VGPRBlocks: 4
; NumSGPRsForWavesPerEU: 43
; NumVGPRsForWavesPerEU: 66
; NamedBarCnt: 0
; Occupancy: 12
; WaveLimiterHint : 0
; COMPUTE_PGM_RSRC2:SCRATCH_EN: 0
; COMPUTE_PGM_RSRC2:USER_SGPR: 2
; COMPUTE_PGM_RSRC2:TRAP_HANDLER: 0
; COMPUTE_PGM_RSRC2:TGID_X_EN: 1
; COMPUTE_PGM_RSRC2:TGID_Y_EN: 1
; COMPUTE_PGM_RSRC2:TGID_Z_EN: 1
; COMPUTE_PGM_RSRC2:TIDIG_COMP_CNT: 1
	.section	.text._ZL29rocblas_internal_gemmt_kernelIiLi16ELi32ELi8ELc78ELc84ELc76ELb0ELb0E19rocblas_complex_numIdES1_PKS1_PS1_EviT_T9_T10_S5_lS7_S5_lS6_T11_S5_li,"axG",@progbits,_ZL29rocblas_internal_gemmt_kernelIiLi16ELi32ELi8ELc78ELc84ELc76ELb0ELb0E19rocblas_complex_numIdES1_PKS1_PS1_EviT_T9_T10_S5_lS7_S5_lS6_T11_S5_li,comdat
	.globl	_ZL29rocblas_internal_gemmt_kernelIiLi16ELi32ELi8ELc78ELc84ELc76ELb0ELb0E19rocblas_complex_numIdES1_PKS1_PS1_EviT_T9_T10_S5_lS7_S5_lS6_T11_S5_li ; -- Begin function _ZL29rocblas_internal_gemmt_kernelIiLi16ELi32ELi8ELc78ELc84ELc76ELb0ELb0E19rocblas_complex_numIdES1_PKS1_PS1_EviT_T9_T10_S5_lS7_S5_lS6_T11_S5_li
	.p2align	8
	.type	_ZL29rocblas_internal_gemmt_kernelIiLi16ELi32ELi8ELc78ELc84ELc76ELb0ELb0E19rocblas_complex_numIdES1_PKS1_PS1_EviT_T9_T10_S5_lS7_S5_lS6_T11_S5_li,@function
_ZL29rocblas_internal_gemmt_kernelIiLi16ELi32ELi8ELc78ELc84ELc76ELb0ELb0E19rocblas_complex_numIdES1_PKS1_PS1_EviT_T9_T10_S5_lS7_S5_lS6_T11_S5_li: ; @_ZL29rocblas_internal_gemmt_kernelIiLi16ELi32ELi8ELc78ELc84ELc76ELb0ELb0E19rocblas_complex_numIdES1_PKS1_PS1_EviT_T9_T10_S5_lS7_S5_lS6_T11_S5_li
; %bb.0:
	s_clause 0x2
	s_load_b256 s[8:15], s[0:1], 0x40
	s_load_b64 s[4:5], s[0:1], 0x0
	s_load_b128 s[16:19], s[0:1], 0x8
	s_wait_kmcnt 0x0
	v_cmp_eq_f64_e64 s2, s[10:11], 1.0
	v_cmp_eq_f64_e64 s34, s[12:13], 0
	s_and_b32 s2, s2, s34
	s_delay_alu instid0(SALU_CYCLE_1)
	s_and_not1_b32 vcc_lo, exec_lo, s2
	s_mov_b32 s2, -1
	s_cbranch_vccnz .LBB136_3
; %bb.1:
	s_cmp_lg_u32 s5, 0
	s_cbranch_scc0 .LBB136_38
; %bb.2:
	v_cmp_neq_f64_e64 s2, s[16:17], 0
	v_cmp_neq_f64_e64 s3, s[18:19], 0
	s_or_b32 s2, s2, s3
.LBB136_3:
	s_delay_alu instid0(SALU_CYCLE_1)
	s_and_b32 vcc_lo, exec_lo, s2
	s_cbranch_vccz .LBB136_39
; %bb.4:
	s_load_b32 s33, s[0:1], 0x70
	s_bfe_u32 s2, ttmp6, 0x40014
	s_lshr_b32 s3, ttmp7, 16
	s_add_co_i32 s2, s2, 1
	s_bfe_u32 s6, ttmp6, 0x40008
	s_mul_i32 s2, s3, s2
	s_getreg_b32 s35, hwreg(HW_REG_IB_STS2, 6, 4)
	s_add_co_i32 s6, s6, s2
	s_cmp_eq_u32 s35, 0
	s_mov_b32 s7, 0
	s_cselect_b32 s6, s3, s6
	s_wait_kmcnt 0x0
	s_cmp_ge_u32 s6, s33
	s_cbranch_scc1 .LBB136_39
; %bb.5:
	s_clause 0x4
	s_load_b96 s[24:26], s[0:1], 0x18
	s_load_b32 s30, s[0:1], 0x38
	s_load_b32 s2, s[0:1], 0x60
	s_load_b128 s[20:23], s[0:1], 0x28
	s_load_b64 s[28:29], s[0:1], 0x68
	s_wait_xcnt 0x0
	s_bfe_u32 s1, ttmp6, 0x4000c
	s_bfe_u32 s38, ttmp6, 0x40010
	v_and_b32_e32 v1, 0x3ff, v0
	v_bfe_u32 v3, v0, 10, 10
	s_add_co_i32 s1, s1, 1
	s_and_b32 s39, ttmp7, 0xffff
	s_add_co_i32 s38, s38, 1
	s_and_b32 s0, ttmp6, 15
	s_mul_i32 s1, ttmp9, s1
	s_mul_i32 s38, s39, s38
	s_bfe_u32 s40, ttmp6, 0x40004
	v_and_b32_e32 v6, 7, v0
	v_lshl_add_u32 v0, v3, 4, v1
	s_add_co_i32 s0, s0, s1
	s_add_co_i32 s40, s40, s38
	v_cmp_neq_f64_e64 s36, s[16:17], 0
	s_wait_kmcnt 0x0
	s_ashr_i32 s27, s26, 31
	s_ashr_i32 s31, s30, 31
	;; [unrolled: 1-line block ×3, first 2 shown]
	s_cmp_eq_u32 s35, 0
	v_lshrrev_b32_e32 v8, 5, v0
	s_cselect_b32 s0, ttmp9, s0
	v_dual_lshrrev_b32 v5, 3, v0 :: v_dual_bitop2_b32 v10, 31, v0 bitop3:0x40
	s_cselect_b32 s1, s39, s40
	s_lshl_b32 s35, s0, 5
	v_mov_b32_e32 v0, 0
	s_lshl_b32 s0, s1, 5
	v_cmp_neq_f64_e64 s37, s[18:19], 0
	v_dual_add_nc_u32 v4, s0, v5 :: v_dual_bitop2_b32 v2, s35, v10 bitop3:0x54
	s_delay_alu instid0(VALU_DEP_3) | instskip(SKIP_3) | instid1(VALU_DEP_4)
	v_dual_mov_b32 v9, v0 :: v_dual_lshlrev_b32 v11, 4, v6
	v_dual_mov_b32 v7, v0 :: v_dual_lshlrev_b32 v10, 4, v10
	v_add_nc_u32_e32 v20, s0, v3
	v_cmp_neq_f64_e64 s38, s[10:11], 0
	v_mul_u64_e32 v[18:19], s[26:27], v[8:9]
	s_delay_alu instid0(VALU_DEP_4)
	v_mul_u64_e32 v[22:23], s[30:31], v[6:7]
	v_lshl_or_b32 v7, v8, 9, v10
	v_dual_add_nc_u32 v24, 16, v20 :: v_dual_ashrrev_i32 v21, 31, v20
	v_add_nc_u32_e32 v10, s35, v1
	v_lshl_or_b32 v5, v5, 7, v11
	v_lshl_add_u32 v41, v3, 7, 0x1000
	s_delay_alu instid0(VALU_DEP_4) | instskip(SKIP_3) | instid1(VALU_DEP_4)
	v_ashrrev_i32_e32 v25, 31, v24
	v_mul_u64_e32 v[12:13], s[2:3], v[20:21]
	v_dual_add_nc_u32 v16, 16, v10 :: v_dual_ashrrev_i32 v11, 31, v10
	v_add_nc_u32_e32 v9, 0x1000, v5
	v_mul_u64_e32 v[14:15], s[2:3], v[24:25]
	v_dual_ashrrev_i32 v5, 31, v4 :: v_dual_lshlrev_b32 v40, 4, v1
	s_delay_alu instid0(VALU_DEP_4) | instskip(SKIP_2) | instid1(VALU_DEP_4)
	v_dual_ashrrev_i32 v3, 31, v2 :: v_dual_ashrrev_i32 v17, 31, v16
	v_cmp_gt_i32_e32 vcc_lo, s4, v2
	v_cmp_gt_i32_e64 s0, s4, v4
	v_lshlrev_b64_e32 v[4:5], 4, v[4:5]
	s_delay_alu instid0(VALU_DEP_4)
	v_lshlrev_b64_e32 v[2:3], 4, v[2:3]
	v_cmp_le_i32_e64 s1, v20, v10
	s_or_b32 s39, s36, s37
	s_cmp_gt_i32 s5, 0
	v_cmp_gt_i32_e64 s2, s4, v10
	s_cselect_b32 s40, -1, 0
	s_xor_b32 s3, s34, -1
	v_cmp_gt_i32_e64 s4, s4, v16
	s_lshl_b64 s[8:9], s[8:9], 4
	s_and_b32 s35, s1, s2
	s_or_b32 s34, s38, s3
	v_cmp_le_i32_e64 s3, v20, v16
	v_lshl_add_u64 v[2:3], v[18:19], 4, v[2:3]
	v_lshl_add_u64 v[4:5], v[22:23], 4, v[4:5]
	v_cmp_le_i32_e64 s1, v24, v10
	s_and_b32 s36, s3, s4
	v_cmp_le_i32_e64 s3, v24, v16
	v_add_nc_u64_e32 v[18:19], s[24:25], v[2:3]
	v_add_nc_u64_e32 v[20:21], s[22:23], v[4:5]
	s_and_b32 s37, s1, s2
	s_and_b32 s24, s39, s40
	;; [unrolled: 1-line block ×3, first 2 shown]
	s_lshl_b64 s[2:3], s[20:21], 4
	s_lshl_b64 s[20:21], s[26:27], 7
	;; [unrolled: 1-line block ×3, first 2 shown]
	s_xor_b32 s25, vcc_lo, -1
	s_xor_b32 s26, s0, -1
	s_branch .LBB136_7
.LBB136_6:                              ;   in Loop: Header=BB136_7 Depth=1
	s_wait_xcnt 0x0
	s_or_b32 exec_lo, exec_lo, s0
	s_add_co_i32 s6, s6, 0x10000
	s_delay_alu instid0(SALU_CYCLE_1)
	s_cmp_lt_u32 s6, s33
	s_cbranch_scc0 .LBB136_39
.LBB136_7:                              ; =>This Loop Header: Depth=1
                                        ;     Child Loop BB136_10 Depth 2
	v_mov_b64_e32 v[32:33], 0
	v_mov_b64_e32 v[34:35], 0
	;; [unrolled: 1-line block ×8, first 2 shown]
	s_and_not1_b32 vcc_lo, exec_lo, s24
	s_cbranch_vccnz .LBB136_18
; %bb.8:                                ;   in Loop: Header=BB136_7 Depth=1
	v_mad_nc_u64_u32 v[4:5], s2, s6, v[18:19]
	v_mad_nc_u64_u32 v[22:23], s8, s6, v[20:21]
	v_mov_b64_e32 v[36:37], 0
	v_mov_b64_e32 v[38:39], 0
	;; [unrolled: 1-line block ×8, first 2 shown]
	s_mov_b32 s0, 0
	v_mad_u32 v5, s3, s6, v5
	v_mad_u32 v23, s9, s6, v23
	s_branch .LBB136_10
.LBB136_9:                              ;   in Loop: Header=BB136_10 Depth=2
	s_wait_xcnt 0x0
	s_or_b32 exec_lo, exec_lo, s1
	s_wait_dscnt 0x0
	s_barrier_signal -1
	s_barrier_wait -1
	ds_load_b128 v[42:45], v41
	ds_load_b128 v[46:49], v41 offset:16
	ds_load_b128 v[50:53], v41 offset:32
	;; [unrolled: 1-line block ×3, first 2 shown]
	ds_load_b128 v[58:61], v40
	v_add_nc_u64_e32 v[4:5], s[20:21], v[4:5]
	v_add_nc_u64_e32 v[22:23], s[22:23], v[22:23]
	s_add_co_i32 s0, s0, 8
	s_delay_alu instid0(SALU_CYCLE_1) | instskip(SKIP_3) | instid1(VALU_DEP_2)
	s_cmp_lt_i32 s0, s5
	s_wait_dscnt 0x0
	v_mul_f64_e32 v[2:3], v[44:45], v[60:61]
	v_mul_f64_e32 v[62:63], v[42:43], v[60:61]
	v_fma_f64 v[2:3], v[42:43], v[58:59], -v[2:3]
	s_delay_alu instid0(VALU_DEP_2) | instskip(NEXT) | instid1(VALU_DEP_2)
	v_fmac_f64_e32 v[62:63], v[44:45], v[58:59]
	v_add_f64_e32 v[2:3], v[32:33], v[2:3]
	s_delay_alu instid0(VALU_DEP_2) | instskip(SKIP_3) | instid1(VALU_DEP_1)
	v_add_f64_e32 v[62:63], v[62:63], v[34:35]
	ds_load_b128 v[32:35], v40 offset:256
	s_wait_dscnt 0x0
	v_mul_f64_e32 v[64:65], v[44:45], v[34:35]
	v_fma_f64 v[64:65], v[42:43], v[32:33], -v[64:65]
	v_mul_f64_e32 v[42:43], v[42:43], v[34:35]
	s_delay_alu instid0(VALU_DEP_1) | instskip(NEXT) | instid1(VALU_DEP_3)
	v_fmac_f64_e32 v[42:43], v[44:45], v[32:33]
	v_add_f64_e32 v[44:45], v[24:25], v[64:65]
	s_delay_alu instid0(VALU_DEP_2) | instskip(SKIP_4) | instid1(VALU_DEP_2)
	v_add_f64_e32 v[42:43], v[42:43], v[26:27]
	ds_load_b128 v[24:27], v41 offset:2048
	s_wait_dscnt 0x0
	v_mul_f64_e32 v[64:65], v[26:27], v[60:61]
	v_mul_f64_e32 v[60:61], v[24:25], v[60:61]
	v_fma_f64 v[64:65], v[24:25], v[58:59], -v[64:65]
	s_delay_alu instid0(VALU_DEP_2) | instskip(NEXT) | instid1(VALU_DEP_2)
	v_fmac_f64_e32 v[60:61], v[26:27], v[58:59]
	v_add_f64_e32 v[58:59], v[28:29], v[64:65]
	v_mul_f64_e32 v[28:29], v[26:27], v[34:35]
	s_delay_alu instid0(VALU_DEP_3) | instskip(NEXT) | instid1(VALU_DEP_2)
	v_add_f64_e32 v[60:61], v[60:61], v[30:31]
	v_fma_f64 v[28:29], v[24:25], v[32:33], -v[28:29]
	v_mul_f64_e32 v[24:25], v[24:25], v[34:35]
	s_delay_alu instid0(VALU_DEP_2) | instskip(NEXT) | instid1(VALU_DEP_2)
	v_add_f64_e32 v[38:39], v[38:39], v[28:29]
	v_fmac_f64_e32 v[24:25], v[26:27], v[32:33]
	s_delay_alu instid0(VALU_DEP_1) | instskip(SKIP_4) | instid1(VALU_DEP_2)
	v_add_f64_e32 v[36:37], v[24:25], v[36:37]
	ds_load_b128 v[24:27], v40 offset:512
	s_wait_dscnt 0x0
	v_mul_f64_e32 v[28:29], v[48:49], v[26:27]
	v_mul_f64_e32 v[30:31], v[46:47], v[26:27]
	v_fma_f64 v[28:29], v[46:47], v[24:25], -v[28:29]
	s_delay_alu instid0(VALU_DEP_2) | instskip(NEXT) | instid1(VALU_DEP_2)
	v_fmac_f64_e32 v[30:31], v[48:49], v[24:25]
	v_add_f64_e32 v[2:3], v[2:3], v[28:29]
	s_delay_alu instid0(VALU_DEP_2) | instskip(SKIP_4) | instid1(VALU_DEP_2)
	v_add_f64_e32 v[62:63], v[30:31], v[62:63]
	ds_load_b128 v[28:31], v40 offset:768
	s_wait_dscnt 0x0
	v_mul_f64_e32 v[32:33], v[48:49], v[30:31]
	v_mul_f64_e32 v[34:35], v[46:47], v[30:31]
	v_fma_f64 v[32:33], v[46:47], v[28:29], -v[32:33]
	s_delay_alu instid0(VALU_DEP_2) | instskip(NEXT) | instid1(VALU_DEP_2)
	v_fmac_f64_e32 v[34:35], v[48:49], v[28:29]
	v_add_f64_e32 v[44:45], v[44:45], v[32:33]
	s_delay_alu instid0(VALU_DEP_2) | instskip(SKIP_4) | instid1(VALU_DEP_2)
	v_add_f64_e32 v[42:43], v[34:35], v[42:43]
	ds_load_b128 v[32:35], v41 offset:2064
	s_wait_dscnt 0x0
	v_mul_f64_e32 v[46:47], v[34:35], v[26:27]
	v_mul_f64_e32 v[26:27], v[32:33], v[26:27]
	v_fma_f64 v[46:47], v[32:33], v[24:25], -v[46:47]
	s_delay_alu instid0(VALU_DEP_2) | instskip(SKIP_1) | instid1(VALU_DEP_3)
	v_fmac_f64_e32 v[26:27], v[34:35], v[24:25]
	v_mul_f64_e32 v[24:25], v[34:35], v[30:31]
	v_add_f64_e32 v[46:47], v[58:59], v[46:47]
	s_delay_alu instid0(VALU_DEP_3) | instskip(SKIP_1) | instid1(VALU_DEP_4)
	v_add_f64_e32 v[48:49], v[26:27], v[60:61]
	v_mul_f64_e32 v[26:27], v[32:33], v[30:31]
	v_fma_f64 v[24:25], v[32:33], v[28:29], -v[24:25]
	s_delay_alu instid0(VALU_DEP_2) | instskip(NEXT) | instid1(VALU_DEP_2)
	v_fmac_f64_e32 v[26:27], v[34:35], v[28:29]
	v_add_f64_e32 v[38:39], v[38:39], v[24:25]
	s_delay_alu instid0(VALU_DEP_2) | instskip(SKIP_4) | instid1(VALU_DEP_2)
	v_add_f64_e32 v[36:37], v[26:27], v[36:37]
	ds_load_b128 v[24:27], v40 offset:1024
	s_wait_dscnt 0x0
	v_mul_f64_e32 v[28:29], v[52:53], v[26:27]
	v_mul_f64_e32 v[30:31], v[50:51], v[26:27]
	v_fma_f64 v[28:29], v[50:51], v[24:25], -v[28:29]
	s_delay_alu instid0(VALU_DEP_2) | instskip(NEXT) | instid1(VALU_DEP_2)
	v_fmac_f64_e32 v[30:31], v[52:53], v[24:25]
	v_add_f64_e32 v[2:3], v[2:3], v[28:29]
	s_delay_alu instid0(VALU_DEP_2) | instskip(SKIP_4) | instid1(VALU_DEP_2)
	v_add_f64_e32 v[58:59], v[30:31], v[62:63]
	ds_load_b128 v[28:31], v40 offset:1280
	s_wait_dscnt 0x0
	v_mul_f64_e32 v[32:33], v[52:53], v[30:31]
	;; [unrolled: 10-line block ×3, first 2 shown]
	v_mul_f64_e32 v[26:27], v[32:33], v[26:27]
	v_fma_f64 v[50:51], v[32:33], v[24:25], -v[50:51]
	s_delay_alu instid0(VALU_DEP_2) | instskip(SKIP_1) | instid1(VALU_DEP_3)
	v_fmac_f64_e32 v[26:27], v[34:35], v[24:25]
	v_mul_f64_e32 v[24:25], v[34:35], v[30:31]
	v_add_f64_e32 v[46:47], v[46:47], v[50:51]
	s_delay_alu instid0(VALU_DEP_3) | instskip(SKIP_1) | instid1(VALU_DEP_4)
	v_add_f64_e32 v[48:49], v[26:27], v[48:49]
	v_mul_f64_e32 v[26:27], v[32:33], v[30:31]
	v_fma_f64 v[24:25], v[32:33], v[28:29], -v[24:25]
	s_delay_alu instid0(VALU_DEP_2) | instskip(NEXT) | instid1(VALU_DEP_2)
	v_fmac_f64_e32 v[26:27], v[34:35], v[28:29]
	v_add_f64_e32 v[38:39], v[38:39], v[24:25]
	s_delay_alu instid0(VALU_DEP_2) | instskip(SKIP_4) | instid1(VALU_DEP_2)
	v_add_f64_e32 v[36:37], v[26:27], v[36:37]
	ds_load_b128 v[24:27], v40 offset:1536
	s_wait_dscnt 0x0
	v_mul_f64_e32 v[28:29], v[56:57], v[26:27]
	v_mul_f64_e32 v[30:31], v[54:55], v[26:27]
	v_fma_f64 v[28:29], v[54:55], v[24:25], -v[28:29]
	s_delay_alu instid0(VALU_DEP_2) | instskip(NEXT) | instid1(VALU_DEP_2)
	v_fmac_f64_e32 v[30:31], v[56:57], v[24:25]
	v_add_f64_e32 v[2:3], v[2:3], v[28:29]
	s_delay_alu instid0(VALU_DEP_2) | instskip(SKIP_4) | instid1(VALU_DEP_2)
	v_add_f64_e32 v[50:51], v[30:31], v[58:59]
	ds_load_b128 v[28:31], v40 offset:1792
	s_wait_dscnt 0x0
	v_mul_f64_e32 v[32:33], v[56:57], v[30:31]
	v_mul_f64_e32 v[34:35], v[54:55], v[30:31]
	v_fma_f64 v[32:33], v[54:55], v[28:29], -v[32:33]
	s_delay_alu instid0(VALU_DEP_2) | instskip(NEXT) | instid1(VALU_DEP_2)
	v_fmac_f64_e32 v[34:35], v[56:57], v[28:29]
	v_add_f64_e32 v[44:45], v[44:45], v[32:33]
	s_delay_alu instid0(VALU_DEP_2) | instskip(SKIP_4) | instid1(VALU_DEP_2)
	v_add_f64_e32 v[42:43], v[34:35], v[42:43]
	ds_load_b128 v[32:35], v41 offset:2096
	s_wait_dscnt 0x0
	v_mul_f64_e32 v[52:53], v[34:35], v[26:27]
	v_mul_f64_e32 v[26:27], v[32:33], v[26:27]
	v_fma_f64 v[52:53], v[32:33], v[24:25], -v[52:53]
	s_delay_alu instid0(VALU_DEP_2) | instskip(SKIP_1) | instid1(VALU_DEP_3)
	v_fmac_f64_e32 v[26:27], v[34:35], v[24:25]
	v_mul_f64_e32 v[24:25], v[34:35], v[30:31]
	v_add_f64_e32 v[46:47], v[46:47], v[52:53]
	s_delay_alu instid0(VALU_DEP_3) | instskip(SKIP_1) | instid1(VALU_DEP_4)
	v_add_f64_e32 v[48:49], v[26:27], v[48:49]
	v_mul_f64_e32 v[26:27], v[32:33], v[30:31]
	v_fma_f64 v[24:25], v[32:33], v[28:29], -v[24:25]
	s_delay_alu instid0(VALU_DEP_2) | instskip(NEXT) | instid1(VALU_DEP_2)
	v_fmac_f64_e32 v[26:27], v[34:35], v[28:29]
	v_add_f64_e32 v[38:39], v[38:39], v[24:25]
	s_delay_alu instid0(VALU_DEP_2)
	v_add_f64_e32 v[36:37], v[26:27], v[36:37]
	ds_load_b128 v[24:27], v41 offset:64
	ds_load_b128 v[28:31], v40 offset:2048
	s_wait_dscnt 0x0
	v_mul_f64_e32 v[32:33], v[26:27], v[30:31]
	v_mul_f64_e32 v[34:35], v[24:25], v[30:31]
	s_delay_alu instid0(VALU_DEP_2) | instskip(NEXT) | instid1(VALU_DEP_2)
	v_fma_f64 v[32:33], v[24:25], v[28:29], -v[32:33]
	v_fmac_f64_e32 v[34:35], v[26:27], v[28:29]
	s_delay_alu instid0(VALU_DEP_2) | instskip(NEXT) | instid1(VALU_DEP_2)
	v_add_f64_e32 v[2:3], v[2:3], v[32:33]
	v_add_f64_e32 v[50:51], v[34:35], v[50:51]
	ds_load_b128 v[32:35], v40 offset:2304
	s_wait_dscnt 0x0
	v_mul_f64_e32 v[52:53], v[26:27], v[34:35]
	s_delay_alu instid0(VALU_DEP_1) | instskip(SKIP_1) | instid1(VALU_DEP_2)
	v_fma_f64 v[52:53], v[24:25], v[32:33], -v[52:53]
	v_mul_f64_e32 v[24:25], v[24:25], v[34:35]
	v_add_f64_e32 v[44:45], v[44:45], v[52:53]
	s_delay_alu instid0(VALU_DEP_2) | instskip(NEXT) | instid1(VALU_DEP_1)
	v_fmac_f64_e32 v[24:25], v[26:27], v[32:33]
	v_add_f64_e32 v[42:43], v[24:25], v[42:43]
	ds_load_b128 v[24:27], v41 offset:2112
	s_wait_dscnt 0x0
	v_mul_f64_e32 v[52:53], v[26:27], v[30:31]
	v_mul_f64_e32 v[30:31], v[24:25], v[30:31]
	s_delay_alu instid0(VALU_DEP_2) | instskip(NEXT) | instid1(VALU_DEP_2)
	v_fma_f64 v[52:53], v[24:25], v[28:29], -v[52:53]
	v_fmac_f64_e32 v[30:31], v[26:27], v[28:29]
	v_mul_f64_e32 v[28:29], v[26:27], v[34:35]
	s_delay_alu instid0(VALU_DEP_3) | instskip(NEXT) | instid1(VALU_DEP_3)
	v_add_f64_e32 v[46:47], v[46:47], v[52:53]
	v_add_f64_e32 v[48:49], v[30:31], v[48:49]
	s_delay_alu instid0(VALU_DEP_3) | instskip(SKIP_1) | instid1(VALU_DEP_2)
	v_fma_f64 v[28:29], v[24:25], v[32:33], -v[28:29]
	v_mul_f64_e32 v[24:25], v[24:25], v[34:35]
	v_add_f64_e32 v[38:39], v[38:39], v[28:29]
	s_delay_alu instid0(VALU_DEP_2) | instskip(NEXT) | instid1(VALU_DEP_1)
	v_fmac_f64_e32 v[24:25], v[26:27], v[32:33]
	v_add_f64_e32 v[36:37], v[24:25], v[36:37]
	ds_load_b128 v[24:27], v41 offset:80
	ds_load_b128 v[28:31], v40 offset:2560
	s_wait_dscnt 0x0
	v_mul_f64_e32 v[32:33], v[26:27], v[30:31]
	v_mul_f64_e32 v[34:35], v[24:25], v[30:31]
	s_delay_alu instid0(VALU_DEP_2) | instskip(NEXT) | instid1(VALU_DEP_2)
	v_fma_f64 v[32:33], v[24:25], v[28:29], -v[32:33]
	v_fmac_f64_e32 v[34:35], v[26:27], v[28:29]
	s_delay_alu instid0(VALU_DEP_2) | instskip(NEXT) | instid1(VALU_DEP_2)
	v_add_f64_e32 v[2:3], v[2:3], v[32:33]
	v_add_f64_e32 v[50:51], v[34:35], v[50:51]
	ds_load_b128 v[32:35], v40 offset:2816
	s_wait_dscnt 0x0
	v_mul_f64_e32 v[52:53], v[26:27], v[34:35]
	s_delay_alu instid0(VALU_DEP_1) | instskip(SKIP_1) | instid1(VALU_DEP_2)
	v_fma_f64 v[52:53], v[24:25], v[32:33], -v[52:53]
	v_mul_f64_e32 v[24:25], v[24:25], v[34:35]
	v_add_f64_e32 v[44:45], v[44:45], v[52:53]
	s_delay_alu instid0(VALU_DEP_2) | instskip(NEXT) | instid1(VALU_DEP_1)
	v_fmac_f64_e32 v[24:25], v[26:27], v[32:33]
	v_add_f64_e32 v[42:43], v[24:25], v[42:43]
	ds_load_b128 v[24:27], v41 offset:2128
	s_wait_dscnt 0x0
	v_mul_f64_e32 v[52:53], v[26:27], v[30:31]
	v_mul_f64_e32 v[30:31], v[24:25], v[30:31]
	s_delay_alu instid0(VALU_DEP_2) | instskip(NEXT) | instid1(VALU_DEP_2)
	v_fma_f64 v[52:53], v[24:25], v[28:29], -v[52:53]
	v_fmac_f64_e32 v[30:31], v[26:27], v[28:29]
	v_mul_f64_e32 v[28:29], v[26:27], v[34:35]
	s_delay_alu instid0(VALU_DEP_3) | instskip(NEXT) | instid1(VALU_DEP_3)
	v_add_f64_e32 v[46:47], v[46:47], v[52:53]
	v_add_f64_e32 v[48:49], v[30:31], v[48:49]
	s_delay_alu instid0(VALU_DEP_3) | instskip(SKIP_1) | instid1(VALU_DEP_2)
	v_fma_f64 v[28:29], v[24:25], v[32:33], -v[28:29]
	v_mul_f64_e32 v[24:25], v[24:25], v[34:35]
	v_add_f64_e32 v[38:39], v[38:39], v[28:29]
	s_delay_alu instid0(VALU_DEP_2) | instskip(NEXT) | instid1(VALU_DEP_1)
	v_fmac_f64_e32 v[24:25], v[26:27], v[32:33]
	v_add_f64_e32 v[36:37], v[24:25], v[36:37]
	ds_load_b128 v[24:27], v41 offset:96
	ds_load_b128 v[28:31], v40 offset:3072
	s_wait_dscnt 0x0
	v_mul_f64_e32 v[32:33], v[26:27], v[30:31]
	v_mul_f64_e32 v[34:35], v[24:25], v[30:31]
	s_delay_alu instid0(VALU_DEP_2) | instskip(NEXT) | instid1(VALU_DEP_2)
	v_fma_f64 v[32:33], v[24:25], v[28:29], -v[32:33]
	v_fmac_f64_e32 v[34:35], v[26:27], v[28:29]
	s_delay_alu instid0(VALU_DEP_2) | instskip(NEXT) | instid1(VALU_DEP_2)
	v_add_f64_e32 v[2:3], v[2:3], v[32:33]
	v_add_f64_e32 v[50:51], v[34:35], v[50:51]
	ds_load_b128 v[32:35], v40 offset:3328
	s_wait_dscnt 0x0
	v_mul_f64_e32 v[52:53], v[26:27], v[34:35]
	s_delay_alu instid0(VALU_DEP_1) | instskip(SKIP_1) | instid1(VALU_DEP_2)
	v_fma_f64 v[52:53], v[24:25], v[32:33], -v[52:53]
	v_mul_f64_e32 v[24:25], v[24:25], v[34:35]
	v_add_f64_e32 v[44:45], v[44:45], v[52:53]
	s_delay_alu instid0(VALU_DEP_2) | instskip(NEXT) | instid1(VALU_DEP_1)
	v_fmac_f64_e32 v[24:25], v[26:27], v[32:33]
	v_add_f64_e32 v[42:43], v[24:25], v[42:43]
	ds_load_b128 v[24:27], v41 offset:2144
	s_wait_dscnt 0x0
	v_mul_f64_e32 v[52:53], v[26:27], v[30:31]
	v_mul_f64_e32 v[30:31], v[24:25], v[30:31]
	s_delay_alu instid0(VALU_DEP_2) | instskip(NEXT) | instid1(VALU_DEP_2)
	v_fma_f64 v[52:53], v[24:25], v[28:29], -v[52:53]
	v_fmac_f64_e32 v[30:31], v[26:27], v[28:29]
	v_mul_f64_e32 v[28:29], v[26:27], v[34:35]
	s_delay_alu instid0(VALU_DEP_3) | instskip(NEXT) | instid1(VALU_DEP_3)
	v_add_f64_e32 v[46:47], v[46:47], v[52:53]
	v_add_f64_e32 v[48:49], v[30:31], v[48:49]
	s_delay_alu instid0(VALU_DEP_3) | instskip(SKIP_1) | instid1(VALU_DEP_2)
	v_fma_f64 v[28:29], v[24:25], v[32:33], -v[28:29]
	v_mul_f64_e32 v[24:25], v[24:25], v[34:35]
	v_add_f64_e32 v[52:53], v[38:39], v[28:29]
	s_delay_alu instid0(VALU_DEP_2) | instskip(NEXT) | instid1(VALU_DEP_1)
	v_fmac_f64_e32 v[24:25], v[26:27], v[32:33]
	v_add_f64_e32 v[54:55], v[24:25], v[36:37]
	ds_load_b128 v[24:27], v41 offset:112
	ds_load_b128 v[28:31], v40 offset:3584
	;; [unrolled: 1-line block ×3, first 2 shown]
	s_wait_dscnt 0x1
	v_mul_f64_e32 v[32:33], v[26:27], v[30:31]
	v_mul_f64_e32 v[34:35], v[24:25], v[30:31]
	s_delay_alu instid0(VALU_DEP_2) | instskip(NEXT) | instid1(VALU_DEP_2)
	v_fma_f64 v[32:33], v[24:25], v[28:29], -v[32:33]
	v_fmac_f64_e32 v[34:35], v[26:27], v[28:29]
	s_delay_alu instid0(VALU_DEP_2) | instskip(NEXT) | instid1(VALU_DEP_2)
	v_add_f64_e32 v[32:33], v[2:3], v[32:33]
	v_add_f64_e32 v[34:35], v[34:35], v[50:51]
	s_wait_dscnt 0x0
	v_mul_f64_e32 v[2:3], v[26:27], v[38:39]
	v_mul_f64_e32 v[50:51], v[24:25], v[38:39]
	s_delay_alu instid0(VALU_DEP_2) | instskip(NEXT) | instid1(VALU_DEP_2)
	v_fma_f64 v[2:3], v[24:25], v[36:37], -v[2:3]
	v_fmac_f64_e32 v[50:51], v[26:27], v[36:37]
	s_delay_alu instid0(VALU_DEP_2) | instskip(NEXT) | instid1(VALU_DEP_2)
	v_add_f64_e32 v[24:25], v[44:45], v[2:3]
	v_add_f64_e32 v[26:27], v[50:51], v[42:43]
	ds_load_b128 v[42:45], v41 offset:2160
	s_wait_dscnt 0x0
	s_barrier_signal -1
	s_barrier_wait -1
	v_mul_f64_e32 v[2:3], v[44:45], v[30:31]
	v_mul_f64_e32 v[30:31], v[42:43], v[30:31]
	s_delay_alu instid0(VALU_DEP_2) | instskip(NEXT) | instid1(VALU_DEP_2)
	v_fma_f64 v[2:3], v[42:43], v[28:29], -v[2:3]
	v_fmac_f64_e32 v[30:31], v[44:45], v[28:29]
	s_delay_alu instid0(VALU_DEP_2) | instskip(SKIP_1) | instid1(VALU_DEP_3)
	v_add_f64_e32 v[28:29], v[46:47], v[2:3]
	v_mul_f64_e32 v[2:3], v[44:45], v[38:39]
	v_add_f64_e32 v[30:31], v[30:31], v[48:49]
	s_delay_alu instid0(VALU_DEP_2) | instskip(SKIP_1) | instid1(VALU_DEP_2)
	v_fma_f64 v[2:3], v[42:43], v[36:37], -v[2:3]
	v_mul_f64_e32 v[42:43], v[42:43], v[38:39]
	v_add_f64_e32 v[38:39], v[52:53], v[2:3]
	s_delay_alu instid0(VALU_DEP_2) | instskip(NEXT) | instid1(VALU_DEP_1)
	v_fmac_f64_e32 v[42:43], v[44:45], v[36:37]
	v_add_f64_e32 v[36:37], v[42:43], v[54:55]
	s_cbranch_scc0 .LBB136_18
.LBB136_10:                             ;   Parent Loop BB136_7 Depth=1
                                        ; =>  This Inner Loop Header: Depth=2
	v_add_nc_u32_e32 v1, s0, v8
	s_delay_alu instid0(VALU_DEP_1) | instskip(SKIP_1) | instid1(SALU_CYCLE_1)
	v_cmp_le_i32_e32 vcc_lo, s5, v1
	s_or_b32 s1, s25, vcc_lo
	s_and_saveexec_b32 s27, s1
	s_delay_alu instid0(SALU_CYCLE_1)
	s_xor_b32 s1, exec_lo, s27
; %bb.11:                               ;   in Loop: Header=BB136_10 Depth=2
	v_dual_mov_b32 v1, v0 :: v_dual_mov_b32 v2, v0
	v_mov_b32_e32 v3, v0
	ds_store_b128 v7, v[0:3]
; %bb.12:                               ;   in Loop: Header=BB136_10 Depth=2
	s_and_not1_saveexec_b32 s1, s1
	s_cbranch_execz .LBB136_14
; %bb.13:                               ;   in Loop: Header=BB136_10 Depth=2
	global_load_b128 v[42:45], v[4:5], off
	s_wait_loadcnt 0x0
	ds_store_2addr_b64 v7, v[42:43], v[44:45] offset1:1
.LBB136_14:                             ;   in Loop: Header=BB136_10 Depth=2
	s_wait_xcnt 0x0
	s_or_b32 exec_lo, exec_lo, s1
	v_add_nc_u32_e32 v1, s0, v6
	s_delay_alu instid0(VALU_DEP_1) | instskip(SKIP_1) | instid1(SALU_CYCLE_1)
	v_cmp_le_i32_e32 vcc_lo, s5, v1
	s_or_b32 s1, vcc_lo, s26
	s_and_saveexec_b32 s27, s1
	s_delay_alu instid0(SALU_CYCLE_1)
	s_xor_b32 s1, exec_lo, s27
; %bb.15:                               ;   in Loop: Header=BB136_10 Depth=2
	v_dual_mov_b32 v1, v0 :: v_dual_mov_b32 v2, v0
	v_mov_b32_e32 v3, v0
	ds_store_b128 v9, v[0:3]
; %bb.16:                               ;   in Loop: Header=BB136_10 Depth=2
	s_and_not1_saveexec_b32 s1, s1
	s_cbranch_execz .LBB136_9
; %bb.17:                               ;   in Loop: Header=BB136_10 Depth=2
	global_load_b128 v[42:45], v[22:23], off
	s_wait_loadcnt 0x0
	ds_store_2addr_b64 v9, v[42:43], v[44:45] offset1:1
	s_branch .LBB136_9
.LBB136_18:                             ;   in Loop: Header=BB136_7 Depth=1
	s_mul_u64 s[0:1], s[28:29], s[6:7]
	s_delay_alu instid0(SALU_CYCLE_1) | instskip(NEXT) | instid1(SALU_CYCLE_1)
	s_lshl_b64 s[0:1], s[0:1], 4
	s_add_nc_u64 s[0:1], s[14:15], s[0:1]
	s_delay_alu instid0(SALU_CYCLE_1)
	v_lshl_add_u64 v[22:23], v[12:13], 4, s[0:1]
	s_and_saveexec_b32 s27, s35
	s_cbranch_execz .LBB136_23
; %bb.19:                               ;   in Loop: Header=BB136_7 Depth=1
	v_mul_f64_e32 v[2:3], s[18:19], v[34:35]
	v_mul_f64_e32 v[4:5], s[16:17], v[34:35]
	s_and_b32 vcc_lo, exec_lo, s34
	s_mov_b32 s30, -1
	s_delay_alu instid0(VALU_DEP_2) | instskip(NEXT) | instid1(VALU_DEP_2)
	v_fma_f64 v[2:3], s[16:17], v[32:33], -v[2:3]
	v_fmac_f64_e32 v[4:5], s[18:19], v[32:33]
	v_lshl_add_u64 v[32:33], v[10:11], 4, v[22:23]
	s_cbranch_vccz .LBB136_21
; %bb.20:                               ;   in Loop: Header=BB136_7 Depth=1
	global_load_b128 v[42:45], v[32:33], off
	s_mov_b32 s30, 0
	s_wait_loadcnt 0x0
	v_mul_f64_e32 v[34:35], s[12:13], v[44:45]
	v_mul_f64_e32 v[44:45], s[10:11], v[44:45]
	s_delay_alu instid0(VALU_DEP_2) | instskip(NEXT) | instid1(VALU_DEP_2)
	v_fma_f64 v[34:35], s[10:11], v[42:43], -v[34:35]
	v_fmac_f64_e32 v[44:45], s[12:13], v[42:43]
	s_delay_alu instid0(VALU_DEP_2) | instskip(NEXT) | instid1(VALU_DEP_2)
	v_add_f64_e32 v[42:43], v[2:3], v[34:35]
	v_add_f64_e32 v[44:45], v[4:5], v[44:45]
	global_store_b128 v[32:33], v[42:45], off
.LBB136_21:                             ;   in Loop: Header=BB136_7 Depth=1
	s_and_not1_b32 vcc_lo, exec_lo, s30
	s_cbranch_vccnz .LBB136_23
; %bb.22:                               ;   in Loop: Header=BB136_7 Depth=1
	global_store_b128 v[32:33], v[2:5], off
.LBB136_23:                             ;   in Loop: Header=BB136_7 Depth=1
	s_wait_xcnt 0x0
	s_or_b32 exec_lo, exec_lo, s27
	s_and_saveexec_b32 s27, s36
	s_cbranch_execz .LBB136_28
; %bb.24:                               ;   in Loop: Header=BB136_7 Depth=1
	v_mul_f64_e32 v[2:3], s[18:19], v[26:27]
	v_mul_f64_e32 v[4:5], s[16:17], v[26:27]
	v_lshl_add_u64 v[22:23], v[16:17], 4, v[22:23]
	s_and_not1_b32 vcc_lo, exec_lo, s34
	s_mov_b32 s30, -1
	s_delay_alu instid0(VALU_DEP_3) | instskip(NEXT) | instid1(VALU_DEP_3)
	v_fma_f64 v[2:3], s[16:17], v[24:25], -v[2:3]
	v_fmac_f64_e32 v[4:5], s[18:19], v[24:25]
	s_cbranch_vccnz .LBB136_26
; %bb.25:                               ;   in Loop: Header=BB136_7 Depth=1
	global_load_b128 v[24:27], v[22:23], off
	s_mov_b32 s30, 0
	s_wait_loadcnt 0x0
	v_mul_f64_e32 v[32:33], s[12:13], v[26:27]
	v_mul_f64_e32 v[26:27], s[10:11], v[26:27]
	s_delay_alu instid0(VALU_DEP_2) | instskip(NEXT) | instid1(VALU_DEP_2)
	v_fma_f64 v[32:33], s[10:11], v[24:25], -v[32:33]
	v_fmac_f64_e32 v[26:27], s[12:13], v[24:25]
	s_delay_alu instid0(VALU_DEP_2) | instskip(NEXT) | instid1(VALU_DEP_2)
	v_add_f64_e32 v[24:25], v[2:3], v[32:33]
	v_add_f64_e32 v[26:27], v[4:5], v[26:27]
	global_store_b128 v[22:23], v[24:27], off
.LBB136_26:                             ;   in Loop: Header=BB136_7 Depth=1
	s_and_not1_b32 vcc_lo, exec_lo, s30
	s_cbranch_vccnz .LBB136_28
; %bb.27:                               ;   in Loop: Header=BB136_7 Depth=1
	global_store_b128 v[22:23], v[2:5], off
.LBB136_28:                             ;   in Loop: Header=BB136_7 Depth=1
	s_wait_xcnt 0x0
	s_or_b32 exec_lo, exec_lo, s27
	v_lshl_add_u64 v[22:23], v[14:15], 4, s[0:1]
	s_and_saveexec_b32 s0, s37
	s_cbranch_execz .LBB136_33
; %bb.29:                               ;   in Loop: Header=BB136_7 Depth=1
	v_mul_f64_e32 v[2:3], s[18:19], v[30:31]
	v_mul_f64_e32 v[4:5], s[16:17], v[30:31]
	v_lshl_add_u64 v[24:25], v[10:11], 4, v[22:23]
	s_and_not1_b32 vcc_lo, exec_lo, s34
	s_mov_b32 s1, -1
	s_delay_alu instid0(VALU_DEP_3) | instskip(NEXT) | instid1(VALU_DEP_3)
	v_fma_f64 v[2:3], s[16:17], v[28:29], -v[2:3]
	v_fmac_f64_e32 v[4:5], s[18:19], v[28:29]
	s_cbranch_vccnz .LBB136_31
; %bb.30:                               ;   in Loop: Header=BB136_7 Depth=1
	global_load_b128 v[26:29], v[24:25], off
	s_mov_b32 s1, 0
	s_wait_loadcnt 0x0
	v_mul_f64_e32 v[30:31], s[12:13], v[28:29]
	v_mul_f64_e32 v[28:29], s[10:11], v[28:29]
	s_delay_alu instid0(VALU_DEP_2) | instskip(NEXT) | instid1(VALU_DEP_2)
	v_fma_f64 v[30:31], s[10:11], v[26:27], -v[30:31]
	v_fmac_f64_e32 v[28:29], s[12:13], v[26:27]
	s_delay_alu instid0(VALU_DEP_2) | instskip(NEXT) | instid1(VALU_DEP_2)
	v_add_f64_e32 v[26:27], v[2:3], v[30:31]
	v_add_f64_e32 v[28:29], v[4:5], v[28:29]
	global_store_b128 v[24:25], v[26:29], off
.LBB136_31:                             ;   in Loop: Header=BB136_7 Depth=1
	s_and_not1_b32 vcc_lo, exec_lo, s1
	s_cbranch_vccnz .LBB136_33
; %bb.32:                               ;   in Loop: Header=BB136_7 Depth=1
	global_store_b128 v[24:25], v[2:5], off
.LBB136_33:                             ;   in Loop: Header=BB136_7 Depth=1
	s_wait_xcnt 0x0
	s_or_b32 exec_lo, exec_lo, s0
	s_and_saveexec_b32 s0, s4
	s_cbranch_execz .LBB136_6
; %bb.34:                               ;   in Loop: Header=BB136_7 Depth=1
	s_delay_alu instid0(VALU_DEP_3) | instskip(SKIP_4) | instid1(VALU_DEP_3)
	v_mul_f64_e32 v[2:3], s[18:19], v[36:37]
	v_mul_f64_e32 v[4:5], s[16:17], v[36:37]
	v_lshl_add_u64 v[22:23], v[16:17], 4, v[22:23]
	s_and_not1_b32 vcc_lo, exec_lo, s34
	s_mov_b32 s1, -1
	v_fma_f64 v[2:3], s[16:17], v[38:39], -v[2:3]
	s_delay_alu instid0(VALU_DEP_3)
	v_fmac_f64_e32 v[4:5], s[18:19], v[38:39]
	s_cbranch_vccnz .LBB136_36
; %bb.35:                               ;   in Loop: Header=BB136_7 Depth=1
	global_load_b128 v[24:27], v[22:23], off
	s_mov_b32 s1, 0
	s_wait_loadcnt 0x0
	v_mul_f64_e32 v[28:29], s[12:13], v[26:27]
	v_mul_f64_e32 v[26:27], s[10:11], v[26:27]
	s_delay_alu instid0(VALU_DEP_2) | instskip(NEXT) | instid1(VALU_DEP_2)
	v_fma_f64 v[28:29], s[10:11], v[24:25], -v[28:29]
	v_fmac_f64_e32 v[26:27], s[12:13], v[24:25]
	s_delay_alu instid0(VALU_DEP_2) | instskip(NEXT) | instid1(VALU_DEP_2)
	v_add_f64_e32 v[24:25], v[2:3], v[28:29]
	v_add_f64_e32 v[26:27], v[4:5], v[26:27]
	global_store_b128 v[22:23], v[24:27], off
.LBB136_36:                             ;   in Loop: Header=BB136_7 Depth=1
	s_and_not1_b32 vcc_lo, exec_lo, s1
	s_cbranch_vccnz .LBB136_6
; %bb.37:                               ;   in Loop: Header=BB136_7 Depth=1
	global_store_b128 v[22:23], v[2:5], off
	s_branch .LBB136_6
.LBB136_38:
.LBB136_39:
	s_sendmsg sendmsg(MSG_DEALLOC_VGPRS)
	s_endpgm
	.section	.rodata,"a",@progbits
	.p2align	6, 0x0
	.amdhsa_kernel _ZL29rocblas_internal_gemmt_kernelIiLi16ELi32ELi8ELc78ELc84ELc76ELb0ELb0E19rocblas_complex_numIdES1_PKS1_PS1_EviT_T9_T10_S5_lS7_S5_lS6_T11_S5_li
		.amdhsa_group_segment_fixed_size 8192
		.amdhsa_private_segment_fixed_size 0
		.amdhsa_kernarg_size 116
		.amdhsa_user_sgpr_count 2
		.amdhsa_user_sgpr_dispatch_ptr 0
		.amdhsa_user_sgpr_queue_ptr 0
		.amdhsa_user_sgpr_kernarg_segment_ptr 1
		.amdhsa_user_sgpr_dispatch_id 0
		.amdhsa_user_sgpr_kernarg_preload_length 0
		.amdhsa_user_sgpr_kernarg_preload_offset 0
		.amdhsa_user_sgpr_private_segment_size 0
		.amdhsa_wavefront_size32 1
		.amdhsa_uses_dynamic_stack 0
		.amdhsa_enable_private_segment 0
		.amdhsa_system_sgpr_workgroup_id_x 1
		.amdhsa_system_sgpr_workgroup_id_y 1
		.amdhsa_system_sgpr_workgroup_id_z 1
		.amdhsa_system_sgpr_workgroup_info 0
		.amdhsa_system_vgpr_workitem_id 1
		.amdhsa_next_free_vgpr 66
		.amdhsa_next_free_sgpr 41
		.amdhsa_named_barrier_count 0
		.amdhsa_reserve_vcc 1
		.amdhsa_float_round_mode_32 0
		.amdhsa_float_round_mode_16_64 0
		.amdhsa_float_denorm_mode_32 3
		.amdhsa_float_denorm_mode_16_64 3
		.amdhsa_fp16_overflow 0
		.amdhsa_memory_ordered 1
		.amdhsa_forward_progress 1
		.amdhsa_inst_pref_size 26
		.amdhsa_round_robin_scheduling 0
		.amdhsa_exception_fp_ieee_invalid_op 0
		.amdhsa_exception_fp_denorm_src 0
		.amdhsa_exception_fp_ieee_div_zero 0
		.amdhsa_exception_fp_ieee_overflow 0
		.amdhsa_exception_fp_ieee_underflow 0
		.amdhsa_exception_fp_ieee_inexact 0
		.amdhsa_exception_int_div_zero 0
	.end_amdhsa_kernel
	.section	.text._ZL29rocblas_internal_gemmt_kernelIiLi16ELi32ELi8ELc78ELc84ELc76ELb0ELb0E19rocblas_complex_numIdES1_PKS1_PS1_EviT_T9_T10_S5_lS7_S5_lS6_T11_S5_li,"axG",@progbits,_ZL29rocblas_internal_gemmt_kernelIiLi16ELi32ELi8ELc78ELc84ELc76ELb0ELb0E19rocblas_complex_numIdES1_PKS1_PS1_EviT_T9_T10_S5_lS7_S5_lS6_T11_S5_li,comdat
.Lfunc_end136:
	.size	_ZL29rocblas_internal_gemmt_kernelIiLi16ELi32ELi8ELc78ELc84ELc76ELb0ELb0E19rocblas_complex_numIdES1_PKS1_PS1_EviT_T9_T10_S5_lS7_S5_lS6_T11_S5_li, .Lfunc_end136-_ZL29rocblas_internal_gemmt_kernelIiLi16ELi32ELi8ELc78ELc84ELc76ELb0ELb0E19rocblas_complex_numIdES1_PKS1_PS1_EviT_T9_T10_S5_lS7_S5_lS6_T11_S5_li
                                        ; -- End function
	.set _ZL29rocblas_internal_gemmt_kernelIiLi16ELi32ELi8ELc78ELc84ELc76ELb0ELb0E19rocblas_complex_numIdES1_PKS1_PS1_EviT_T9_T10_S5_lS7_S5_lS6_T11_S5_li.num_vgpr, 66
	.set _ZL29rocblas_internal_gemmt_kernelIiLi16ELi32ELi8ELc78ELc84ELc76ELb0ELb0E19rocblas_complex_numIdES1_PKS1_PS1_EviT_T9_T10_S5_lS7_S5_lS6_T11_S5_li.num_agpr, 0
	.set _ZL29rocblas_internal_gemmt_kernelIiLi16ELi32ELi8ELc78ELc84ELc76ELb0ELb0E19rocblas_complex_numIdES1_PKS1_PS1_EviT_T9_T10_S5_lS7_S5_lS6_T11_S5_li.numbered_sgpr, 41
	.set _ZL29rocblas_internal_gemmt_kernelIiLi16ELi32ELi8ELc78ELc84ELc76ELb0ELb0E19rocblas_complex_numIdES1_PKS1_PS1_EviT_T9_T10_S5_lS7_S5_lS6_T11_S5_li.num_named_barrier, 0
	.set _ZL29rocblas_internal_gemmt_kernelIiLi16ELi32ELi8ELc78ELc84ELc76ELb0ELb0E19rocblas_complex_numIdES1_PKS1_PS1_EviT_T9_T10_S5_lS7_S5_lS6_T11_S5_li.private_seg_size, 0
	.set _ZL29rocblas_internal_gemmt_kernelIiLi16ELi32ELi8ELc78ELc84ELc76ELb0ELb0E19rocblas_complex_numIdES1_PKS1_PS1_EviT_T9_T10_S5_lS7_S5_lS6_T11_S5_li.uses_vcc, 1
	.set _ZL29rocblas_internal_gemmt_kernelIiLi16ELi32ELi8ELc78ELc84ELc76ELb0ELb0E19rocblas_complex_numIdES1_PKS1_PS1_EviT_T9_T10_S5_lS7_S5_lS6_T11_S5_li.uses_flat_scratch, 0
	.set _ZL29rocblas_internal_gemmt_kernelIiLi16ELi32ELi8ELc78ELc84ELc76ELb0ELb0E19rocblas_complex_numIdES1_PKS1_PS1_EviT_T9_T10_S5_lS7_S5_lS6_T11_S5_li.has_dyn_sized_stack, 0
	.set _ZL29rocblas_internal_gemmt_kernelIiLi16ELi32ELi8ELc78ELc84ELc76ELb0ELb0E19rocblas_complex_numIdES1_PKS1_PS1_EviT_T9_T10_S5_lS7_S5_lS6_T11_S5_li.has_recursion, 0
	.set _ZL29rocblas_internal_gemmt_kernelIiLi16ELi32ELi8ELc78ELc84ELc76ELb0ELb0E19rocblas_complex_numIdES1_PKS1_PS1_EviT_T9_T10_S5_lS7_S5_lS6_T11_S5_li.has_indirect_call, 0
	.section	.AMDGPU.csdata,"",@progbits
; Kernel info:
; codeLenInByte = 3220
; TotalNumSgprs: 43
; NumVgprs: 66
; ScratchSize: 0
; MemoryBound: 0
; FloatMode: 240
; IeeeMode: 1
; LDSByteSize: 8192 bytes/workgroup (compile time only)
; SGPRBlocks: 0
; VGPRBlocks: 4
; NumSGPRsForWavesPerEU: 43
; NumVGPRsForWavesPerEU: 66
; NamedBarCnt: 0
; Occupancy: 12
; WaveLimiterHint : 0
; COMPUTE_PGM_RSRC2:SCRATCH_EN: 0
; COMPUTE_PGM_RSRC2:USER_SGPR: 2
; COMPUTE_PGM_RSRC2:TRAP_HANDLER: 0
; COMPUTE_PGM_RSRC2:TGID_X_EN: 1
; COMPUTE_PGM_RSRC2:TGID_Y_EN: 1
; COMPUTE_PGM_RSRC2:TGID_Z_EN: 1
; COMPUTE_PGM_RSRC2:TIDIG_COMP_CNT: 1
	.section	.text._ZL29rocblas_internal_gemmt_kernelIiLi16ELi32ELi8ELc78ELc67ELc76ELb0ELb1E19rocblas_complex_numIdES1_PKS1_PS1_EviT_T9_T10_S5_lS7_S5_lS6_T11_S5_li,"axG",@progbits,_ZL29rocblas_internal_gemmt_kernelIiLi16ELi32ELi8ELc78ELc67ELc76ELb0ELb1E19rocblas_complex_numIdES1_PKS1_PS1_EviT_T9_T10_S5_lS7_S5_lS6_T11_S5_li,comdat
	.globl	_ZL29rocblas_internal_gemmt_kernelIiLi16ELi32ELi8ELc78ELc67ELc76ELb0ELb1E19rocblas_complex_numIdES1_PKS1_PS1_EviT_T9_T10_S5_lS7_S5_lS6_T11_S5_li ; -- Begin function _ZL29rocblas_internal_gemmt_kernelIiLi16ELi32ELi8ELc78ELc67ELc76ELb0ELb1E19rocblas_complex_numIdES1_PKS1_PS1_EviT_T9_T10_S5_lS7_S5_lS6_T11_S5_li
	.p2align	8
	.type	_ZL29rocblas_internal_gemmt_kernelIiLi16ELi32ELi8ELc78ELc67ELc76ELb0ELb1E19rocblas_complex_numIdES1_PKS1_PS1_EviT_T9_T10_S5_lS7_S5_lS6_T11_S5_li,@function
_ZL29rocblas_internal_gemmt_kernelIiLi16ELi32ELi8ELc78ELc67ELc76ELb0ELb1E19rocblas_complex_numIdES1_PKS1_PS1_EviT_T9_T10_S5_lS7_S5_lS6_T11_S5_li: ; @_ZL29rocblas_internal_gemmt_kernelIiLi16ELi32ELi8ELc78ELc67ELc76ELb0ELb1E19rocblas_complex_numIdES1_PKS1_PS1_EviT_T9_T10_S5_lS7_S5_lS6_T11_S5_li
; %bb.0:
	s_clause 0x2
	s_load_b256 s[8:15], s[0:1], 0x40
	s_load_b64 s[4:5], s[0:1], 0x0
	s_load_b128 s[16:19], s[0:1], 0x8
	s_wait_kmcnt 0x0
	v_cmp_eq_f64_e64 s2, s[10:11], 1.0
	v_cmp_eq_f64_e64 s34, s[12:13], 0
	s_and_b32 s2, s2, s34
	s_delay_alu instid0(SALU_CYCLE_1)
	s_and_not1_b32 vcc_lo, exec_lo, s2
	s_mov_b32 s2, -1
	s_cbranch_vccnz .LBB137_3
; %bb.1:
	s_cmp_lg_u32 s5, 0
	s_cbranch_scc0 .LBB137_36
; %bb.2:
	v_cmp_neq_f64_e64 s2, s[16:17], 0
	v_cmp_neq_f64_e64 s3, s[18:19], 0
	s_or_b32 s2, s2, s3
.LBB137_3:
	s_delay_alu instid0(SALU_CYCLE_1)
	s_and_b32 vcc_lo, exec_lo, s2
	s_cbranch_vccz .LBB137_37
; %bb.4:
	s_load_b32 s33, s[0:1], 0x70
	s_bfe_u32 s2, ttmp6, 0x40014
	s_lshr_b32 s3, ttmp7, 16
	s_add_co_i32 s2, s2, 1
	s_bfe_u32 s6, ttmp6, 0x40008
	s_mul_i32 s2, s3, s2
	s_getreg_b32 s35, hwreg(HW_REG_IB_STS2, 6, 4)
	s_add_co_i32 s6, s6, s2
	s_cmp_eq_u32 s35, 0
	s_mov_b32 s7, 0
	s_cselect_b32 s6, s3, s6
	s_wait_kmcnt 0x0
	s_cmp_ge_u32 s6, s33
	s_cbranch_scc1 .LBB137_37
; %bb.5:
	s_clause 0x2
	s_load_b96 s[24:26], s[0:1], 0x18
	s_load_b32 s30, s[0:1], 0x38
	s_load_b32 s2, s[0:1], 0x60
	v_and_b32_e32 v1, 0x3ff, v0
	v_bfe_u32 v3, v0, 10, 10
	s_clause 0x1
	s_load_b128 s[20:23], s[0:1], 0x28
	s_load_b64 s[28:29], s[0:1], 0x68
	s_wait_xcnt 0x0
	s_bfe_u32 s1, ttmp6, 0x4000c
	s_bfe_u32 s39, ttmp6, 0x40010
	s_and_b32 s38, ttmp7, 0xffff
	s_add_co_i32 s1, s1, 1
	s_add_co_i32 s39, s39, 1
	v_lshl_add_u32 v2, v3, 4, v1
	s_and_b32 s0, ttmp6, 15
	s_mul_i32 s1, ttmp9, s1
	s_mul_i32 s39, s38, s39
	s_bfe_u32 s40, ttmp6, 0x40004
	s_add_co_i32 s0, s0, s1
	s_add_co_i32 s40, s40, s39
	v_dual_lshrrev_b32 v8, 5, v2 :: v_dual_bitop2_b32 v6, 7, v0 bitop3:0x40
	s_wait_kmcnt 0x0
	s_ashr_i32 s27, s26, 31
	s_ashr_i32 s31, s30, 31
	;; [unrolled: 1-line block ×3, first 2 shown]
	s_cmp_eq_u32 s35, 0
	v_dual_mov_b32 v0, 0 :: v_dual_bitop2_b32 v5, 31, v2 bitop3:0x40
	s_cselect_b32 s0, ttmp9, s0
	s_cselect_b32 s1, s38, s40
	s_lshl_b32 s35, s0, 5
	s_delay_alu instid0(VALU_DEP_1) | instid1(SALU_CYCLE_1)
	v_dual_lshrrev_b32 v10, 3, v2 :: v_dual_bitop2_b32 v2, s35, v5 bitop3:0x54
	s_lshl_b32 s0, s1, 5
	v_mov_b32_e32 v7, v0
	v_cmp_neq_f64_e64 s36, s[16:17], 0
	s_delay_alu instid0(VALU_DEP_3)
	v_add_nc_u32_e32 v4, s0, v10
	v_cmp_neq_f64_e64 s37, s[18:19], 0
	v_mov_b32_e32 v9, v0
	v_mul_u64_e32 v[18:19], s[30:31], v[6:7]
	v_dual_lshlrev_b32 v5, 4, v5 :: v_dual_add_nc_u32 v20, s0, v3
	v_cmp_neq_f64_e64 s38, s[10:11], 0
	v_lshlrev_b32_e32 v7, 4, v6
	v_mul_u64_e32 v[22:23], s[26:27], v[8:9]
	v_cmp_gt_i32_e64 s0, s4, v4
	v_dual_add_nc_u32 v24, 16, v20 :: v_dual_ashrrev_i32 v21, 31, v20
	s_delay_alu instid0(VALU_DEP_4) | instskip(SKIP_2) | instid1(VALU_DEP_4)
	v_lshl_or_b32 v9, v10, 7, v7
	v_add_nc_u32_e32 v10, s35, v1
	v_lshl_or_b32 v7, v8, 9, v5
	v_ashrrev_i32_e32 v25, 31, v24
	v_mul_u64_e32 v[12:13], s[2:3], v[20:21]
	v_dual_ashrrev_i32 v5, 31, v4 :: v_dual_lshlrev_b32 v42, 4, v1
	v_lshl_add_u32 v43, v3, 7, 0x1000
	s_delay_alu instid0(VALU_DEP_4) | instskip(SKIP_1) | instid1(VALU_DEP_4)
	v_mul_u64_e32 v[14:15], s[2:3], v[24:25]
	v_dual_add_nc_u32 v16, 16, v10 :: v_dual_ashrrev_i32 v11, 31, v10
	v_lshlrev_b64_e32 v[4:5], 4, v[4:5]
	v_ashrrev_i32_e32 v3, 31, v2
	v_cmp_gt_i32_e32 vcc_lo, s4, v2
	s_delay_alu instid0(VALU_DEP_4)
	v_ashrrev_i32_e32 v17, 31, v16
	v_cmp_le_i32_e64 s1, v20, v10
	v_cmp_gt_i32_e64 s2, s4, v10
	v_lshlrev_b64_e32 v[2:3], 4, v[2:3]
	v_cmp_gt_i32_e64 s4, s4, v16
	v_add_nc_u32_e32 v9, 0x1000, v9
	s_or_b32 s37, s36, s37
	s_cmp_gt_i32 s5, 0
	v_lshl_add_u64 v[4:5], v[18:19], 4, v[4:5]
	s_cselect_b32 s39, -1, 0
	s_xor_b32 s3, s34, -1
	s_and_b32 s35, s1, s2
	s_or_b32 s34, s38, s3
	v_add_nc_u64_e32 v[4:5], s[22:23], v[4:5]
	v_cmp_le_i32_e64 s3, v20, v16
	v_lshl_add_u64 v[2:3], v[22:23], 4, v[2:3]
	v_cmp_le_i32_e64 s1, v24, v10
	s_lshl_b64 s[8:9], s[8:9], 4
	s_lshl_b64 s[22:23], s[30:31], 7
	s_and_b32 s36, s3, s4
	v_cmp_le_i32_e64 s3, v24, v16
	v_add_nc_u64_e32 v[18:19], s[24:25], v[2:3]
	v_add_nc_u64_e32 v[20:21], 8, v[4:5]
	s_and_b32 s1, s1, s2
	s_and_b32 s4, s3, s4
	s_lshl_b64 s[2:3], s[20:21], 4
	s_lshl_b64 s[20:21], s[26:27], 7
	s_and_b32 s26, s37, s39
	s_xor_b32 s27, vcc_lo, -1
	s_branch .LBB137_7
.LBB137_6:                              ;   in Loop: Header=BB137_7 Depth=1
	s_wait_xcnt 0x0
	s_or_b32 exec_lo, exec_lo, s24
	s_add_co_i32 s6, s6, 0x10000
	s_delay_alu instid0(SALU_CYCLE_1)
	s_cmp_lt_u32 s6, s33
	s_cbranch_scc0 .LBB137_37
.LBB137_7:                              ; =>This Loop Header: Depth=1
                                        ;     Child Loop BB137_10 Depth 2
	v_mov_b64_e32 v[38:39], 0
	v_mov_b64_e32 v[40:41], 0
	;; [unrolled: 1-line block ×8, first 2 shown]
	s_and_not1_b32 vcc_lo, exec_lo, s26
	s_cbranch_vccnz .LBB137_16
; %bb.8:                                ;   in Loop: Header=BB137_7 Depth=1
	v_mad_nc_u64_u32 v[26:27], s2, s6, v[18:19]
	v_mad_nc_u64_u32 v[28:29], s8, s6, v[20:21]
	v_mov_b64_e32 v[22:23], 0
	v_mov_b64_e32 v[24:25], 0
	;; [unrolled: 1-line block ×8, first 2 shown]
	s_mov_b32 s24, 0
	v_mad_u32 v27, s3, s6, v27
	v_mad_u32 v29, s9, s6, v29
	s_branch .LBB137_10
.LBB137_9:                              ;   in Loop: Header=BB137_10 Depth=2
	s_wait_xcnt 0x0
	s_or_b32 exec_lo, exec_lo, s25
	ds_store_b128 v9, v[2:5]
	s_wait_dscnt 0x0
	s_barrier_signal -1
	s_barrier_wait -1
	ds_load_b128 v[2:5], v43
	ds_load_b128 v[44:47], v42
	ds_load_b128 v[48:51], v42 offset:256
	ds_load_b128 v[52:55], v43 offset:2048
	;; [unrolled: 1-line block ×10, first 2 shown]
	v_add_nc_u64_e32 v[26:27], s[20:21], v[26:27]
	v_add_nc_u64_e32 v[28:29], s[22:23], v[28:29]
	s_add_co_i32 s24, s24, 8
	s_delay_alu instid0(SALU_CYCLE_1)
	s_cmp_lt_i32 s24, s5
	s_wait_dscnt 0xa
	v_mul_f64_e32 v[88:89], v[4:5], v[46:47]
	v_mul_f64_e32 v[90:91], v[2:3], v[46:47]
	s_wait_dscnt 0x9
	v_mul_f64_e32 v[92:93], v[4:5], v[50:51]
	v_mul_f64_e32 v[94:95], v[2:3], v[50:51]
	s_wait_dscnt 0x8
	v_mul_f64_e32 v[96:97], v[54:55], v[46:47]
	v_mul_f64_e32 v[98:99], v[52:53], v[46:47]
	v_mul_f64_e32 v[46:47], v[54:55], v[50:51]
	v_mul_f64_e32 v[100:101], v[52:53], v[50:51]
	s_wait_dscnt 0x6
	v_mul_f64_e32 v[102:103], v[58:59], v[62:63]
	v_mul_f64_e32 v[104:105], v[56:57], v[62:63]
	s_wait_dscnt 0x5
	v_mul_f64_e32 v[106:107], v[58:59], v[66:67]
	v_mul_f64_e32 v[108:109], v[56:57], v[66:67]
	s_wait_dscnt 0x4
	v_mul_f64_e32 v[110:111], v[70:71], v[62:63]
	v_mul_f64_e32 v[62:63], v[68:69], v[62:63]
	v_mul_f64_e32 v[112:113], v[70:71], v[66:67]
	v_mul_f64_e32 v[66:67], v[68:69], v[66:67]
	;; [unrolled: 11-line block ×3, first 2 shown]
	v_fma_f64 v[88:89], v[2:3], v[44:45], -v[88:89]
	v_fmac_f64_e32 v[90:91], v[4:5], v[44:45]
	v_fma_f64 v[92:93], v[2:3], v[48:49], -v[92:93]
	v_fmac_f64_e32 v[94:95], v[4:5], v[48:49]
	;; [unrolled: 2-line block ×8, first 2 shown]
	ds_load_b128 v[2:5], v43 offset:48
	ds_load_b128 v[44:47], v43 offset:2096
	;; [unrolled: 1-line block ×4, first 2 shown]
	v_fma_f64 v[116:117], v[72:73], v[76:77], -v[116:117]
	v_fmac_f64_e32 v[118:119], v[74:75], v[76:77]
	v_fma_f64 v[72:73], v[72:73], v[80:81], -v[120:121]
	v_fmac_f64_e32 v[122:123], v[74:75], v[80:81]
	v_fma_f64 v[74:75], v[84:85], v[76:77], -v[124:125]
	v_fmac_f64_e32 v[78:79], v[86:87], v[76:77]
	v_fma_f64 v[76:77], v[84:85], v[80:81], -v[126:127]
	v_fmac_f64_e32 v[82:83], v[86:87], v[80:81]
	v_add_f64_e32 v[64:65], v[38:39], v[88:89]
	v_add_f64_e32 v[68:69], v[90:91], v[40:41]
	;; [unrolled: 1-line block ×8, first 2 shown]
	s_wait_dscnt 0x1
	v_mul_f64_e32 v[98:99], v[4:5], v[50:51]
	v_mul_f64_e32 v[100:101], v[2:3], v[50:51]
	s_wait_dscnt 0x0
	v_mul_f64_e32 v[106:107], v[4:5], v[54:55]
	v_mul_f64_e32 v[110:111], v[2:3], v[54:55]
	;; [unrolled: 1-line block ×6, first 2 shown]
	ds_load_b128 v[22:25], v43 offset:64
	ds_load_b128 v[30:33], v42 offset:2048
	;; [unrolled: 1-line block ×4, first 2 shown]
	v_add_f64_e32 v[80:81], v[64:65], v[102:103]
	v_add_f64_e32 v[84:85], v[104:105], v[68:69]
	;; [unrolled: 1-line block ×8, first 2 shown]
	s_wait_dscnt 0x2
	v_mul_f64_e32 v[96:97], v[24:25], v[32:33]
	v_mul_f64_e32 v[102:103], v[22:23], v[32:33]
	s_wait_dscnt 0x1
	v_mul_f64_e32 v[104:105], v[24:25], v[36:37]
	v_mul_f64_e32 v[108:109], v[22:23], v[36:37]
	;; [unrolled: 3-line block ×3, first 2 shown]
	v_mul_f64_e32 v[32:33], v[40:41], v[36:37]
	v_mul_f64_e32 v[126:127], v[38:39], v[36:37]
	v_fma_f64 v[36:37], v[2:3], v[48:49], -v[98:99]
	v_fmac_f64_e32 v[100:101], v[4:5], v[48:49]
	v_fma_f64 v[98:99], v[2:3], v[52:53], -v[106:107]
	v_fmac_f64_e32 v[110:111], v[4:5], v[52:53]
	;; [unrolled: 2-line block ×4, first 2 shown]
	ds_load_b128 v[54:57], v43 offset:80
	ds_load_b128 v[58:61], v43 offset:2128
	;; [unrolled: 1-line block ×4, first 2 shown]
	v_add_f64_e32 v[52:53], v[80:81], v[116:117]
	v_add_f64_e32 v[80:81], v[118:119], v[84:85]
	;; [unrolled: 1-line block ×8, first 2 shown]
	v_fma_f64 v[96:97], v[22:23], v[30:31], -v[96:97]
	v_fmac_f64_e32 v[102:103], v[24:25], v[30:31]
	v_fma_f64 v[104:105], v[22:23], v[34:35], -v[104:105]
	s_wait_dscnt 0x1
	v_mul_f64_e32 v[88:89], v[56:57], v[64:65]
	v_mul_f64_e32 v[90:91], v[54:55], v[64:65]
	s_wait_dscnt 0x0
	v_mul_f64_e32 v[92:93], v[56:57], v[68:69]
	v_mul_f64_e32 v[94:95], v[54:55], v[68:69]
	;; [unrolled: 1-line block ×6, first 2 shown]
	v_fmac_f64_e32 v[108:109], v[24:25], v[34:35]
	v_fma_f64 v[120:121], v[38:39], v[30:31], -v[120:121]
	v_fmac_f64_e32 v[124:125], v[40:41], v[30:31]
	v_fma_f64 v[122:123], v[38:39], v[34:35], -v[32:33]
	v_fmac_f64_e32 v[126:127], v[40:41], v[34:35]
	ds_load_b128 v[2:5], v43 offset:96
	ds_load_b128 v[44:47], v42 offset:3072
	;; [unrolled: 1-line block ×4, first 2 shown]
	v_add_f64_e32 v[52:53], v[52:53], v[36:37]
	v_add_f64_e32 v[80:81], v[100:101], v[80:81]
	;; [unrolled: 1-line block ×8, first 2 shown]
	ds_load_b128 v[22:25], v43 offset:112
	ds_load_b128 v[30:33], v43 offset:2160
	;; [unrolled: 1-line block ×4, first 2 shown]
	s_wait_dscnt 0x0
	v_mul_f64_e32 v[98:99], v[4:5], v[46:47]
	v_mul_f64_e32 v[100:101], v[2:3], v[46:47]
	;; [unrolled: 1-line block ×8, first 2 shown]
	v_fma_f64 v[88:89], v[54:55], v[62:63], -v[88:89]
	v_fmac_f64_e32 v[90:91], v[56:57], v[62:63]
	v_fma_f64 v[54:55], v[54:55], v[66:67], -v[92:93]
	v_fmac_f64_e32 v[94:95], v[56:57], v[66:67]
	;; [unrolled: 2-line block ×4, first 2 shown]
	s_barrier_signal -1
	s_barrier_wait -1
	v_mul_f64_e32 v[92:93], v[22:23], v[40:41]
	v_add_f64_e32 v[52:53], v[52:53], v[96:97]
	v_add_f64_e32 v[60:61], v[102:103], v[80:81]
	;; [unrolled: 1-line block ×8, first 2 shown]
	v_mul_f64_e32 v[82:83], v[24:25], v[36:37]
	v_mul_f64_e32 v[84:85], v[22:23], v[36:37]
	;; [unrolled: 1-line block ×7, first 2 shown]
	v_fma_f64 v[40:41], v[2:3], v[44:45], -v[98:99]
	v_fmac_f64_e32 v[100:101], v[4:5], v[44:45]
	v_fma_f64 v[2:3], v[2:3], v[48:49], -v[106:107]
	v_fmac_f64_e32 v[110:111], v[4:5], v[48:49]
	;; [unrolled: 2-line block ×4, first 2 shown]
	v_fmac_f64_e32 v[92:93], v[24:25], v[38:39]
	v_add_f64_e32 v[48:49], v[52:53], v[88:89]
	v_add_f64_e32 v[52:53], v[90:91], v[60:61]
	;; [unrolled: 1-line block ×8, first 2 shown]
	v_fma_f64 v[66:67], v[22:23], v[34:35], -v[82:83]
	v_fmac_f64_e32 v[84:85], v[24:25], v[34:35]
	v_fma_f64 v[22:23], v[22:23], v[38:39], -v[86:87]
	v_fma_f64 v[24:25], v[30:31], v[34:35], -v[96:97]
	v_fmac_f64_e32 v[102:103], v[32:33], v[34:35]
	v_fma_f64 v[68:69], v[30:31], v[38:39], -v[36:37]
	v_fmac_f64_e32 v[104:105], v[32:33], v[38:39]
	v_add_f64_e32 v[30:31], v[48:49], v[40:41]
	v_add_f64_e32 v[32:33], v[100:101], v[52:53]
	;; [unrolled: 1-line block ×16, first 2 shown]
	s_cbranch_scc0 .LBB137_16
.LBB137_10:                             ;   Parent Loop BB137_7 Depth=1
                                        ; =>  This Inner Loop Header: Depth=2
	v_add_nc_u32_e32 v1, s24, v8
	s_delay_alu instid0(VALU_DEP_1) | instskip(SKIP_1) | instid1(SALU_CYCLE_1)
	v_cmp_le_i32_e32 vcc_lo, s5, v1
	s_or_b32 s25, s27, vcc_lo
	s_and_saveexec_b32 s30, s25
	s_delay_alu instid0(SALU_CYCLE_1)
	s_xor_b32 s25, exec_lo, s30
; %bb.11:                               ;   in Loop: Header=BB137_10 Depth=2
	v_dual_mov_b32 v1, v0 :: v_dual_mov_b32 v2, v0
	v_mov_b32_e32 v3, v0
	ds_store_b128 v7, v[0:3]
; %bb.12:                               ;   in Loop: Header=BB137_10 Depth=2
	s_and_not1_saveexec_b32 s25, s25
	s_cbranch_execz .LBB137_14
; %bb.13:                               ;   in Loop: Header=BB137_10 Depth=2
	global_load_b128 v[2:5], v[26:27], off
	s_wait_loadcnt 0x0
	ds_store_2addr_b64 v7, v[2:3], v[4:5] offset1:1
.LBB137_14:                             ;   in Loop: Header=BB137_10 Depth=2
	s_wait_xcnt 0x0
	s_or_b32 exec_lo, exec_lo, s25
	v_add_nc_u32_e32 v1, s24, v6
	v_mov_b64_e32 v[2:3], 0
	v_mov_b64_e32 v[4:5], 0
	s_delay_alu instid0(VALU_DEP_3) | instskip(SKIP_1) | instid1(SALU_CYCLE_1)
	v_cmp_gt_i32_e32 vcc_lo, s5, v1
	s_and_b32 s30, vcc_lo, s0
	s_and_saveexec_b32 s25, s30
	s_cbranch_execz .LBB137_9
; %bb.15:                               ;   in Loop: Header=BB137_10 Depth=2
	global_load_b128 v[2:5], v[28:29], off offset:-8
	s_wait_loadcnt 0x0
	v_xor_b32_e32 v5, 0x80000000, v5
	s_branch .LBB137_9
.LBB137_16:                             ;   in Loop: Header=BB137_7 Depth=1
	s_mul_u64 s[24:25], s[28:29], s[6:7]
	s_delay_alu instid0(SALU_CYCLE_1) | instskip(NEXT) | instid1(SALU_CYCLE_1)
	s_lshl_b64 s[24:25], s[24:25], 4
	s_add_nc_u64 s[24:25], s[14:15], s[24:25]
	s_delay_alu instid0(SALU_CYCLE_1)
	v_lshl_add_u64 v[26:27], v[12:13], 4, s[24:25]
	s_and_saveexec_b32 s30, s35
	s_cbranch_execz .LBB137_21
; %bb.17:                               ;   in Loop: Header=BB137_7 Depth=1
	v_mul_f64_e32 v[2:3], s[18:19], v[40:41]
	v_mul_f64_e32 v[4:5], s[16:17], v[40:41]
	v_lshl_add_u64 v[28:29], v[10:11], 4, v[26:27]
	s_and_b32 vcc_lo, exec_lo, s34
	s_mov_b32 s31, -1
	s_delay_alu instid0(VALU_DEP_3) | instskip(NEXT) | instid1(VALU_DEP_3)
	v_fma_f64 v[2:3], s[16:17], v[38:39], -v[2:3]
	v_fmac_f64_e32 v[4:5], s[18:19], v[38:39]
	s_cbranch_vccz .LBB137_19
; %bb.18:                               ;   in Loop: Header=BB137_7 Depth=1
	global_load_b128 v[38:41], v[28:29], off
	s_mov_b32 s31, 0
	s_wait_loadcnt 0x0
	v_mul_f64_e32 v[44:45], s[12:13], v[40:41]
	v_mul_f64_e32 v[40:41], s[10:11], v[40:41]
	s_delay_alu instid0(VALU_DEP_2) | instskip(NEXT) | instid1(VALU_DEP_2)
	v_fma_f64 v[44:45], s[10:11], v[38:39], -v[44:45]
	v_fmac_f64_e32 v[40:41], s[12:13], v[38:39]
	s_delay_alu instid0(VALU_DEP_2) | instskip(NEXT) | instid1(VALU_DEP_2)
	v_add_f64_e32 v[38:39], v[2:3], v[44:45]
	v_add_f64_e32 v[40:41], v[4:5], v[40:41]
	global_store_b128 v[28:29], v[38:41], off
.LBB137_19:                             ;   in Loop: Header=BB137_7 Depth=1
	s_and_not1_b32 vcc_lo, exec_lo, s31
	s_cbranch_vccnz .LBB137_21
; %bb.20:                               ;   in Loop: Header=BB137_7 Depth=1
	global_store_b128 v[28:29], v[2:5], off
.LBB137_21:                             ;   in Loop: Header=BB137_7 Depth=1
	s_wait_xcnt 0x0
	s_or_b32 exec_lo, exec_lo, s30
	s_and_saveexec_b32 s30, s36
	s_cbranch_execz .LBB137_26
; %bb.22:                               ;   in Loop: Header=BB137_7 Depth=1
	v_mul_f64_e32 v[2:3], s[18:19], v[36:37]
	v_mul_f64_e32 v[4:5], s[16:17], v[36:37]
	v_lshl_add_u64 v[26:27], v[16:17], 4, v[26:27]
	s_and_not1_b32 vcc_lo, exec_lo, s34
	s_mov_b32 s31, -1
	s_delay_alu instid0(VALU_DEP_3) | instskip(NEXT) | instid1(VALU_DEP_3)
	v_fma_f64 v[2:3], s[16:17], v[34:35], -v[2:3]
	v_fmac_f64_e32 v[4:5], s[18:19], v[34:35]
	s_cbranch_vccnz .LBB137_24
; %bb.23:                               ;   in Loop: Header=BB137_7 Depth=1
	global_load_b128 v[34:37], v[26:27], off
	s_mov_b32 s31, 0
	s_wait_loadcnt 0x0
	v_mul_f64_e32 v[28:29], s[12:13], v[36:37]
	v_mul_f64_e32 v[36:37], s[10:11], v[36:37]
	s_delay_alu instid0(VALU_DEP_2) | instskip(NEXT) | instid1(VALU_DEP_2)
	v_fma_f64 v[28:29], s[10:11], v[34:35], -v[28:29]
	v_fmac_f64_e32 v[36:37], s[12:13], v[34:35]
	s_delay_alu instid0(VALU_DEP_2) | instskip(NEXT) | instid1(VALU_DEP_2)
	v_add_f64_e32 v[34:35], v[2:3], v[28:29]
	v_add_f64_e32 v[36:37], v[4:5], v[36:37]
	global_store_b128 v[26:27], v[34:37], off
.LBB137_24:                             ;   in Loop: Header=BB137_7 Depth=1
	s_and_not1_b32 vcc_lo, exec_lo, s31
	s_cbranch_vccnz .LBB137_26
; %bb.25:                               ;   in Loop: Header=BB137_7 Depth=1
	global_store_b128 v[26:27], v[2:5], off
.LBB137_26:                             ;   in Loop: Header=BB137_7 Depth=1
	s_wait_xcnt 0x0
	s_or_b32 exec_lo, exec_lo, s30
	v_lshl_add_u64 v[26:27], v[14:15], 4, s[24:25]
	s_and_saveexec_b32 s24, s1
	s_cbranch_execz .LBB137_31
; %bb.27:                               ;   in Loop: Header=BB137_7 Depth=1
	v_mul_f64_e32 v[2:3], s[18:19], v[32:33]
	v_mul_f64_e32 v[4:5], s[16:17], v[32:33]
	v_lshl_add_u64 v[28:29], v[10:11], 4, v[26:27]
	s_and_not1_b32 vcc_lo, exec_lo, s34
	s_mov_b32 s25, -1
	s_delay_alu instid0(VALU_DEP_3) | instskip(NEXT) | instid1(VALU_DEP_3)
	v_fma_f64 v[2:3], s[16:17], v[30:31], -v[2:3]
	v_fmac_f64_e32 v[4:5], s[18:19], v[30:31]
	s_cbranch_vccnz .LBB137_29
; %bb.28:                               ;   in Loop: Header=BB137_7 Depth=1
	global_load_b128 v[30:33], v[28:29], off
	s_mov_b32 s25, 0
	s_wait_loadcnt 0x0
	v_mul_f64_e32 v[34:35], s[12:13], v[32:33]
	v_mul_f64_e32 v[32:33], s[10:11], v[32:33]
	s_delay_alu instid0(VALU_DEP_2) | instskip(NEXT) | instid1(VALU_DEP_2)
	v_fma_f64 v[34:35], s[10:11], v[30:31], -v[34:35]
	v_fmac_f64_e32 v[32:33], s[12:13], v[30:31]
	s_delay_alu instid0(VALU_DEP_2) | instskip(NEXT) | instid1(VALU_DEP_2)
	v_add_f64_e32 v[30:31], v[2:3], v[34:35]
	v_add_f64_e32 v[32:33], v[4:5], v[32:33]
	global_store_b128 v[28:29], v[30:33], off
.LBB137_29:                             ;   in Loop: Header=BB137_7 Depth=1
	s_and_not1_b32 vcc_lo, exec_lo, s25
	s_cbranch_vccnz .LBB137_31
; %bb.30:                               ;   in Loop: Header=BB137_7 Depth=1
	global_store_b128 v[28:29], v[2:5], off
.LBB137_31:                             ;   in Loop: Header=BB137_7 Depth=1
	s_wait_xcnt 0x0
	s_or_b32 exec_lo, exec_lo, s24
	s_and_saveexec_b32 s24, s4
	s_cbranch_execz .LBB137_6
; %bb.32:                               ;   in Loop: Header=BB137_7 Depth=1
	s_delay_alu instid0(VALU_DEP_3) | instskip(SKIP_4) | instid1(VALU_DEP_3)
	v_mul_f64_e32 v[2:3], s[18:19], v[22:23]
	v_mul_f64_e32 v[4:5], s[16:17], v[22:23]
	v_lshl_add_u64 v[22:23], v[16:17], 4, v[26:27]
	s_and_not1_b32 vcc_lo, exec_lo, s34
	s_mov_b32 s25, -1
	v_fma_f64 v[2:3], s[16:17], v[24:25], -v[2:3]
	s_delay_alu instid0(VALU_DEP_3)
	v_fmac_f64_e32 v[4:5], s[18:19], v[24:25]
	s_cbranch_vccnz .LBB137_34
; %bb.33:                               ;   in Loop: Header=BB137_7 Depth=1
	global_load_b128 v[24:27], v[22:23], off
	s_mov_b32 s25, 0
	s_wait_loadcnt 0x0
	v_mul_f64_e32 v[28:29], s[12:13], v[26:27]
	v_mul_f64_e32 v[26:27], s[10:11], v[26:27]
	s_delay_alu instid0(VALU_DEP_2) | instskip(NEXT) | instid1(VALU_DEP_2)
	v_fma_f64 v[28:29], s[10:11], v[24:25], -v[28:29]
	v_fmac_f64_e32 v[26:27], s[12:13], v[24:25]
	s_delay_alu instid0(VALU_DEP_2) | instskip(NEXT) | instid1(VALU_DEP_2)
	v_add_f64_e32 v[24:25], v[2:3], v[28:29]
	v_add_f64_e32 v[26:27], v[4:5], v[26:27]
	global_store_b128 v[22:23], v[24:27], off
.LBB137_34:                             ;   in Loop: Header=BB137_7 Depth=1
	s_and_not1_b32 vcc_lo, exec_lo, s25
	s_cbranch_vccnz .LBB137_6
; %bb.35:                               ;   in Loop: Header=BB137_7 Depth=1
	global_store_b128 v[22:23], v[2:5], off
	s_branch .LBB137_6
.LBB137_36:
.LBB137_37:
	s_sendmsg sendmsg(MSG_DEALLOC_VGPRS)
	s_endpgm
	.section	.rodata,"a",@progbits
	.p2align	6, 0x0
	.amdhsa_kernel _ZL29rocblas_internal_gemmt_kernelIiLi16ELi32ELi8ELc78ELc67ELc76ELb0ELb1E19rocblas_complex_numIdES1_PKS1_PS1_EviT_T9_T10_S5_lS7_S5_lS6_T11_S5_li
		.amdhsa_group_segment_fixed_size 8192
		.amdhsa_private_segment_fixed_size 0
		.amdhsa_kernarg_size 116
		.amdhsa_user_sgpr_count 2
		.amdhsa_user_sgpr_dispatch_ptr 0
		.amdhsa_user_sgpr_queue_ptr 0
		.amdhsa_user_sgpr_kernarg_segment_ptr 1
		.amdhsa_user_sgpr_dispatch_id 0
		.amdhsa_user_sgpr_kernarg_preload_length 0
		.amdhsa_user_sgpr_kernarg_preload_offset 0
		.amdhsa_user_sgpr_private_segment_size 0
		.amdhsa_wavefront_size32 1
		.amdhsa_uses_dynamic_stack 0
		.amdhsa_enable_private_segment 0
		.amdhsa_system_sgpr_workgroup_id_x 1
		.amdhsa_system_sgpr_workgroup_id_y 1
		.amdhsa_system_sgpr_workgroup_id_z 1
		.amdhsa_system_sgpr_workgroup_info 0
		.amdhsa_system_vgpr_workitem_id 1
		.amdhsa_next_free_vgpr 130
		.amdhsa_next_free_sgpr 41
		.amdhsa_named_barrier_count 0
		.amdhsa_reserve_vcc 1
		.amdhsa_float_round_mode_32 0
		.amdhsa_float_round_mode_16_64 0
		.amdhsa_float_denorm_mode_32 3
		.amdhsa_float_denorm_mode_16_64 3
		.amdhsa_fp16_overflow 0
		.amdhsa_memory_ordered 1
		.amdhsa_forward_progress 1
		.amdhsa_inst_pref_size 23
		.amdhsa_round_robin_scheduling 0
		.amdhsa_exception_fp_ieee_invalid_op 0
		.amdhsa_exception_fp_denorm_src 0
		.amdhsa_exception_fp_ieee_div_zero 0
		.amdhsa_exception_fp_ieee_overflow 0
		.amdhsa_exception_fp_ieee_underflow 0
		.amdhsa_exception_fp_ieee_inexact 0
		.amdhsa_exception_int_div_zero 0
	.end_amdhsa_kernel
	.section	.text._ZL29rocblas_internal_gemmt_kernelIiLi16ELi32ELi8ELc78ELc67ELc76ELb0ELb1E19rocblas_complex_numIdES1_PKS1_PS1_EviT_T9_T10_S5_lS7_S5_lS6_T11_S5_li,"axG",@progbits,_ZL29rocblas_internal_gemmt_kernelIiLi16ELi32ELi8ELc78ELc67ELc76ELb0ELb1E19rocblas_complex_numIdES1_PKS1_PS1_EviT_T9_T10_S5_lS7_S5_lS6_T11_S5_li,comdat
.Lfunc_end137:
	.size	_ZL29rocblas_internal_gemmt_kernelIiLi16ELi32ELi8ELc78ELc67ELc76ELb0ELb1E19rocblas_complex_numIdES1_PKS1_PS1_EviT_T9_T10_S5_lS7_S5_lS6_T11_S5_li, .Lfunc_end137-_ZL29rocblas_internal_gemmt_kernelIiLi16ELi32ELi8ELc78ELc67ELc76ELb0ELb1E19rocblas_complex_numIdES1_PKS1_PS1_EviT_T9_T10_S5_lS7_S5_lS6_T11_S5_li
                                        ; -- End function
	.set _ZL29rocblas_internal_gemmt_kernelIiLi16ELi32ELi8ELc78ELc67ELc76ELb0ELb1E19rocblas_complex_numIdES1_PKS1_PS1_EviT_T9_T10_S5_lS7_S5_lS6_T11_S5_li.num_vgpr, 130
	.set _ZL29rocblas_internal_gemmt_kernelIiLi16ELi32ELi8ELc78ELc67ELc76ELb0ELb1E19rocblas_complex_numIdES1_PKS1_PS1_EviT_T9_T10_S5_lS7_S5_lS6_T11_S5_li.num_agpr, 0
	.set _ZL29rocblas_internal_gemmt_kernelIiLi16ELi32ELi8ELc78ELc67ELc76ELb0ELb1E19rocblas_complex_numIdES1_PKS1_PS1_EviT_T9_T10_S5_lS7_S5_lS6_T11_S5_li.numbered_sgpr, 41
	.set _ZL29rocblas_internal_gemmt_kernelIiLi16ELi32ELi8ELc78ELc67ELc76ELb0ELb1E19rocblas_complex_numIdES1_PKS1_PS1_EviT_T9_T10_S5_lS7_S5_lS6_T11_S5_li.num_named_barrier, 0
	.set _ZL29rocblas_internal_gemmt_kernelIiLi16ELi32ELi8ELc78ELc67ELc76ELb0ELb1E19rocblas_complex_numIdES1_PKS1_PS1_EviT_T9_T10_S5_lS7_S5_lS6_T11_S5_li.private_seg_size, 0
	.set _ZL29rocblas_internal_gemmt_kernelIiLi16ELi32ELi8ELc78ELc67ELc76ELb0ELb1E19rocblas_complex_numIdES1_PKS1_PS1_EviT_T9_T10_S5_lS7_S5_lS6_T11_S5_li.uses_vcc, 1
	.set _ZL29rocblas_internal_gemmt_kernelIiLi16ELi32ELi8ELc78ELc67ELc76ELb0ELb1E19rocblas_complex_numIdES1_PKS1_PS1_EviT_T9_T10_S5_lS7_S5_lS6_T11_S5_li.uses_flat_scratch, 0
	.set _ZL29rocblas_internal_gemmt_kernelIiLi16ELi32ELi8ELc78ELc67ELc76ELb0ELb1E19rocblas_complex_numIdES1_PKS1_PS1_EviT_T9_T10_S5_lS7_S5_lS6_T11_S5_li.has_dyn_sized_stack, 0
	.set _ZL29rocblas_internal_gemmt_kernelIiLi16ELi32ELi8ELc78ELc67ELc76ELb0ELb1E19rocblas_complex_numIdES1_PKS1_PS1_EviT_T9_T10_S5_lS7_S5_lS6_T11_S5_li.has_recursion, 0
	.set _ZL29rocblas_internal_gemmt_kernelIiLi16ELi32ELi8ELc78ELc67ELc76ELb0ELb1E19rocblas_complex_numIdES1_PKS1_PS1_EviT_T9_T10_S5_lS7_S5_lS6_T11_S5_li.has_indirect_call, 0
	.section	.AMDGPU.csdata,"",@progbits
; Kernel info:
; codeLenInByte = 2924
; TotalNumSgprs: 43
; NumVgprs: 130
; ScratchSize: 0
; MemoryBound: 1
; FloatMode: 240
; IeeeMode: 1
; LDSByteSize: 8192 bytes/workgroup (compile time only)
; SGPRBlocks: 0
; VGPRBlocks: 8
; NumSGPRsForWavesPerEU: 43
; NumVGPRsForWavesPerEU: 130
; NamedBarCnt: 0
; Occupancy: 7
; WaveLimiterHint : 0
; COMPUTE_PGM_RSRC2:SCRATCH_EN: 0
; COMPUTE_PGM_RSRC2:USER_SGPR: 2
; COMPUTE_PGM_RSRC2:TRAP_HANDLER: 0
; COMPUTE_PGM_RSRC2:TGID_X_EN: 1
; COMPUTE_PGM_RSRC2:TGID_Y_EN: 1
; COMPUTE_PGM_RSRC2:TGID_Z_EN: 1
; COMPUTE_PGM_RSRC2:TIDIG_COMP_CNT: 1
	.section	.text._ZL29rocblas_internal_gemmt_kernelIiLi16ELi32ELi8ELc84ELc78ELc76ELb0ELb0E19rocblas_complex_numIdES1_PKS1_PS1_EviT_T9_T10_S5_lS7_S5_lS6_T11_S5_li,"axG",@progbits,_ZL29rocblas_internal_gemmt_kernelIiLi16ELi32ELi8ELc84ELc78ELc76ELb0ELb0E19rocblas_complex_numIdES1_PKS1_PS1_EviT_T9_T10_S5_lS7_S5_lS6_T11_S5_li,comdat
	.globl	_ZL29rocblas_internal_gemmt_kernelIiLi16ELi32ELi8ELc84ELc78ELc76ELb0ELb0E19rocblas_complex_numIdES1_PKS1_PS1_EviT_T9_T10_S5_lS7_S5_lS6_T11_S5_li ; -- Begin function _ZL29rocblas_internal_gemmt_kernelIiLi16ELi32ELi8ELc84ELc78ELc76ELb0ELb0E19rocblas_complex_numIdES1_PKS1_PS1_EviT_T9_T10_S5_lS7_S5_lS6_T11_S5_li
	.p2align	8
	.type	_ZL29rocblas_internal_gemmt_kernelIiLi16ELi32ELi8ELc84ELc78ELc76ELb0ELb0E19rocblas_complex_numIdES1_PKS1_PS1_EviT_T9_T10_S5_lS7_S5_lS6_T11_S5_li,@function
_ZL29rocblas_internal_gemmt_kernelIiLi16ELi32ELi8ELc84ELc78ELc76ELb0ELb0E19rocblas_complex_numIdES1_PKS1_PS1_EviT_T9_T10_S5_lS7_S5_lS6_T11_S5_li: ; @_ZL29rocblas_internal_gemmt_kernelIiLi16ELi32ELi8ELc84ELc78ELc76ELb0ELb0E19rocblas_complex_numIdES1_PKS1_PS1_EviT_T9_T10_S5_lS7_S5_lS6_T11_S5_li
; %bb.0:
	s_clause 0x2
	s_load_b256 s[8:15], s[0:1], 0x40
	s_load_b64 s[4:5], s[0:1], 0x0
	s_load_b128 s[16:19], s[0:1], 0x8
	s_wait_kmcnt 0x0
	v_cmp_eq_f64_e64 s2, s[10:11], 1.0
	v_cmp_eq_f64_e64 s33, s[12:13], 0
	s_and_b32 s2, s2, s33
	s_delay_alu instid0(SALU_CYCLE_1)
	s_and_not1_b32 vcc_lo, exec_lo, s2
	s_mov_b32 s2, -1
	s_cbranch_vccnz .LBB138_3
; %bb.1:
	s_cmp_lg_u32 s5, 0
	s_cbranch_scc0 .LBB138_38
; %bb.2:
	v_cmp_neq_f64_e64 s2, s[16:17], 0
	v_cmp_neq_f64_e64 s3, s[18:19], 0
	s_or_b32 s2, s2, s3
.LBB138_3:
	s_delay_alu instid0(SALU_CYCLE_1)
	s_and_b32 vcc_lo, exec_lo, s2
	s_cbranch_vccz .LBB138_39
; %bb.4:
	s_load_b32 s27, s[0:1], 0x70
	s_bfe_u32 s2, ttmp6, 0x40014
	s_lshr_b32 s3, ttmp7, 16
	s_add_co_i32 s2, s2, 1
	s_bfe_u32 s6, ttmp6, 0x40008
	s_mul_i32 s2, s3, s2
	s_getreg_b32 s34, hwreg(HW_REG_IB_STS2, 6, 4)
	s_add_co_i32 s6, s6, s2
	s_cmp_eq_u32 s34, 0
	s_mov_b32 s7, 0
	s_cselect_b32 s6, s3, s6
	s_wait_kmcnt 0x0
	s_cmp_ge_u32 s6, s27
	s_cbranch_scc1 .LBB138_39
; %bb.5:
	s_clause 0x2
	s_load_b96 s[24:26], s[0:1], 0x18
	s_load_b32 s2, s[0:1], 0x38
	s_load_b32 s30, s[0:1], 0x60
	v_and_b32_e32 v5, 0x3ff, v0
	v_bfe_u32 v7, v0, 10, 10
	s_clause 0x1
	s_load_b128 s[20:23], s[0:1], 0x28
	s_load_b64 s[28:29], s[0:1], 0x68
	s_wait_xcnt 0x0
	s_bfe_u32 s1, ttmp6, 0x4000c
	s_bfe_u32 s38, ttmp6, 0x40010
	s_and_b32 s37, ttmp7, 0xffff
	s_add_co_i32 s39, s1, 1
	s_add_co_i32 s38, s38, 1
	v_and_b32_e32 v36, 7, v0
	v_lshl_add_u32 v0, v7, 4, v5
	s_and_b32 s0, ttmp6, 15
	s_mul_i32 s39, ttmp9, s39
	s_mul_i32 s38, s37, s38
	s_bfe_u32 s40, ttmp6, 0x40004
	s_add_co_i32 s0, s0, s39
	s_add_co_i32 s40, s40, s38
	v_dual_lshrrev_b32 v6, 3, v0 :: v_dual_bitop2_b32 v8, 31, v0 bitop3:0x40
	s_wait_kmcnt 0x0
	s_ashr_i32 s1, s26, 31
	s_ashr_i32 s3, s2, 31
	;; [unrolled: 1-line block ×3, first 2 shown]
	s_cmp_eq_u32 s34, 0
	v_lshrrev_b32_e32 v37, 5, v0
	s_cselect_b32 s0, ttmp9, s0
	s_cselect_b32 s34, s37, s40
	s_lshl_b32 s37, s0, 5
	s_lshl_b32 s34, s34, 5
	s_delay_alu instid0(SALU_CYCLE_1) | instskip(SKIP_3) | instid1(VALU_DEP_4)
	v_dual_add_nc_u32 v2, s34, v6 :: v_dual_bitop2_b32 v0, s37, v8 bitop3:0x54
	v_cmp_neq_f64_e64 s35, s[16:17], 0
	v_cmp_neq_f64_e64 s36, s[18:19], 0
	v_dual_lshlrev_b32 v4, 4, v36 :: v_dual_add_nc_u32 v14, s34, v7
	v_dual_ashrrev_i32 v1, 31, v0 :: v_dual_ashrrev_i32 v3, 31, v2
	s_mov_b32 s0, s26
	v_cmp_neq_f64_e64 s38, s[10:11], 0
	s_delay_alu instid0(VALU_DEP_3) | instskip(NEXT) | instid1(VALU_DEP_3)
	v_add_nc_u32_e32 v20, 16, v14
	v_mul_u64_e32 v[16:17], s[0:1], v[0:1]
	v_mul_u64_e32 v[18:19], s[2:3], v[2:3]
	v_dual_lshlrev_b32 v1, 4, v8 :: v_dual_ashrrev_i32 v15, 31, v14
	s_delay_alu instid0(VALU_DEP_4)
	v_ashrrev_i32_e32 v21, 31, v20
	v_cmp_gt_i32_e32 vcc_lo, s4, v0
	v_lshl_or_b32 v0, v6, 7, v4
	v_dual_add_nc_u32 v6, s37, v5 :: v_dual_lshlrev_b32 v40, 4, v5
	v_mul_u64_e32 v[8:9], s[30:31], v[14:15]
	v_mul_u64_e32 v[10:11], s[30:31], v[20:21]
	s_delay_alu instid0(VALU_DEP_4) | instskip(SKIP_3) | instid1(VALU_DEP_4)
	v_dual_mov_b32 v0, 0 :: v_dual_add_nc_u32 v39, 0x1000, v0
	v_cmp_gt_i32_e64 s0, s4, v2
	v_lshl_add_u32 v41, v7, 7, 0x1000
	v_dual_add_nc_u32 v12, 16, v6 :: v_dual_ashrrev_i32 v7, 31, v6
	v_dual_mov_b32 v3, v0 :: v_dual_lshlrev_b32 v2, 4, v37
	s_delay_alu instid0(VALU_DEP_2)
	v_dual_mov_b32 v5, v0 :: v_dual_ashrrev_i32 v13, 31, v12
	v_cmp_le_i32_e64 s1, v14, v6
	v_cmp_gt_i32_e64 s2, s4, v6
	v_cmp_gt_i32_e64 s4, s4, v12
	s_or_b32 s35, s35, s36
	s_cmp_gt_i32 s5, 0
	v_lshl_or_b32 v38, v37, 9, v1
	s_cselect_b32 s36, -1, 0
	s_xor_b32 s3, s33, -1
	s_and_b32 s30, s1, s2
	s_or_b32 s26, s38, s3
	v_cmp_le_i32_e64 s3, v14, v12
	v_lshl_add_u64 v[2:3], v[16:17], 4, v[2:3]
	v_lshl_add_u64 v[4:5], v[18:19], 4, v[4:5]
	v_cmp_le_i32_e64 s1, v20, v6
	s_lshl_b64 s[8:9], s[8:9], 4
	s_and_b32 s31, s3, s4
	v_cmp_le_i32_e64 s3, v20, v12
	v_add_nc_u64_e32 v[14:15], s[24:25], v[2:3]
	v_add_nc_u64_e32 v[16:17], s[22:23], v[4:5]
	s_and_b32 s33, s1, s2
	s_xor_b32 s22, s0, -1
	s_and_b32 s4, s3, s4
	s_lshl_b64 s[2:3], s[20:21], 4
	s_and_b32 s20, s35, s36
	s_xor_b32 s21, vcc_lo, -1
	s_branch .LBB138_7
.LBB138_6:                              ;   in Loop: Header=BB138_7 Depth=1
	s_wait_xcnt 0x0
	s_or_b32 exec_lo, exec_lo, s0
	s_add_co_i32 s6, s6, 0x10000
	s_delay_alu instid0(SALU_CYCLE_1)
	s_cmp_lt_u32 s6, s27
	s_cbranch_scc0 .LBB138_39
.LBB138_7:                              ; =>This Loop Header: Depth=1
                                        ;     Child Loop BB138_10 Depth 2
	v_mov_b64_e32 v[28:29], 0
	v_mov_b64_e32 v[30:31], 0
	;; [unrolled: 1-line block ×8, first 2 shown]
	s_and_not1_b32 vcc_lo, exec_lo, s20
	s_cbranch_vccnz .LBB138_18
; %bb.8:                                ;   in Loop: Header=BB138_7 Depth=1
	v_mad_nc_u64_u32 v[4:5], s2, s6, v[14:15]
	v_mad_nc_u64_u32 v[18:19], s8, s6, v[16:17]
	v_mov_b64_e32 v[32:33], 0
	v_mov_b64_e32 v[34:35], 0
	;; [unrolled: 1-line block ×8, first 2 shown]
	s_mov_b32 s0, 0
	v_mad_u32 v5, s3, s6, v5
	v_mad_u32 v19, s9, s6, v19
	s_branch .LBB138_10
.LBB138_9:                              ;   in Loop: Header=BB138_10 Depth=2
	s_wait_xcnt 0x0
	s_or_b32 exec_lo, exec_lo, s1
	s_wait_dscnt 0x0
	s_barrier_signal -1
	s_barrier_wait -1
	ds_load_b128 v[42:45], v41
	ds_load_b128 v[46:49], v41 offset:16
	ds_load_b128 v[50:53], v41 offset:32
	;; [unrolled: 1-line block ×3, first 2 shown]
	ds_load_b128 v[58:61], v40
	v_add_nc_u64_e32 v[4:5], 0x80, v[4:5]
	v_add_nc_u64_e32 v[18:19], 0x80, v[18:19]
	s_add_co_i32 s0, s0, 8
	s_delay_alu instid0(SALU_CYCLE_1) | instskip(SKIP_3) | instid1(VALU_DEP_2)
	s_cmp_lt_i32 s0, s5
	s_wait_dscnt 0x0
	v_mul_f64_e32 v[2:3], v[44:45], v[60:61]
	v_mul_f64_e32 v[62:63], v[42:43], v[60:61]
	v_fma_f64 v[2:3], v[42:43], v[58:59], -v[2:3]
	s_delay_alu instid0(VALU_DEP_2) | instskip(NEXT) | instid1(VALU_DEP_2)
	v_fmac_f64_e32 v[62:63], v[44:45], v[58:59]
	v_add_f64_e32 v[2:3], v[28:29], v[2:3]
	s_delay_alu instid0(VALU_DEP_2) | instskip(SKIP_3) | instid1(VALU_DEP_1)
	v_add_f64_e32 v[62:63], v[62:63], v[30:31]
	ds_load_b128 v[28:31], v40 offset:256
	s_wait_dscnt 0x0
	v_mul_f64_e32 v[64:65], v[44:45], v[30:31]
	v_fma_f64 v[64:65], v[42:43], v[28:29], -v[64:65]
	v_mul_f64_e32 v[42:43], v[42:43], v[30:31]
	s_delay_alu instid0(VALU_DEP_1) | instskip(NEXT) | instid1(VALU_DEP_3)
	v_fmac_f64_e32 v[42:43], v[44:45], v[28:29]
	v_add_f64_e32 v[44:45], v[20:21], v[64:65]
	s_delay_alu instid0(VALU_DEP_2) | instskip(SKIP_4) | instid1(VALU_DEP_2)
	v_add_f64_e32 v[42:43], v[42:43], v[22:23]
	ds_load_b128 v[20:23], v41 offset:2048
	s_wait_dscnt 0x0
	v_mul_f64_e32 v[64:65], v[22:23], v[60:61]
	v_mul_f64_e32 v[60:61], v[20:21], v[60:61]
	v_fma_f64 v[64:65], v[20:21], v[58:59], -v[64:65]
	s_delay_alu instid0(VALU_DEP_2) | instskip(NEXT) | instid1(VALU_DEP_2)
	v_fmac_f64_e32 v[60:61], v[22:23], v[58:59]
	v_add_f64_e32 v[58:59], v[24:25], v[64:65]
	v_mul_f64_e32 v[24:25], v[22:23], v[30:31]
	s_delay_alu instid0(VALU_DEP_3) | instskip(NEXT) | instid1(VALU_DEP_2)
	v_add_f64_e32 v[60:61], v[60:61], v[26:27]
	v_fma_f64 v[24:25], v[20:21], v[28:29], -v[24:25]
	v_mul_f64_e32 v[20:21], v[20:21], v[30:31]
	s_delay_alu instid0(VALU_DEP_2) | instskip(NEXT) | instid1(VALU_DEP_2)
	v_add_f64_e32 v[34:35], v[34:35], v[24:25]
	v_fmac_f64_e32 v[20:21], v[22:23], v[28:29]
	s_delay_alu instid0(VALU_DEP_1) | instskip(SKIP_4) | instid1(VALU_DEP_2)
	v_add_f64_e32 v[32:33], v[20:21], v[32:33]
	ds_load_b128 v[20:23], v40 offset:512
	s_wait_dscnt 0x0
	v_mul_f64_e32 v[24:25], v[48:49], v[22:23]
	v_mul_f64_e32 v[26:27], v[46:47], v[22:23]
	v_fma_f64 v[24:25], v[46:47], v[20:21], -v[24:25]
	s_delay_alu instid0(VALU_DEP_2) | instskip(NEXT) | instid1(VALU_DEP_2)
	v_fmac_f64_e32 v[26:27], v[48:49], v[20:21]
	v_add_f64_e32 v[2:3], v[2:3], v[24:25]
	s_delay_alu instid0(VALU_DEP_2) | instskip(SKIP_4) | instid1(VALU_DEP_2)
	v_add_f64_e32 v[62:63], v[26:27], v[62:63]
	ds_load_b128 v[24:27], v40 offset:768
	s_wait_dscnt 0x0
	v_mul_f64_e32 v[28:29], v[48:49], v[26:27]
	v_mul_f64_e32 v[30:31], v[46:47], v[26:27]
	v_fma_f64 v[28:29], v[46:47], v[24:25], -v[28:29]
	s_delay_alu instid0(VALU_DEP_2) | instskip(NEXT) | instid1(VALU_DEP_2)
	v_fmac_f64_e32 v[30:31], v[48:49], v[24:25]
	v_add_f64_e32 v[44:45], v[44:45], v[28:29]
	s_delay_alu instid0(VALU_DEP_2) | instskip(SKIP_4) | instid1(VALU_DEP_2)
	v_add_f64_e32 v[42:43], v[30:31], v[42:43]
	ds_load_b128 v[28:31], v41 offset:2064
	s_wait_dscnt 0x0
	v_mul_f64_e32 v[46:47], v[30:31], v[22:23]
	v_mul_f64_e32 v[22:23], v[28:29], v[22:23]
	v_fma_f64 v[46:47], v[28:29], v[20:21], -v[46:47]
	s_delay_alu instid0(VALU_DEP_2) | instskip(SKIP_1) | instid1(VALU_DEP_3)
	v_fmac_f64_e32 v[22:23], v[30:31], v[20:21]
	v_mul_f64_e32 v[20:21], v[30:31], v[26:27]
	v_add_f64_e32 v[46:47], v[58:59], v[46:47]
	s_delay_alu instid0(VALU_DEP_3) | instskip(SKIP_1) | instid1(VALU_DEP_4)
	v_add_f64_e32 v[48:49], v[22:23], v[60:61]
	v_mul_f64_e32 v[22:23], v[28:29], v[26:27]
	v_fma_f64 v[20:21], v[28:29], v[24:25], -v[20:21]
	s_delay_alu instid0(VALU_DEP_2) | instskip(NEXT) | instid1(VALU_DEP_2)
	v_fmac_f64_e32 v[22:23], v[30:31], v[24:25]
	v_add_f64_e32 v[34:35], v[34:35], v[20:21]
	s_delay_alu instid0(VALU_DEP_2) | instskip(SKIP_4) | instid1(VALU_DEP_2)
	v_add_f64_e32 v[32:33], v[22:23], v[32:33]
	ds_load_b128 v[20:23], v40 offset:1024
	s_wait_dscnt 0x0
	v_mul_f64_e32 v[24:25], v[52:53], v[22:23]
	v_mul_f64_e32 v[26:27], v[50:51], v[22:23]
	v_fma_f64 v[24:25], v[50:51], v[20:21], -v[24:25]
	s_delay_alu instid0(VALU_DEP_2) | instskip(NEXT) | instid1(VALU_DEP_2)
	v_fmac_f64_e32 v[26:27], v[52:53], v[20:21]
	v_add_f64_e32 v[2:3], v[2:3], v[24:25]
	s_delay_alu instid0(VALU_DEP_2) | instskip(SKIP_4) | instid1(VALU_DEP_2)
	v_add_f64_e32 v[58:59], v[26:27], v[62:63]
	ds_load_b128 v[24:27], v40 offset:1280
	s_wait_dscnt 0x0
	v_mul_f64_e32 v[28:29], v[52:53], v[26:27]
	;; [unrolled: 10-line block ×3, first 2 shown]
	v_mul_f64_e32 v[22:23], v[28:29], v[22:23]
	v_fma_f64 v[50:51], v[28:29], v[20:21], -v[50:51]
	s_delay_alu instid0(VALU_DEP_2) | instskip(SKIP_1) | instid1(VALU_DEP_3)
	v_fmac_f64_e32 v[22:23], v[30:31], v[20:21]
	v_mul_f64_e32 v[20:21], v[30:31], v[26:27]
	v_add_f64_e32 v[46:47], v[46:47], v[50:51]
	s_delay_alu instid0(VALU_DEP_3) | instskip(SKIP_1) | instid1(VALU_DEP_4)
	v_add_f64_e32 v[48:49], v[22:23], v[48:49]
	v_mul_f64_e32 v[22:23], v[28:29], v[26:27]
	v_fma_f64 v[20:21], v[28:29], v[24:25], -v[20:21]
	s_delay_alu instid0(VALU_DEP_2) | instskip(NEXT) | instid1(VALU_DEP_2)
	v_fmac_f64_e32 v[22:23], v[30:31], v[24:25]
	v_add_f64_e32 v[34:35], v[34:35], v[20:21]
	s_delay_alu instid0(VALU_DEP_2) | instskip(SKIP_4) | instid1(VALU_DEP_2)
	v_add_f64_e32 v[32:33], v[22:23], v[32:33]
	ds_load_b128 v[20:23], v40 offset:1536
	s_wait_dscnt 0x0
	v_mul_f64_e32 v[24:25], v[56:57], v[22:23]
	v_mul_f64_e32 v[26:27], v[54:55], v[22:23]
	v_fma_f64 v[24:25], v[54:55], v[20:21], -v[24:25]
	s_delay_alu instid0(VALU_DEP_2) | instskip(NEXT) | instid1(VALU_DEP_2)
	v_fmac_f64_e32 v[26:27], v[56:57], v[20:21]
	v_add_f64_e32 v[2:3], v[2:3], v[24:25]
	s_delay_alu instid0(VALU_DEP_2) | instskip(SKIP_4) | instid1(VALU_DEP_2)
	v_add_f64_e32 v[50:51], v[26:27], v[58:59]
	ds_load_b128 v[24:27], v40 offset:1792
	s_wait_dscnt 0x0
	v_mul_f64_e32 v[28:29], v[56:57], v[26:27]
	;; [unrolled: 10-line block ×3, first 2 shown]
	v_mul_f64_e32 v[22:23], v[28:29], v[22:23]
	v_fma_f64 v[52:53], v[28:29], v[20:21], -v[52:53]
	s_delay_alu instid0(VALU_DEP_2) | instskip(SKIP_1) | instid1(VALU_DEP_3)
	v_fmac_f64_e32 v[22:23], v[30:31], v[20:21]
	v_mul_f64_e32 v[20:21], v[30:31], v[26:27]
	v_add_f64_e32 v[46:47], v[46:47], v[52:53]
	s_delay_alu instid0(VALU_DEP_3) | instskip(SKIP_1) | instid1(VALU_DEP_4)
	v_add_f64_e32 v[48:49], v[22:23], v[48:49]
	v_mul_f64_e32 v[22:23], v[28:29], v[26:27]
	v_fma_f64 v[20:21], v[28:29], v[24:25], -v[20:21]
	s_delay_alu instid0(VALU_DEP_2) | instskip(NEXT) | instid1(VALU_DEP_2)
	v_fmac_f64_e32 v[22:23], v[30:31], v[24:25]
	v_add_f64_e32 v[34:35], v[34:35], v[20:21]
	s_delay_alu instid0(VALU_DEP_2)
	v_add_f64_e32 v[32:33], v[22:23], v[32:33]
	ds_load_b128 v[20:23], v41 offset:64
	ds_load_b128 v[24:27], v40 offset:2048
	s_wait_dscnt 0x0
	v_mul_f64_e32 v[28:29], v[22:23], v[26:27]
	v_mul_f64_e32 v[30:31], v[20:21], v[26:27]
	s_delay_alu instid0(VALU_DEP_2) | instskip(NEXT) | instid1(VALU_DEP_2)
	v_fma_f64 v[28:29], v[20:21], v[24:25], -v[28:29]
	v_fmac_f64_e32 v[30:31], v[22:23], v[24:25]
	s_delay_alu instid0(VALU_DEP_2) | instskip(NEXT) | instid1(VALU_DEP_2)
	v_add_f64_e32 v[2:3], v[2:3], v[28:29]
	v_add_f64_e32 v[50:51], v[30:31], v[50:51]
	ds_load_b128 v[28:31], v40 offset:2304
	s_wait_dscnt 0x0
	v_mul_f64_e32 v[52:53], v[22:23], v[30:31]
	s_delay_alu instid0(VALU_DEP_1) | instskip(SKIP_1) | instid1(VALU_DEP_2)
	v_fma_f64 v[52:53], v[20:21], v[28:29], -v[52:53]
	v_mul_f64_e32 v[20:21], v[20:21], v[30:31]
	v_add_f64_e32 v[44:45], v[44:45], v[52:53]
	s_delay_alu instid0(VALU_DEP_2) | instskip(NEXT) | instid1(VALU_DEP_1)
	v_fmac_f64_e32 v[20:21], v[22:23], v[28:29]
	v_add_f64_e32 v[42:43], v[20:21], v[42:43]
	ds_load_b128 v[20:23], v41 offset:2112
	s_wait_dscnt 0x0
	v_mul_f64_e32 v[52:53], v[22:23], v[26:27]
	v_mul_f64_e32 v[26:27], v[20:21], v[26:27]
	s_delay_alu instid0(VALU_DEP_2) | instskip(NEXT) | instid1(VALU_DEP_2)
	v_fma_f64 v[52:53], v[20:21], v[24:25], -v[52:53]
	v_fmac_f64_e32 v[26:27], v[22:23], v[24:25]
	v_mul_f64_e32 v[24:25], v[22:23], v[30:31]
	s_delay_alu instid0(VALU_DEP_3) | instskip(NEXT) | instid1(VALU_DEP_3)
	v_add_f64_e32 v[46:47], v[46:47], v[52:53]
	v_add_f64_e32 v[48:49], v[26:27], v[48:49]
	s_delay_alu instid0(VALU_DEP_3) | instskip(SKIP_1) | instid1(VALU_DEP_2)
	v_fma_f64 v[24:25], v[20:21], v[28:29], -v[24:25]
	v_mul_f64_e32 v[20:21], v[20:21], v[30:31]
	v_add_f64_e32 v[34:35], v[34:35], v[24:25]
	s_delay_alu instid0(VALU_DEP_2) | instskip(NEXT) | instid1(VALU_DEP_1)
	v_fmac_f64_e32 v[20:21], v[22:23], v[28:29]
	v_add_f64_e32 v[32:33], v[20:21], v[32:33]
	ds_load_b128 v[20:23], v41 offset:80
	ds_load_b128 v[24:27], v40 offset:2560
	s_wait_dscnt 0x0
	v_mul_f64_e32 v[28:29], v[22:23], v[26:27]
	v_mul_f64_e32 v[30:31], v[20:21], v[26:27]
	s_delay_alu instid0(VALU_DEP_2) | instskip(NEXT) | instid1(VALU_DEP_2)
	v_fma_f64 v[28:29], v[20:21], v[24:25], -v[28:29]
	v_fmac_f64_e32 v[30:31], v[22:23], v[24:25]
	s_delay_alu instid0(VALU_DEP_2) | instskip(NEXT) | instid1(VALU_DEP_2)
	v_add_f64_e32 v[2:3], v[2:3], v[28:29]
	v_add_f64_e32 v[50:51], v[30:31], v[50:51]
	ds_load_b128 v[28:31], v40 offset:2816
	s_wait_dscnt 0x0
	v_mul_f64_e32 v[52:53], v[22:23], v[30:31]
	s_delay_alu instid0(VALU_DEP_1) | instskip(SKIP_1) | instid1(VALU_DEP_2)
	v_fma_f64 v[52:53], v[20:21], v[28:29], -v[52:53]
	v_mul_f64_e32 v[20:21], v[20:21], v[30:31]
	v_add_f64_e32 v[44:45], v[44:45], v[52:53]
	s_delay_alu instid0(VALU_DEP_2) | instskip(NEXT) | instid1(VALU_DEP_1)
	v_fmac_f64_e32 v[20:21], v[22:23], v[28:29]
	v_add_f64_e32 v[42:43], v[20:21], v[42:43]
	ds_load_b128 v[20:23], v41 offset:2128
	s_wait_dscnt 0x0
	v_mul_f64_e32 v[52:53], v[22:23], v[26:27]
	v_mul_f64_e32 v[26:27], v[20:21], v[26:27]
	s_delay_alu instid0(VALU_DEP_2) | instskip(NEXT) | instid1(VALU_DEP_2)
	v_fma_f64 v[52:53], v[20:21], v[24:25], -v[52:53]
	v_fmac_f64_e32 v[26:27], v[22:23], v[24:25]
	v_mul_f64_e32 v[24:25], v[22:23], v[30:31]
	s_delay_alu instid0(VALU_DEP_3) | instskip(NEXT) | instid1(VALU_DEP_3)
	v_add_f64_e32 v[46:47], v[46:47], v[52:53]
	v_add_f64_e32 v[48:49], v[26:27], v[48:49]
	s_delay_alu instid0(VALU_DEP_3) | instskip(SKIP_1) | instid1(VALU_DEP_2)
	v_fma_f64 v[24:25], v[20:21], v[28:29], -v[24:25]
	v_mul_f64_e32 v[20:21], v[20:21], v[30:31]
	v_add_f64_e32 v[34:35], v[34:35], v[24:25]
	s_delay_alu instid0(VALU_DEP_2) | instskip(NEXT) | instid1(VALU_DEP_1)
	v_fmac_f64_e32 v[20:21], v[22:23], v[28:29]
	;; [unrolled: 39-line block ×3, first 2 shown]
	v_add_f64_e32 v[54:55], v[20:21], v[32:33]
	ds_load_b128 v[20:23], v41 offset:112
	ds_load_b128 v[24:27], v40 offset:3584
	;; [unrolled: 1-line block ×3, first 2 shown]
	s_wait_dscnt 0x1
	v_mul_f64_e32 v[28:29], v[22:23], v[26:27]
	v_mul_f64_e32 v[30:31], v[20:21], v[26:27]
	s_delay_alu instid0(VALU_DEP_2) | instskip(NEXT) | instid1(VALU_DEP_2)
	v_fma_f64 v[28:29], v[20:21], v[24:25], -v[28:29]
	v_fmac_f64_e32 v[30:31], v[22:23], v[24:25]
	s_delay_alu instid0(VALU_DEP_2) | instskip(NEXT) | instid1(VALU_DEP_2)
	v_add_f64_e32 v[28:29], v[2:3], v[28:29]
	v_add_f64_e32 v[30:31], v[30:31], v[50:51]
	s_wait_dscnt 0x0
	v_mul_f64_e32 v[2:3], v[22:23], v[34:35]
	v_mul_f64_e32 v[50:51], v[20:21], v[34:35]
	s_delay_alu instid0(VALU_DEP_2) | instskip(NEXT) | instid1(VALU_DEP_2)
	v_fma_f64 v[2:3], v[20:21], v[32:33], -v[2:3]
	v_fmac_f64_e32 v[50:51], v[22:23], v[32:33]
	s_delay_alu instid0(VALU_DEP_2) | instskip(NEXT) | instid1(VALU_DEP_2)
	v_add_f64_e32 v[20:21], v[44:45], v[2:3]
	v_add_f64_e32 v[22:23], v[50:51], v[42:43]
	ds_load_b128 v[42:45], v41 offset:2160
	s_wait_dscnt 0x0
	s_barrier_signal -1
	s_barrier_wait -1
	v_mul_f64_e32 v[2:3], v[44:45], v[26:27]
	v_mul_f64_e32 v[26:27], v[42:43], v[26:27]
	s_delay_alu instid0(VALU_DEP_2) | instskip(NEXT) | instid1(VALU_DEP_2)
	v_fma_f64 v[2:3], v[42:43], v[24:25], -v[2:3]
	v_fmac_f64_e32 v[26:27], v[44:45], v[24:25]
	s_delay_alu instid0(VALU_DEP_2) | instskip(SKIP_1) | instid1(VALU_DEP_3)
	v_add_f64_e32 v[24:25], v[46:47], v[2:3]
	v_mul_f64_e32 v[2:3], v[44:45], v[34:35]
	v_add_f64_e32 v[26:27], v[26:27], v[48:49]
	s_delay_alu instid0(VALU_DEP_2) | instskip(SKIP_1) | instid1(VALU_DEP_2)
	v_fma_f64 v[2:3], v[42:43], v[32:33], -v[2:3]
	v_mul_f64_e32 v[42:43], v[42:43], v[34:35]
	v_add_f64_e32 v[34:35], v[52:53], v[2:3]
	s_delay_alu instid0(VALU_DEP_2) | instskip(NEXT) | instid1(VALU_DEP_1)
	v_fmac_f64_e32 v[42:43], v[44:45], v[32:33]
	v_add_f64_e32 v[32:33], v[42:43], v[54:55]
	s_cbranch_scc0 .LBB138_18
.LBB138_10:                             ;   Parent Loop BB138_7 Depth=1
                                        ; =>  This Inner Loop Header: Depth=2
	v_add_nc_u32_e32 v1, s0, v37
	s_delay_alu instid0(VALU_DEP_1) | instskip(SKIP_1) | instid1(SALU_CYCLE_1)
	v_cmp_le_i32_e32 vcc_lo, s5, v1
	s_or_b32 s1, s21, vcc_lo
	s_and_saveexec_b32 s23, s1
	s_delay_alu instid0(SALU_CYCLE_1)
	s_xor_b32 s1, exec_lo, s23
; %bb.11:                               ;   in Loop: Header=BB138_10 Depth=2
	v_dual_mov_b32 v1, v0 :: v_dual_mov_b32 v2, v0
	v_mov_b32_e32 v3, v0
	ds_store_b128 v38, v[0:3]
; %bb.12:                               ;   in Loop: Header=BB138_10 Depth=2
	s_and_not1_saveexec_b32 s1, s1
	s_cbranch_execz .LBB138_14
; %bb.13:                               ;   in Loop: Header=BB138_10 Depth=2
	global_load_b128 v[42:45], v[4:5], off
	s_wait_loadcnt 0x0
	ds_store_2addr_b64 v38, v[42:43], v[44:45] offset1:1
.LBB138_14:                             ;   in Loop: Header=BB138_10 Depth=2
	s_wait_xcnt 0x0
	s_or_b32 exec_lo, exec_lo, s1
	v_add_nc_u32_e32 v1, s0, v36
	s_delay_alu instid0(VALU_DEP_1) | instskip(SKIP_1) | instid1(SALU_CYCLE_1)
	v_cmp_le_i32_e32 vcc_lo, s5, v1
	s_or_b32 s1, vcc_lo, s22
	s_and_saveexec_b32 s23, s1
	s_delay_alu instid0(SALU_CYCLE_1)
	s_xor_b32 s1, exec_lo, s23
; %bb.15:                               ;   in Loop: Header=BB138_10 Depth=2
	v_dual_mov_b32 v1, v0 :: v_dual_mov_b32 v2, v0
	v_mov_b32_e32 v3, v0
	ds_store_b128 v39, v[0:3]
; %bb.16:                               ;   in Loop: Header=BB138_10 Depth=2
	s_and_not1_saveexec_b32 s1, s1
	s_cbranch_execz .LBB138_9
; %bb.17:                               ;   in Loop: Header=BB138_10 Depth=2
	global_load_b128 v[42:45], v[18:19], off
	s_wait_loadcnt 0x0
	ds_store_2addr_b64 v39, v[42:43], v[44:45] offset1:1
	s_branch .LBB138_9
.LBB138_18:                             ;   in Loop: Header=BB138_7 Depth=1
	s_mul_u64 s[0:1], s[28:29], s[6:7]
	s_delay_alu instid0(SALU_CYCLE_1) | instskip(NEXT) | instid1(SALU_CYCLE_1)
	s_lshl_b64 s[0:1], s[0:1], 4
	s_add_nc_u64 s[0:1], s[14:15], s[0:1]
	s_delay_alu instid0(SALU_CYCLE_1)
	v_lshl_add_u64 v[18:19], v[8:9], 4, s[0:1]
	s_and_saveexec_b32 s23, s30
	s_cbranch_execz .LBB138_23
; %bb.19:                               ;   in Loop: Header=BB138_7 Depth=1
	v_mul_f64_e32 v[2:3], s[18:19], v[30:31]
	v_mul_f64_e32 v[4:5], s[16:17], v[30:31]
	s_and_b32 vcc_lo, exec_lo, s26
	s_mov_b32 s24, -1
	s_delay_alu instid0(VALU_DEP_2) | instskip(NEXT) | instid1(VALU_DEP_2)
	v_fma_f64 v[2:3], s[16:17], v[28:29], -v[2:3]
	v_fmac_f64_e32 v[4:5], s[18:19], v[28:29]
	v_lshl_add_u64 v[28:29], v[6:7], 4, v[18:19]
	s_cbranch_vccz .LBB138_21
; %bb.20:                               ;   in Loop: Header=BB138_7 Depth=1
	global_load_b128 v[42:45], v[28:29], off
	s_mov_b32 s24, 0
	s_wait_loadcnt 0x0
	v_mul_f64_e32 v[30:31], s[12:13], v[44:45]
	v_mul_f64_e32 v[44:45], s[10:11], v[44:45]
	s_delay_alu instid0(VALU_DEP_2) | instskip(NEXT) | instid1(VALU_DEP_2)
	v_fma_f64 v[30:31], s[10:11], v[42:43], -v[30:31]
	v_fmac_f64_e32 v[44:45], s[12:13], v[42:43]
	s_delay_alu instid0(VALU_DEP_2) | instskip(NEXT) | instid1(VALU_DEP_2)
	v_add_f64_e32 v[42:43], v[2:3], v[30:31]
	v_add_f64_e32 v[44:45], v[4:5], v[44:45]
	global_store_b128 v[28:29], v[42:45], off
.LBB138_21:                             ;   in Loop: Header=BB138_7 Depth=1
	s_and_not1_b32 vcc_lo, exec_lo, s24
	s_cbranch_vccnz .LBB138_23
; %bb.22:                               ;   in Loop: Header=BB138_7 Depth=1
	global_store_b128 v[28:29], v[2:5], off
.LBB138_23:                             ;   in Loop: Header=BB138_7 Depth=1
	s_wait_xcnt 0x0
	s_or_b32 exec_lo, exec_lo, s23
	s_and_saveexec_b32 s23, s31
	s_cbranch_execz .LBB138_28
; %bb.24:                               ;   in Loop: Header=BB138_7 Depth=1
	v_mul_f64_e32 v[2:3], s[18:19], v[22:23]
	v_mul_f64_e32 v[4:5], s[16:17], v[22:23]
	v_lshl_add_u64 v[18:19], v[12:13], 4, v[18:19]
	s_and_not1_b32 vcc_lo, exec_lo, s26
	s_mov_b32 s24, -1
	s_delay_alu instid0(VALU_DEP_3) | instskip(NEXT) | instid1(VALU_DEP_3)
	v_fma_f64 v[2:3], s[16:17], v[20:21], -v[2:3]
	v_fmac_f64_e32 v[4:5], s[18:19], v[20:21]
	s_cbranch_vccnz .LBB138_26
; %bb.25:                               ;   in Loop: Header=BB138_7 Depth=1
	global_load_b128 v[20:23], v[18:19], off
	s_mov_b32 s24, 0
	s_wait_loadcnt 0x0
	v_mul_f64_e32 v[28:29], s[12:13], v[22:23]
	v_mul_f64_e32 v[22:23], s[10:11], v[22:23]
	s_delay_alu instid0(VALU_DEP_2) | instskip(NEXT) | instid1(VALU_DEP_2)
	v_fma_f64 v[28:29], s[10:11], v[20:21], -v[28:29]
	v_fmac_f64_e32 v[22:23], s[12:13], v[20:21]
	s_delay_alu instid0(VALU_DEP_2) | instskip(NEXT) | instid1(VALU_DEP_2)
	v_add_f64_e32 v[20:21], v[2:3], v[28:29]
	v_add_f64_e32 v[22:23], v[4:5], v[22:23]
	global_store_b128 v[18:19], v[20:23], off
.LBB138_26:                             ;   in Loop: Header=BB138_7 Depth=1
	s_and_not1_b32 vcc_lo, exec_lo, s24
	s_cbranch_vccnz .LBB138_28
; %bb.27:                               ;   in Loop: Header=BB138_7 Depth=1
	global_store_b128 v[18:19], v[2:5], off
.LBB138_28:                             ;   in Loop: Header=BB138_7 Depth=1
	s_wait_xcnt 0x0
	s_or_b32 exec_lo, exec_lo, s23
	v_lshl_add_u64 v[18:19], v[10:11], 4, s[0:1]
	s_and_saveexec_b32 s0, s33
	s_cbranch_execz .LBB138_33
; %bb.29:                               ;   in Loop: Header=BB138_7 Depth=1
	v_mul_f64_e32 v[2:3], s[18:19], v[26:27]
	v_mul_f64_e32 v[4:5], s[16:17], v[26:27]
	v_lshl_add_u64 v[20:21], v[6:7], 4, v[18:19]
	s_and_not1_b32 vcc_lo, exec_lo, s26
	s_mov_b32 s1, -1
	s_delay_alu instid0(VALU_DEP_3) | instskip(NEXT) | instid1(VALU_DEP_3)
	v_fma_f64 v[2:3], s[16:17], v[24:25], -v[2:3]
	v_fmac_f64_e32 v[4:5], s[18:19], v[24:25]
	s_cbranch_vccnz .LBB138_31
; %bb.30:                               ;   in Loop: Header=BB138_7 Depth=1
	global_load_b128 v[22:25], v[20:21], off
	s_mov_b32 s1, 0
	s_wait_loadcnt 0x0
	v_mul_f64_e32 v[26:27], s[12:13], v[24:25]
	v_mul_f64_e32 v[24:25], s[10:11], v[24:25]
	s_delay_alu instid0(VALU_DEP_2) | instskip(NEXT) | instid1(VALU_DEP_2)
	v_fma_f64 v[26:27], s[10:11], v[22:23], -v[26:27]
	v_fmac_f64_e32 v[24:25], s[12:13], v[22:23]
	s_delay_alu instid0(VALU_DEP_2) | instskip(NEXT) | instid1(VALU_DEP_2)
	v_add_f64_e32 v[22:23], v[2:3], v[26:27]
	v_add_f64_e32 v[24:25], v[4:5], v[24:25]
	global_store_b128 v[20:21], v[22:25], off
.LBB138_31:                             ;   in Loop: Header=BB138_7 Depth=1
	s_and_not1_b32 vcc_lo, exec_lo, s1
	s_cbranch_vccnz .LBB138_33
; %bb.32:                               ;   in Loop: Header=BB138_7 Depth=1
	global_store_b128 v[20:21], v[2:5], off
.LBB138_33:                             ;   in Loop: Header=BB138_7 Depth=1
	s_wait_xcnt 0x0
	s_or_b32 exec_lo, exec_lo, s0
	s_and_saveexec_b32 s0, s4
	s_cbranch_execz .LBB138_6
; %bb.34:                               ;   in Loop: Header=BB138_7 Depth=1
	s_delay_alu instid0(VALU_DEP_3) | instskip(SKIP_4) | instid1(VALU_DEP_3)
	v_mul_f64_e32 v[2:3], s[18:19], v[32:33]
	v_mul_f64_e32 v[4:5], s[16:17], v[32:33]
	v_lshl_add_u64 v[18:19], v[12:13], 4, v[18:19]
	s_and_not1_b32 vcc_lo, exec_lo, s26
	s_mov_b32 s1, -1
	v_fma_f64 v[2:3], s[16:17], v[34:35], -v[2:3]
	s_delay_alu instid0(VALU_DEP_3)
	v_fmac_f64_e32 v[4:5], s[18:19], v[34:35]
	s_cbranch_vccnz .LBB138_36
; %bb.35:                               ;   in Loop: Header=BB138_7 Depth=1
	global_load_b128 v[20:23], v[18:19], off
	s_mov_b32 s1, 0
	s_wait_loadcnt 0x0
	v_mul_f64_e32 v[24:25], s[12:13], v[22:23]
	v_mul_f64_e32 v[22:23], s[10:11], v[22:23]
	s_delay_alu instid0(VALU_DEP_2) | instskip(NEXT) | instid1(VALU_DEP_2)
	v_fma_f64 v[24:25], s[10:11], v[20:21], -v[24:25]
	v_fmac_f64_e32 v[22:23], s[12:13], v[20:21]
	s_delay_alu instid0(VALU_DEP_2) | instskip(NEXT) | instid1(VALU_DEP_2)
	v_add_f64_e32 v[20:21], v[2:3], v[24:25]
	v_add_f64_e32 v[22:23], v[4:5], v[22:23]
	global_store_b128 v[18:19], v[20:23], off
.LBB138_36:                             ;   in Loop: Header=BB138_7 Depth=1
	s_and_not1_b32 vcc_lo, exec_lo, s1
	s_cbranch_vccnz .LBB138_6
; %bb.37:                               ;   in Loop: Header=BB138_7 Depth=1
	global_store_b128 v[18:19], v[2:5], off
	s_branch .LBB138_6
.LBB138_38:
.LBB138_39:
	s_sendmsg sendmsg(MSG_DEALLOC_VGPRS)
	s_endpgm
	.section	.rodata,"a",@progbits
	.p2align	6, 0x0
	.amdhsa_kernel _ZL29rocblas_internal_gemmt_kernelIiLi16ELi32ELi8ELc84ELc78ELc76ELb0ELb0E19rocblas_complex_numIdES1_PKS1_PS1_EviT_T9_T10_S5_lS7_S5_lS6_T11_S5_li
		.amdhsa_group_segment_fixed_size 8192
		.amdhsa_private_segment_fixed_size 0
		.amdhsa_kernarg_size 116
		.amdhsa_user_sgpr_count 2
		.amdhsa_user_sgpr_dispatch_ptr 0
		.amdhsa_user_sgpr_queue_ptr 0
		.amdhsa_user_sgpr_kernarg_segment_ptr 1
		.amdhsa_user_sgpr_dispatch_id 0
		.amdhsa_user_sgpr_kernarg_preload_length 0
		.amdhsa_user_sgpr_kernarg_preload_offset 0
		.amdhsa_user_sgpr_private_segment_size 0
		.amdhsa_wavefront_size32 1
		.amdhsa_uses_dynamic_stack 0
		.amdhsa_enable_private_segment 0
		.amdhsa_system_sgpr_workgroup_id_x 1
		.amdhsa_system_sgpr_workgroup_id_y 1
		.amdhsa_system_sgpr_workgroup_id_z 1
		.amdhsa_system_sgpr_workgroup_info 0
		.amdhsa_system_vgpr_workitem_id 1
		.amdhsa_next_free_vgpr 66
		.amdhsa_next_free_sgpr 41
		.amdhsa_named_barrier_count 0
		.amdhsa_reserve_vcc 1
		.amdhsa_float_round_mode_32 0
		.amdhsa_float_round_mode_16_64 0
		.amdhsa_float_denorm_mode_32 3
		.amdhsa_float_denorm_mode_16_64 3
		.amdhsa_fp16_overflow 0
		.amdhsa_memory_ordered 1
		.amdhsa_forward_progress 1
		.amdhsa_inst_pref_size 26
		.amdhsa_round_robin_scheduling 0
		.amdhsa_exception_fp_ieee_invalid_op 0
		.amdhsa_exception_fp_denorm_src 0
		.amdhsa_exception_fp_ieee_div_zero 0
		.amdhsa_exception_fp_ieee_overflow 0
		.amdhsa_exception_fp_ieee_underflow 0
		.amdhsa_exception_fp_ieee_inexact 0
		.amdhsa_exception_int_div_zero 0
	.end_amdhsa_kernel
	.section	.text._ZL29rocblas_internal_gemmt_kernelIiLi16ELi32ELi8ELc84ELc78ELc76ELb0ELb0E19rocblas_complex_numIdES1_PKS1_PS1_EviT_T9_T10_S5_lS7_S5_lS6_T11_S5_li,"axG",@progbits,_ZL29rocblas_internal_gemmt_kernelIiLi16ELi32ELi8ELc84ELc78ELc76ELb0ELb0E19rocblas_complex_numIdES1_PKS1_PS1_EviT_T9_T10_S5_lS7_S5_lS6_T11_S5_li,comdat
.Lfunc_end138:
	.size	_ZL29rocblas_internal_gemmt_kernelIiLi16ELi32ELi8ELc84ELc78ELc76ELb0ELb0E19rocblas_complex_numIdES1_PKS1_PS1_EviT_T9_T10_S5_lS7_S5_lS6_T11_S5_li, .Lfunc_end138-_ZL29rocblas_internal_gemmt_kernelIiLi16ELi32ELi8ELc84ELc78ELc76ELb0ELb0E19rocblas_complex_numIdES1_PKS1_PS1_EviT_T9_T10_S5_lS7_S5_lS6_T11_S5_li
                                        ; -- End function
	.set _ZL29rocblas_internal_gemmt_kernelIiLi16ELi32ELi8ELc84ELc78ELc76ELb0ELb0E19rocblas_complex_numIdES1_PKS1_PS1_EviT_T9_T10_S5_lS7_S5_lS6_T11_S5_li.num_vgpr, 66
	.set _ZL29rocblas_internal_gemmt_kernelIiLi16ELi32ELi8ELc84ELc78ELc76ELb0ELb0E19rocblas_complex_numIdES1_PKS1_PS1_EviT_T9_T10_S5_lS7_S5_lS6_T11_S5_li.num_agpr, 0
	.set _ZL29rocblas_internal_gemmt_kernelIiLi16ELi32ELi8ELc84ELc78ELc76ELb0ELb0E19rocblas_complex_numIdES1_PKS1_PS1_EviT_T9_T10_S5_lS7_S5_lS6_T11_S5_li.numbered_sgpr, 41
	.set _ZL29rocblas_internal_gemmt_kernelIiLi16ELi32ELi8ELc84ELc78ELc76ELb0ELb0E19rocblas_complex_numIdES1_PKS1_PS1_EviT_T9_T10_S5_lS7_S5_lS6_T11_S5_li.num_named_barrier, 0
	.set _ZL29rocblas_internal_gemmt_kernelIiLi16ELi32ELi8ELc84ELc78ELc76ELb0ELb0E19rocblas_complex_numIdES1_PKS1_PS1_EviT_T9_T10_S5_lS7_S5_lS6_T11_S5_li.private_seg_size, 0
	.set _ZL29rocblas_internal_gemmt_kernelIiLi16ELi32ELi8ELc84ELc78ELc76ELb0ELb0E19rocblas_complex_numIdES1_PKS1_PS1_EviT_T9_T10_S5_lS7_S5_lS6_T11_S5_li.uses_vcc, 1
	.set _ZL29rocblas_internal_gemmt_kernelIiLi16ELi32ELi8ELc84ELc78ELc76ELb0ELb0E19rocblas_complex_numIdES1_PKS1_PS1_EviT_T9_T10_S5_lS7_S5_lS6_T11_S5_li.uses_flat_scratch, 0
	.set _ZL29rocblas_internal_gemmt_kernelIiLi16ELi32ELi8ELc84ELc78ELc76ELb0ELb0E19rocblas_complex_numIdES1_PKS1_PS1_EviT_T9_T10_S5_lS7_S5_lS6_T11_S5_li.has_dyn_sized_stack, 0
	.set _ZL29rocblas_internal_gemmt_kernelIiLi16ELi32ELi8ELc84ELc78ELc76ELb0ELb0E19rocblas_complex_numIdES1_PKS1_PS1_EviT_T9_T10_S5_lS7_S5_lS6_T11_S5_li.has_recursion, 0
	.set _ZL29rocblas_internal_gemmt_kernelIiLi16ELi32ELi8ELc84ELc78ELc76ELb0ELb0E19rocblas_complex_numIdES1_PKS1_PS1_EviT_T9_T10_S5_lS7_S5_lS6_T11_S5_li.has_indirect_call, 0
	.section	.AMDGPU.csdata,"",@progbits
; Kernel info:
; codeLenInByte = 3228
; TotalNumSgprs: 43
; NumVgprs: 66
; ScratchSize: 0
; MemoryBound: 0
; FloatMode: 240
; IeeeMode: 1
; LDSByteSize: 8192 bytes/workgroup (compile time only)
; SGPRBlocks: 0
; VGPRBlocks: 4
; NumSGPRsForWavesPerEU: 43
; NumVGPRsForWavesPerEU: 66
; NamedBarCnt: 0
; Occupancy: 12
; WaveLimiterHint : 0
; COMPUTE_PGM_RSRC2:SCRATCH_EN: 0
; COMPUTE_PGM_RSRC2:USER_SGPR: 2
; COMPUTE_PGM_RSRC2:TRAP_HANDLER: 0
; COMPUTE_PGM_RSRC2:TGID_X_EN: 1
; COMPUTE_PGM_RSRC2:TGID_Y_EN: 1
; COMPUTE_PGM_RSRC2:TGID_Z_EN: 1
; COMPUTE_PGM_RSRC2:TIDIG_COMP_CNT: 1
	.section	.text._ZL29rocblas_internal_gemmt_kernelIiLi16ELi32ELi8ELc84ELc84ELc76ELb0ELb0E19rocblas_complex_numIdES1_PKS1_PS1_EviT_T9_T10_S5_lS7_S5_lS6_T11_S5_li,"axG",@progbits,_ZL29rocblas_internal_gemmt_kernelIiLi16ELi32ELi8ELc84ELc84ELc76ELb0ELb0E19rocblas_complex_numIdES1_PKS1_PS1_EviT_T9_T10_S5_lS7_S5_lS6_T11_S5_li,comdat
	.globl	_ZL29rocblas_internal_gemmt_kernelIiLi16ELi32ELi8ELc84ELc84ELc76ELb0ELb0E19rocblas_complex_numIdES1_PKS1_PS1_EviT_T9_T10_S5_lS7_S5_lS6_T11_S5_li ; -- Begin function _ZL29rocblas_internal_gemmt_kernelIiLi16ELi32ELi8ELc84ELc84ELc76ELb0ELb0E19rocblas_complex_numIdES1_PKS1_PS1_EviT_T9_T10_S5_lS7_S5_lS6_T11_S5_li
	.p2align	8
	.type	_ZL29rocblas_internal_gemmt_kernelIiLi16ELi32ELi8ELc84ELc84ELc76ELb0ELb0E19rocblas_complex_numIdES1_PKS1_PS1_EviT_T9_T10_S5_lS7_S5_lS6_T11_S5_li,@function
_ZL29rocblas_internal_gemmt_kernelIiLi16ELi32ELi8ELc84ELc84ELc76ELb0ELb0E19rocblas_complex_numIdES1_PKS1_PS1_EviT_T9_T10_S5_lS7_S5_lS6_T11_S5_li: ; @_ZL29rocblas_internal_gemmt_kernelIiLi16ELi32ELi8ELc84ELc84ELc76ELb0ELb0E19rocblas_complex_numIdES1_PKS1_PS1_EviT_T9_T10_S5_lS7_S5_lS6_T11_S5_li
; %bb.0:
	s_clause 0x2
	s_load_b256 s[8:15], s[0:1], 0x40
	s_load_b64 s[4:5], s[0:1], 0x0
	s_load_b128 s[16:19], s[0:1], 0x8
	s_wait_kmcnt 0x0
	v_cmp_eq_f64_e64 s2, s[10:11], 1.0
	v_cmp_eq_f64_e64 s33, s[12:13], 0
	s_and_b32 s2, s2, s33
	s_delay_alu instid0(SALU_CYCLE_1)
	s_and_not1_b32 vcc_lo, exec_lo, s2
	s_mov_b32 s2, -1
	s_cbranch_vccnz .LBB139_3
; %bb.1:
	s_cmp_lg_u32 s5, 0
	s_cbranch_scc0 .LBB139_38
; %bb.2:
	v_cmp_neq_f64_e64 s2, s[16:17], 0
	v_cmp_neq_f64_e64 s3, s[18:19], 0
	s_or_b32 s2, s2, s3
.LBB139_3:
	s_delay_alu instid0(SALU_CYCLE_1)
	s_and_b32 vcc_lo, exec_lo, s2
	s_cbranch_vccz .LBB139_39
; %bb.4:
	s_load_b32 s27, s[0:1], 0x70
	s_bfe_u32 s2, ttmp6, 0x40014
	s_lshr_b32 s3, ttmp7, 16
	s_add_co_i32 s2, s2, 1
	s_bfe_u32 s6, ttmp6, 0x40008
	s_mul_i32 s2, s3, s2
	s_getreg_b32 s34, hwreg(HW_REG_IB_STS2, 6, 4)
	s_add_co_i32 s6, s6, s2
	s_cmp_eq_u32 s34, 0
	s_mov_b32 s7, 0
	s_cselect_b32 s6, s3, s6
	s_wait_kmcnt 0x0
	s_cmp_ge_u32 s6, s27
	s_cbranch_scc1 .LBB139_39
; %bb.5:
	s_clause 0x2
	s_load_b96 s[24:26], s[0:1], 0x18
	s_load_b32 s30, s[0:1], 0x38
	s_load_b32 s2, s[0:1], 0x60
	v_and_b32_e32 v1, 0x3ff, v0
	v_bfe_u32 v9, v0, 10, 10
	s_clause 0x1
	s_load_b128 s[20:23], s[0:1], 0x28
	s_load_b64 s[28:29], s[0:1], 0x68
	s_wait_xcnt 0x0
	s_bfe_u32 s0, ttmp6, 0x4000c
	s_bfe_u32 s38, ttmp6, 0x40010
	s_add_co_i32 s39, s0, 1
	s_add_co_i32 s38, s38, 1
	v_and_b32_e32 v6, 7, v0
	v_lshl_add_u32 v0, v9, 4, v1
	s_and_b32 s37, ttmp6, 15
	s_mul_i32 s39, ttmp9, s39
	s_bfe_u32 s40, ttmp6, 0x40004
	s_add_co_i32 s37, s37, s39
	v_dual_lshrrev_b32 v5, 3, v0 :: v_dual_bitop2_b32 v8, 31, v0 bitop3:0x40
	v_cmp_neq_f64_e64 s35, s[16:17], 0
	v_cmp_neq_f64_e64 s36, s[18:19], 0
	s_wait_kmcnt 0x0
	s_ashr_i32 s1, s26, 31
	s_mov_b32 s0, s26
	s_and_b32 s26, ttmp7, 0xffff
	s_ashr_i32 s31, s30, 31
	s_mul_i32 s38, s26, s38
	s_ashr_i32 s3, s2, 31
	s_add_co_i32 s40, s40, s38
	s_cmp_eq_u32 s34, 0
	v_lshrrev_b32_e32 v38, 5, v0
	s_cselect_b32 s34, ttmp9, s37
	s_cselect_b32 s26, s26, s40
	s_lshl_b32 s34, s34, 5
	s_lshl_b32 s26, s26, 5
	s_delay_alu instid0(SALU_CYCLE_1) | instskip(SKIP_2) | instid1(VALU_DEP_3)
	v_dual_add_nc_u32 v4, s26, v5 :: v_dual_bitop2_b32 v2, s34, v8 bitop3:0x54
	v_mov_b32_e32 v0, 0
	v_cmp_neq_f64_e64 s37, s[10:11], 0
	v_dual_add_nc_u32 v16, s26, v9 :: v_dual_ashrrev_i32 v3, 31, v2
	s_delay_alu instid0(VALU_DEP_3) | instskip(SKIP_2) | instid1(VALU_DEP_4)
	v_dual_mov_b32 v7, v0 :: v_dual_lshlrev_b32 v10, 4, v6
	v_cmp_gt_i32_e32 vcc_lo, s4, v2
	v_lshl_add_u32 v41, v9, 7, 0x1000
	v_mul_u64_e32 v[18:19], s[0:1], v[2:3]
	v_lshlrev_b32_e32 v3, 4, v8
	v_mul_u64_e32 v[20:21], s[30:31], v[6:7]
	v_dual_add_nc_u32 v2, 16, v16 :: v_dual_ashrrev_i32 v17, 31, v16
	v_lshl_or_b32 v5, v5, 7, v10
	s_delay_alu instid0(VALU_DEP_4) | instskip(NEXT) | instid1(VALU_DEP_3)
	v_lshl_or_b32 v7, v38, 9, v3
	v_dual_add_nc_u32 v8, s34, v1 :: v_dual_ashrrev_i32 v3, 31, v2
	s_delay_alu instid0(VALU_DEP_4) | instskip(NEXT) | instid1(VALU_DEP_4)
	v_mul_u64_e32 v[10:11], s[2:3], v[16:17]
	v_add_nc_u32_e32 v39, 0x1000, v5
	v_dual_ashrrev_i32 v5, 31, v4 :: v_dual_lshlrev_b32 v40, 4, v1
	s_delay_alu instid0(VALU_DEP_4)
	v_mul_u64_e32 v[12:13], s[2:3], v[2:3]
	s_or_b32 s36, s35, s36
	v_cmp_le_i32_e64 s1, v16, v8
	v_cmp_gt_i32_e64 s2, s4, v8
	v_add_nc_u32_e32 v14, 16, v8
	s_cmp_gt_i32 s5, 0
	v_cmp_gt_i32_e64 s0, s4, v4
	s_cselect_b32 s38, -1, 0
	s_xor_b32 s3, s33, -1
	v_lshlrev_b64_e32 v[4:5], 4, v[4:5]
	s_and_b32 s33, s1, s2
	v_cmp_le_i32_e64 s1, v16, v14
	s_or_b32 s26, s37, s3
	v_lshlrev_b32_e32 v16, 4, v38
	v_cmp_gt_i32_e64 s3, s4, v14
	v_dual_mov_b32 v17, v0 :: v_dual_ashrrev_i32 v9, 31, v8
	v_cmp_le_i32_e64 s4, v2, v14
	v_ashrrev_i32_e32 v15, 31, v14
	s_and_b32 s34, s1, s3
	v_cmp_le_i32_e64 s1, v2, v8
	v_lshl_add_u64 v[2:3], v[18:19], 4, v[16:17]
	v_lshl_add_u64 v[4:5], v[20:21], 4, v[4:5]
	s_and_b32 s4, s4, s3
	s_lshl_b64 s[8:9], s[8:9], 4
	s_and_b32 s35, s1, s2
	v_add_nc_u64_e32 v[16:17], s[24:25], v[2:3]
	v_add_nc_u64_e32 v[18:19], s[22:23], v[4:5]
	s_lshl_b64 s[2:3], s[20:21], 4
	s_and_b32 s22, s36, s38
	s_lshl_b64 s[20:21], s[30:31], 7
	s_xor_b32 s23, vcc_lo, -1
	s_xor_b32 s24, s0, -1
	s_branch .LBB139_7
.LBB139_6:                              ;   in Loop: Header=BB139_7 Depth=1
	s_wait_xcnt 0x0
	s_or_b32 exec_lo, exec_lo, s0
	s_add_co_i32 s6, s6, 0x10000
	s_delay_alu instid0(SALU_CYCLE_1)
	s_cmp_lt_u32 s6, s27
	s_cbranch_scc0 .LBB139_39
.LBB139_7:                              ; =>This Loop Header: Depth=1
                                        ;     Child Loop BB139_10 Depth 2
	v_mov_b64_e32 v[30:31], 0
	v_mov_b64_e32 v[32:33], 0
	v_mov_b64_e32 v[22:23], 0
	v_mov_b64_e32 v[24:25], 0
	v_mov_b64_e32 v[26:27], 0
	v_mov_b64_e32 v[28:29], 0
	v_mov_b64_e32 v[36:37], 0
	v_mov_b64_e32 v[34:35], 0
	s_and_not1_b32 vcc_lo, exec_lo, s22
	s_cbranch_vccnz .LBB139_18
; %bb.8:                                ;   in Loop: Header=BB139_7 Depth=1
	v_mad_nc_u64_u32 v[4:5], s2, s6, v[16:17]
	v_mad_nc_u64_u32 v[20:21], s8, s6, v[18:19]
	v_mov_b64_e32 v[34:35], 0
	v_mov_b64_e32 v[36:37], 0
	v_mov_b64_e32 v[28:29], 0
	v_mov_b64_e32 v[26:27], 0
	v_mov_b64_e32 v[24:25], 0
	v_mov_b64_e32 v[22:23], 0
	v_mov_b64_e32 v[32:33], 0
	v_mov_b64_e32 v[30:31], 0
	s_mov_b32 s0, 0
	v_mad_u32 v5, s3, s6, v5
	v_mad_u32 v21, s9, s6, v21
	s_branch .LBB139_10
.LBB139_9:                              ;   in Loop: Header=BB139_10 Depth=2
	s_wait_xcnt 0x0
	s_or_b32 exec_lo, exec_lo, s1
	s_wait_dscnt 0x0
	s_barrier_signal -1
	s_barrier_wait -1
	ds_load_b128 v[42:45], v41
	ds_load_b128 v[46:49], v41 offset:16
	ds_load_b128 v[50:53], v41 offset:32
	;; [unrolled: 1-line block ×3, first 2 shown]
	ds_load_b128 v[58:61], v40
	v_add_nc_u64_e32 v[4:5], 0x80, v[4:5]
	v_add_nc_u64_e32 v[20:21], s[20:21], v[20:21]
	s_add_co_i32 s0, s0, 8
	s_delay_alu instid0(SALU_CYCLE_1) | instskip(SKIP_3) | instid1(VALU_DEP_2)
	s_cmp_lt_i32 s0, s5
	s_wait_dscnt 0x0
	v_mul_f64_e32 v[2:3], v[44:45], v[60:61]
	v_mul_f64_e32 v[62:63], v[42:43], v[60:61]
	v_fma_f64 v[2:3], v[42:43], v[58:59], -v[2:3]
	s_delay_alu instid0(VALU_DEP_2) | instskip(NEXT) | instid1(VALU_DEP_2)
	v_fmac_f64_e32 v[62:63], v[44:45], v[58:59]
	v_add_f64_e32 v[2:3], v[30:31], v[2:3]
	s_delay_alu instid0(VALU_DEP_2) | instskip(SKIP_3) | instid1(VALU_DEP_1)
	v_add_f64_e32 v[62:63], v[62:63], v[32:33]
	ds_load_b128 v[30:33], v40 offset:256
	s_wait_dscnt 0x0
	v_mul_f64_e32 v[64:65], v[44:45], v[32:33]
	v_fma_f64 v[64:65], v[42:43], v[30:31], -v[64:65]
	v_mul_f64_e32 v[42:43], v[42:43], v[32:33]
	s_delay_alu instid0(VALU_DEP_1) | instskip(NEXT) | instid1(VALU_DEP_3)
	v_fmac_f64_e32 v[42:43], v[44:45], v[30:31]
	v_add_f64_e32 v[44:45], v[22:23], v[64:65]
	s_delay_alu instid0(VALU_DEP_2) | instskip(SKIP_4) | instid1(VALU_DEP_2)
	v_add_f64_e32 v[42:43], v[42:43], v[24:25]
	ds_load_b128 v[22:25], v41 offset:2048
	s_wait_dscnt 0x0
	v_mul_f64_e32 v[64:65], v[24:25], v[60:61]
	v_mul_f64_e32 v[60:61], v[22:23], v[60:61]
	v_fma_f64 v[64:65], v[22:23], v[58:59], -v[64:65]
	s_delay_alu instid0(VALU_DEP_2) | instskip(NEXT) | instid1(VALU_DEP_2)
	v_fmac_f64_e32 v[60:61], v[24:25], v[58:59]
	v_add_f64_e32 v[58:59], v[26:27], v[64:65]
	v_mul_f64_e32 v[26:27], v[24:25], v[32:33]
	s_delay_alu instid0(VALU_DEP_3) | instskip(NEXT) | instid1(VALU_DEP_2)
	v_add_f64_e32 v[60:61], v[60:61], v[28:29]
	v_fma_f64 v[26:27], v[22:23], v[30:31], -v[26:27]
	v_mul_f64_e32 v[22:23], v[22:23], v[32:33]
	s_delay_alu instid0(VALU_DEP_2) | instskip(NEXT) | instid1(VALU_DEP_2)
	v_add_f64_e32 v[36:37], v[36:37], v[26:27]
	v_fmac_f64_e32 v[22:23], v[24:25], v[30:31]
	s_delay_alu instid0(VALU_DEP_1) | instskip(SKIP_4) | instid1(VALU_DEP_2)
	v_add_f64_e32 v[34:35], v[22:23], v[34:35]
	ds_load_b128 v[22:25], v40 offset:512
	s_wait_dscnt 0x0
	v_mul_f64_e32 v[26:27], v[48:49], v[24:25]
	v_mul_f64_e32 v[28:29], v[46:47], v[24:25]
	v_fma_f64 v[26:27], v[46:47], v[22:23], -v[26:27]
	s_delay_alu instid0(VALU_DEP_2) | instskip(NEXT) | instid1(VALU_DEP_2)
	v_fmac_f64_e32 v[28:29], v[48:49], v[22:23]
	v_add_f64_e32 v[2:3], v[2:3], v[26:27]
	s_delay_alu instid0(VALU_DEP_2) | instskip(SKIP_4) | instid1(VALU_DEP_2)
	v_add_f64_e32 v[62:63], v[28:29], v[62:63]
	ds_load_b128 v[26:29], v40 offset:768
	s_wait_dscnt 0x0
	v_mul_f64_e32 v[30:31], v[48:49], v[28:29]
	v_mul_f64_e32 v[32:33], v[46:47], v[28:29]
	v_fma_f64 v[30:31], v[46:47], v[26:27], -v[30:31]
	s_delay_alu instid0(VALU_DEP_2) | instskip(NEXT) | instid1(VALU_DEP_2)
	v_fmac_f64_e32 v[32:33], v[48:49], v[26:27]
	v_add_f64_e32 v[44:45], v[44:45], v[30:31]
	s_delay_alu instid0(VALU_DEP_2) | instskip(SKIP_4) | instid1(VALU_DEP_2)
	v_add_f64_e32 v[42:43], v[32:33], v[42:43]
	ds_load_b128 v[30:33], v41 offset:2064
	s_wait_dscnt 0x0
	v_mul_f64_e32 v[46:47], v[32:33], v[24:25]
	v_mul_f64_e32 v[24:25], v[30:31], v[24:25]
	v_fma_f64 v[46:47], v[30:31], v[22:23], -v[46:47]
	s_delay_alu instid0(VALU_DEP_2) | instskip(SKIP_1) | instid1(VALU_DEP_3)
	v_fmac_f64_e32 v[24:25], v[32:33], v[22:23]
	v_mul_f64_e32 v[22:23], v[32:33], v[28:29]
	v_add_f64_e32 v[46:47], v[58:59], v[46:47]
	s_delay_alu instid0(VALU_DEP_3) | instskip(SKIP_1) | instid1(VALU_DEP_4)
	v_add_f64_e32 v[48:49], v[24:25], v[60:61]
	v_mul_f64_e32 v[24:25], v[30:31], v[28:29]
	v_fma_f64 v[22:23], v[30:31], v[26:27], -v[22:23]
	s_delay_alu instid0(VALU_DEP_2) | instskip(NEXT) | instid1(VALU_DEP_2)
	v_fmac_f64_e32 v[24:25], v[32:33], v[26:27]
	v_add_f64_e32 v[36:37], v[36:37], v[22:23]
	s_delay_alu instid0(VALU_DEP_2) | instskip(SKIP_4) | instid1(VALU_DEP_2)
	v_add_f64_e32 v[34:35], v[24:25], v[34:35]
	ds_load_b128 v[22:25], v40 offset:1024
	s_wait_dscnt 0x0
	v_mul_f64_e32 v[26:27], v[52:53], v[24:25]
	v_mul_f64_e32 v[28:29], v[50:51], v[24:25]
	v_fma_f64 v[26:27], v[50:51], v[22:23], -v[26:27]
	s_delay_alu instid0(VALU_DEP_2) | instskip(NEXT) | instid1(VALU_DEP_2)
	v_fmac_f64_e32 v[28:29], v[52:53], v[22:23]
	v_add_f64_e32 v[2:3], v[2:3], v[26:27]
	s_delay_alu instid0(VALU_DEP_2) | instskip(SKIP_4) | instid1(VALU_DEP_2)
	v_add_f64_e32 v[58:59], v[28:29], v[62:63]
	ds_load_b128 v[26:29], v40 offset:1280
	s_wait_dscnt 0x0
	v_mul_f64_e32 v[30:31], v[52:53], v[28:29]
	v_mul_f64_e32 v[32:33], v[50:51], v[28:29]
	v_fma_f64 v[30:31], v[50:51], v[26:27], -v[30:31]
	s_delay_alu instid0(VALU_DEP_2) | instskip(NEXT) | instid1(VALU_DEP_2)
	v_fmac_f64_e32 v[32:33], v[52:53], v[26:27]
	v_add_f64_e32 v[44:45], v[44:45], v[30:31]
	s_delay_alu instid0(VALU_DEP_2) | instskip(SKIP_4) | instid1(VALU_DEP_2)
	v_add_f64_e32 v[42:43], v[32:33], v[42:43]
	ds_load_b128 v[30:33], v41 offset:2080
	s_wait_dscnt 0x0
	v_mul_f64_e32 v[50:51], v[32:33], v[24:25]
	v_mul_f64_e32 v[24:25], v[30:31], v[24:25]
	v_fma_f64 v[50:51], v[30:31], v[22:23], -v[50:51]
	s_delay_alu instid0(VALU_DEP_2) | instskip(SKIP_1) | instid1(VALU_DEP_3)
	v_fmac_f64_e32 v[24:25], v[32:33], v[22:23]
	v_mul_f64_e32 v[22:23], v[32:33], v[28:29]
	v_add_f64_e32 v[46:47], v[46:47], v[50:51]
	s_delay_alu instid0(VALU_DEP_3) | instskip(SKIP_1) | instid1(VALU_DEP_4)
	v_add_f64_e32 v[48:49], v[24:25], v[48:49]
	v_mul_f64_e32 v[24:25], v[30:31], v[28:29]
	v_fma_f64 v[22:23], v[30:31], v[26:27], -v[22:23]
	s_delay_alu instid0(VALU_DEP_2) | instskip(NEXT) | instid1(VALU_DEP_2)
	v_fmac_f64_e32 v[24:25], v[32:33], v[26:27]
	v_add_f64_e32 v[36:37], v[36:37], v[22:23]
	s_delay_alu instid0(VALU_DEP_2) | instskip(SKIP_4) | instid1(VALU_DEP_2)
	v_add_f64_e32 v[34:35], v[24:25], v[34:35]
	ds_load_b128 v[22:25], v40 offset:1536
	s_wait_dscnt 0x0
	v_mul_f64_e32 v[26:27], v[56:57], v[24:25]
	v_mul_f64_e32 v[28:29], v[54:55], v[24:25]
	v_fma_f64 v[26:27], v[54:55], v[22:23], -v[26:27]
	s_delay_alu instid0(VALU_DEP_2) | instskip(NEXT) | instid1(VALU_DEP_2)
	v_fmac_f64_e32 v[28:29], v[56:57], v[22:23]
	v_add_f64_e32 v[2:3], v[2:3], v[26:27]
	s_delay_alu instid0(VALU_DEP_2) | instskip(SKIP_4) | instid1(VALU_DEP_2)
	v_add_f64_e32 v[50:51], v[28:29], v[58:59]
	ds_load_b128 v[26:29], v40 offset:1792
	s_wait_dscnt 0x0
	v_mul_f64_e32 v[30:31], v[56:57], v[28:29]
	;; [unrolled: 10-line block ×3, first 2 shown]
	v_mul_f64_e32 v[24:25], v[30:31], v[24:25]
	v_fma_f64 v[52:53], v[30:31], v[22:23], -v[52:53]
	s_delay_alu instid0(VALU_DEP_2) | instskip(SKIP_1) | instid1(VALU_DEP_3)
	v_fmac_f64_e32 v[24:25], v[32:33], v[22:23]
	v_mul_f64_e32 v[22:23], v[32:33], v[28:29]
	v_add_f64_e32 v[46:47], v[46:47], v[52:53]
	s_delay_alu instid0(VALU_DEP_3) | instskip(SKIP_1) | instid1(VALU_DEP_4)
	v_add_f64_e32 v[48:49], v[24:25], v[48:49]
	v_mul_f64_e32 v[24:25], v[30:31], v[28:29]
	v_fma_f64 v[22:23], v[30:31], v[26:27], -v[22:23]
	s_delay_alu instid0(VALU_DEP_2) | instskip(NEXT) | instid1(VALU_DEP_2)
	v_fmac_f64_e32 v[24:25], v[32:33], v[26:27]
	v_add_f64_e32 v[36:37], v[36:37], v[22:23]
	s_delay_alu instid0(VALU_DEP_2)
	v_add_f64_e32 v[34:35], v[24:25], v[34:35]
	ds_load_b128 v[22:25], v41 offset:64
	ds_load_b128 v[26:29], v40 offset:2048
	s_wait_dscnt 0x0
	v_mul_f64_e32 v[30:31], v[24:25], v[28:29]
	v_mul_f64_e32 v[32:33], v[22:23], v[28:29]
	s_delay_alu instid0(VALU_DEP_2) | instskip(NEXT) | instid1(VALU_DEP_2)
	v_fma_f64 v[30:31], v[22:23], v[26:27], -v[30:31]
	v_fmac_f64_e32 v[32:33], v[24:25], v[26:27]
	s_delay_alu instid0(VALU_DEP_2) | instskip(NEXT) | instid1(VALU_DEP_2)
	v_add_f64_e32 v[2:3], v[2:3], v[30:31]
	v_add_f64_e32 v[50:51], v[32:33], v[50:51]
	ds_load_b128 v[30:33], v40 offset:2304
	s_wait_dscnt 0x0
	v_mul_f64_e32 v[52:53], v[24:25], v[32:33]
	s_delay_alu instid0(VALU_DEP_1) | instskip(SKIP_1) | instid1(VALU_DEP_2)
	v_fma_f64 v[52:53], v[22:23], v[30:31], -v[52:53]
	v_mul_f64_e32 v[22:23], v[22:23], v[32:33]
	v_add_f64_e32 v[44:45], v[44:45], v[52:53]
	s_delay_alu instid0(VALU_DEP_2) | instskip(NEXT) | instid1(VALU_DEP_1)
	v_fmac_f64_e32 v[22:23], v[24:25], v[30:31]
	v_add_f64_e32 v[42:43], v[22:23], v[42:43]
	ds_load_b128 v[22:25], v41 offset:2112
	s_wait_dscnt 0x0
	v_mul_f64_e32 v[52:53], v[24:25], v[28:29]
	v_mul_f64_e32 v[28:29], v[22:23], v[28:29]
	s_delay_alu instid0(VALU_DEP_2) | instskip(NEXT) | instid1(VALU_DEP_2)
	v_fma_f64 v[52:53], v[22:23], v[26:27], -v[52:53]
	v_fmac_f64_e32 v[28:29], v[24:25], v[26:27]
	v_mul_f64_e32 v[26:27], v[24:25], v[32:33]
	s_delay_alu instid0(VALU_DEP_3) | instskip(NEXT) | instid1(VALU_DEP_3)
	v_add_f64_e32 v[46:47], v[46:47], v[52:53]
	v_add_f64_e32 v[48:49], v[28:29], v[48:49]
	s_delay_alu instid0(VALU_DEP_3) | instskip(SKIP_1) | instid1(VALU_DEP_2)
	v_fma_f64 v[26:27], v[22:23], v[30:31], -v[26:27]
	v_mul_f64_e32 v[22:23], v[22:23], v[32:33]
	v_add_f64_e32 v[36:37], v[36:37], v[26:27]
	s_delay_alu instid0(VALU_DEP_2) | instskip(NEXT) | instid1(VALU_DEP_1)
	v_fmac_f64_e32 v[22:23], v[24:25], v[30:31]
	v_add_f64_e32 v[34:35], v[22:23], v[34:35]
	ds_load_b128 v[22:25], v41 offset:80
	ds_load_b128 v[26:29], v40 offset:2560
	s_wait_dscnt 0x0
	v_mul_f64_e32 v[30:31], v[24:25], v[28:29]
	v_mul_f64_e32 v[32:33], v[22:23], v[28:29]
	s_delay_alu instid0(VALU_DEP_2) | instskip(NEXT) | instid1(VALU_DEP_2)
	v_fma_f64 v[30:31], v[22:23], v[26:27], -v[30:31]
	v_fmac_f64_e32 v[32:33], v[24:25], v[26:27]
	s_delay_alu instid0(VALU_DEP_2) | instskip(NEXT) | instid1(VALU_DEP_2)
	v_add_f64_e32 v[2:3], v[2:3], v[30:31]
	v_add_f64_e32 v[50:51], v[32:33], v[50:51]
	ds_load_b128 v[30:33], v40 offset:2816
	s_wait_dscnt 0x0
	v_mul_f64_e32 v[52:53], v[24:25], v[32:33]
	s_delay_alu instid0(VALU_DEP_1) | instskip(SKIP_1) | instid1(VALU_DEP_2)
	v_fma_f64 v[52:53], v[22:23], v[30:31], -v[52:53]
	v_mul_f64_e32 v[22:23], v[22:23], v[32:33]
	v_add_f64_e32 v[44:45], v[44:45], v[52:53]
	s_delay_alu instid0(VALU_DEP_2) | instskip(NEXT) | instid1(VALU_DEP_1)
	v_fmac_f64_e32 v[22:23], v[24:25], v[30:31]
	v_add_f64_e32 v[42:43], v[22:23], v[42:43]
	ds_load_b128 v[22:25], v41 offset:2128
	s_wait_dscnt 0x0
	v_mul_f64_e32 v[52:53], v[24:25], v[28:29]
	v_mul_f64_e32 v[28:29], v[22:23], v[28:29]
	s_delay_alu instid0(VALU_DEP_2) | instskip(NEXT) | instid1(VALU_DEP_2)
	v_fma_f64 v[52:53], v[22:23], v[26:27], -v[52:53]
	v_fmac_f64_e32 v[28:29], v[24:25], v[26:27]
	v_mul_f64_e32 v[26:27], v[24:25], v[32:33]
	s_delay_alu instid0(VALU_DEP_3) | instskip(NEXT) | instid1(VALU_DEP_3)
	v_add_f64_e32 v[46:47], v[46:47], v[52:53]
	v_add_f64_e32 v[48:49], v[28:29], v[48:49]
	s_delay_alu instid0(VALU_DEP_3) | instskip(SKIP_1) | instid1(VALU_DEP_2)
	v_fma_f64 v[26:27], v[22:23], v[30:31], -v[26:27]
	v_mul_f64_e32 v[22:23], v[22:23], v[32:33]
	v_add_f64_e32 v[36:37], v[36:37], v[26:27]
	s_delay_alu instid0(VALU_DEP_2) | instskip(NEXT) | instid1(VALU_DEP_1)
	v_fmac_f64_e32 v[22:23], v[24:25], v[30:31]
	;; [unrolled: 39-line block ×3, first 2 shown]
	v_add_f64_e32 v[54:55], v[22:23], v[34:35]
	ds_load_b128 v[22:25], v41 offset:112
	ds_load_b128 v[26:29], v40 offset:3584
	;; [unrolled: 1-line block ×3, first 2 shown]
	s_wait_dscnt 0x1
	v_mul_f64_e32 v[30:31], v[24:25], v[28:29]
	v_mul_f64_e32 v[32:33], v[22:23], v[28:29]
	s_delay_alu instid0(VALU_DEP_2) | instskip(NEXT) | instid1(VALU_DEP_2)
	v_fma_f64 v[30:31], v[22:23], v[26:27], -v[30:31]
	v_fmac_f64_e32 v[32:33], v[24:25], v[26:27]
	s_delay_alu instid0(VALU_DEP_2) | instskip(NEXT) | instid1(VALU_DEP_2)
	v_add_f64_e32 v[30:31], v[2:3], v[30:31]
	v_add_f64_e32 v[32:33], v[32:33], v[50:51]
	s_wait_dscnt 0x0
	v_mul_f64_e32 v[2:3], v[24:25], v[36:37]
	v_mul_f64_e32 v[50:51], v[22:23], v[36:37]
	s_delay_alu instid0(VALU_DEP_2) | instskip(NEXT) | instid1(VALU_DEP_2)
	v_fma_f64 v[2:3], v[22:23], v[34:35], -v[2:3]
	v_fmac_f64_e32 v[50:51], v[24:25], v[34:35]
	s_delay_alu instid0(VALU_DEP_2) | instskip(NEXT) | instid1(VALU_DEP_2)
	v_add_f64_e32 v[22:23], v[44:45], v[2:3]
	v_add_f64_e32 v[24:25], v[50:51], v[42:43]
	ds_load_b128 v[42:45], v41 offset:2160
	s_wait_dscnt 0x0
	s_barrier_signal -1
	s_barrier_wait -1
	v_mul_f64_e32 v[2:3], v[44:45], v[28:29]
	v_mul_f64_e32 v[28:29], v[42:43], v[28:29]
	s_delay_alu instid0(VALU_DEP_2) | instskip(NEXT) | instid1(VALU_DEP_2)
	v_fma_f64 v[2:3], v[42:43], v[26:27], -v[2:3]
	v_fmac_f64_e32 v[28:29], v[44:45], v[26:27]
	s_delay_alu instid0(VALU_DEP_2) | instskip(SKIP_1) | instid1(VALU_DEP_3)
	v_add_f64_e32 v[26:27], v[46:47], v[2:3]
	v_mul_f64_e32 v[2:3], v[44:45], v[36:37]
	v_add_f64_e32 v[28:29], v[28:29], v[48:49]
	s_delay_alu instid0(VALU_DEP_2) | instskip(SKIP_1) | instid1(VALU_DEP_2)
	v_fma_f64 v[2:3], v[42:43], v[34:35], -v[2:3]
	v_mul_f64_e32 v[42:43], v[42:43], v[36:37]
	v_add_f64_e32 v[36:37], v[52:53], v[2:3]
	s_delay_alu instid0(VALU_DEP_2) | instskip(NEXT) | instid1(VALU_DEP_1)
	v_fmac_f64_e32 v[42:43], v[44:45], v[34:35]
	v_add_f64_e32 v[34:35], v[42:43], v[54:55]
	s_cbranch_scc0 .LBB139_18
.LBB139_10:                             ;   Parent Loop BB139_7 Depth=1
                                        ; =>  This Inner Loop Header: Depth=2
	v_add_nc_u32_e32 v1, s0, v38
	s_delay_alu instid0(VALU_DEP_1) | instskip(SKIP_1) | instid1(SALU_CYCLE_1)
	v_cmp_le_i32_e32 vcc_lo, s5, v1
	s_or_b32 s1, s23, vcc_lo
	s_and_saveexec_b32 s25, s1
	s_delay_alu instid0(SALU_CYCLE_1)
	s_xor_b32 s1, exec_lo, s25
; %bb.11:                               ;   in Loop: Header=BB139_10 Depth=2
	v_dual_mov_b32 v1, v0 :: v_dual_mov_b32 v2, v0
	v_mov_b32_e32 v3, v0
	ds_store_b128 v7, v[0:3]
; %bb.12:                               ;   in Loop: Header=BB139_10 Depth=2
	s_and_not1_saveexec_b32 s1, s1
	s_cbranch_execz .LBB139_14
; %bb.13:                               ;   in Loop: Header=BB139_10 Depth=2
	global_load_b128 v[42:45], v[4:5], off
	s_wait_loadcnt 0x0
	ds_store_2addr_b64 v7, v[42:43], v[44:45] offset1:1
.LBB139_14:                             ;   in Loop: Header=BB139_10 Depth=2
	s_wait_xcnt 0x0
	s_or_b32 exec_lo, exec_lo, s1
	v_add_nc_u32_e32 v1, s0, v6
	s_delay_alu instid0(VALU_DEP_1) | instskip(SKIP_1) | instid1(SALU_CYCLE_1)
	v_cmp_le_i32_e32 vcc_lo, s5, v1
	s_or_b32 s1, vcc_lo, s24
	s_and_saveexec_b32 s25, s1
	s_delay_alu instid0(SALU_CYCLE_1)
	s_xor_b32 s1, exec_lo, s25
; %bb.15:                               ;   in Loop: Header=BB139_10 Depth=2
	v_dual_mov_b32 v1, v0 :: v_dual_mov_b32 v2, v0
	v_mov_b32_e32 v3, v0
	ds_store_b128 v39, v[0:3]
; %bb.16:                               ;   in Loop: Header=BB139_10 Depth=2
	s_and_not1_saveexec_b32 s1, s1
	s_cbranch_execz .LBB139_9
; %bb.17:                               ;   in Loop: Header=BB139_10 Depth=2
	global_load_b128 v[42:45], v[20:21], off
	s_wait_loadcnt 0x0
	ds_store_2addr_b64 v39, v[42:43], v[44:45] offset1:1
	s_branch .LBB139_9
.LBB139_18:                             ;   in Loop: Header=BB139_7 Depth=1
	s_mul_u64 s[0:1], s[28:29], s[6:7]
	s_delay_alu instid0(SALU_CYCLE_1) | instskip(NEXT) | instid1(SALU_CYCLE_1)
	s_lshl_b64 s[0:1], s[0:1], 4
	s_add_nc_u64 s[0:1], s[14:15], s[0:1]
	s_delay_alu instid0(SALU_CYCLE_1)
	v_lshl_add_u64 v[20:21], v[10:11], 4, s[0:1]
	s_and_saveexec_b32 s25, s33
	s_cbranch_execz .LBB139_23
; %bb.19:                               ;   in Loop: Header=BB139_7 Depth=1
	v_mul_f64_e32 v[2:3], s[18:19], v[32:33]
	v_mul_f64_e32 v[4:5], s[16:17], v[32:33]
	s_and_b32 vcc_lo, exec_lo, s26
	s_mov_b32 s30, -1
	s_delay_alu instid0(VALU_DEP_2) | instskip(NEXT) | instid1(VALU_DEP_2)
	v_fma_f64 v[2:3], s[16:17], v[30:31], -v[2:3]
	v_fmac_f64_e32 v[4:5], s[18:19], v[30:31]
	v_lshl_add_u64 v[30:31], v[8:9], 4, v[20:21]
	s_cbranch_vccz .LBB139_21
; %bb.20:                               ;   in Loop: Header=BB139_7 Depth=1
	global_load_b128 v[42:45], v[30:31], off
	s_mov_b32 s30, 0
	s_wait_loadcnt 0x0
	v_mul_f64_e32 v[32:33], s[12:13], v[44:45]
	v_mul_f64_e32 v[44:45], s[10:11], v[44:45]
	s_delay_alu instid0(VALU_DEP_2) | instskip(NEXT) | instid1(VALU_DEP_2)
	v_fma_f64 v[32:33], s[10:11], v[42:43], -v[32:33]
	v_fmac_f64_e32 v[44:45], s[12:13], v[42:43]
	s_delay_alu instid0(VALU_DEP_2) | instskip(NEXT) | instid1(VALU_DEP_2)
	v_add_f64_e32 v[42:43], v[2:3], v[32:33]
	v_add_f64_e32 v[44:45], v[4:5], v[44:45]
	global_store_b128 v[30:31], v[42:45], off
.LBB139_21:                             ;   in Loop: Header=BB139_7 Depth=1
	s_and_not1_b32 vcc_lo, exec_lo, s30
	s_cbranch_vccnz .LBB139_23
; %bb.22:                               ;   in Loop: Header=BB139_7 Depth=1
	global_store_b128 v[30:31], v[2:5], off
.LBB139_23:                             ;   in Loop: Header=BB139_7 Depth=1
	s_wait_xcnt 0x0
	s_or_b32 exec_lo, exec_lo, s25
	s_and_saveexec_b32 s25, s34
	s_cbranch_execz .LBB139_28
; %bb.24:                               ;   in Loop: Header=BB139_7 Depth=1
	v_mul_f64_e32 v[2:3], s[18:19], v[24:25]
	v_mul_f64_e32 v[4:5], s[16:17], v[24:25]
	v_lshl_add_u64 v[20:21], v[14:15], 4, v[20:21]
	s_and_not1_b32 vcc_lo, exec_lo, s26
	s_mov_b32 s30, -1
	s_delay_alu instid0(VALU_DEP_3) | instskip(NEXT) | instid1(VALU_DEP_3)
	v_fma_f64 v[2:3], s[16:17], v[22:23], -v[2:3]
	v_fmac_f64_e32 v[4:5], s[18:19], v[22:23]
	s_cbranch_vccnz .LBB139_26
; %bb.25:                               ;   in Loop: Header=BB139_7 Depth=1
	global_load_b128 v[22:25], v[20:21], off
	s_mov_b32 s30, 0
	s_wait_loadcnt 0x0
	v_mul_f64_e32 v[30:31], s[12:13], v[24:25]
	v_mul_f64_e32 v[24:25], s[10:11], v[24:25]
	s_delay_alu instid0(VALU_DEP_2) | instskip(NEXT) | instid1(VALU_DEP_2)
	v_fma_f64 v[30:31], s[10:11], v[22:23], -v[30:31]
	v_fmac_f64_e32 v[24:25], s[12:13], v[22:23]
	s_delay_alu instid0(VALU_DEP_2) | instskip(NEXT) | instid1(VALU_DEP_2)
	v_add_f64_e32 v[22:23], v[2:3], v[30:31]
	v_add_f64_e32 v[24:25], v[4:5], v[24:25]
	global_store_b128 v[20:21], v[22:25], off
.LBB139_26:                             ;   in Loop: Header=BB139_7 Depth=1
	s_and_not1_b32 vcc_lo, exec_lo, s30
	s_cbranch_vccnz .LBB139_28
; %bb.27:                               ;   in Loop: Header=BB139_7 Depth=1
	global_store_b128 v[20:21], v[2:5], off
.LBB139_28:                             ;   in Loop: Header=BB139_7 Depth=1
	s_wait_xcnt 0x0
	s_or_b32 exec_lo, exec_lo, s25
	v_lshl_add_u64 v[20:21], v[12:13], 4, s[0:1]
	s_and_saveexec_b32 s0, s35
	s_cbranch_execz .LBB139_33
; %bb.29:                               ;   in Loop: Header=BB139_7 Depth=1
	v_mul_f64_e32 v[2:3], s[18:19], v[28:29]
	v_mul_f64_e32 v[4:5], s[16:17], v[28:29]
	v_lshl_add_u64 v[22:23], v[8:9], 4, v[20:21]
	s_and_not1_b32 vcc_lo, exec_lo, s26
	s_mov_b32 s1, -1
	s_delay_alu instid0(VALU_DEP_3) | instskip(NEXT) | instid1(VALU_DEP_3)
	v_fma_f64 v[2:3], s[16:17], v[26:27], -v[2:3]
	v_fmac_f64_e32 v[4:5], s[18:19], v[26:27]
	s_cbranch_vccnz .LBB139_31
; %bb.30:                               ;   in Loop: Header=BB139_7 Depth=1
	global_load_b128 v[24:27], v[22:23], off
	s_mov_b32 s1, 0
	s_wait_loadcnt 0x0
	v_mul_f64_e32 v[28:29], s[12:13], v[26:27]
	v_mul_f64_e32 v[26:27], s[10:11], v[26:27]
	s_delay_alu instid0(VALU_DEP_2) | instskip(NEXT) | instid1(VALU_DEP_2)
	v_fma_f64 v[28:29], s[10:11], v[24:25], -v[28:29]
	v_fmac_f64_e32 v[26:27], s[12:13], v[24:25]
	s_delay_alu instid0(VALU_DEP_2) | instskip(NEXT) | instid1(VALU_DEP_2)
	v_add_f64_e32 v[24:25], v[2:3], v[28:29]
	v_add_f64_e32 v[26:27], v[4:5], v[26:27]
	global_store_b128 v[22:23], v[24:27], off
.LBB139_31:                             ;   in Loop: Header=BB139_7 Depth=1
	s_and_not1_b32 vcc_lo, exec_lo, s1
	s_cbranch_vccnz .LBB139_33
; %bb.32:                               ;   in Loop: Header=BB139_7 Depth=1
	global_store_b128 v[22:23], v[2:5], off
.LBB139_33:                             ;   in Loop: Header=BB139_7 Depth=1
	s_wait_xcnt 0x0
	s_or_b32 exec_lo, exec_lo, s0
	s_and_saveexec_b32 s0, s4
	s_cbranch_execz .LBB139_6
; %bb.34:                               ;   in Loop: Header=BB139_7 Depth=1
	s_delay_alu instid0(VALU_DEP_3) | instskip(SKIP_4) | instid1(VALU_DEP_3)
	v_mul_f64_e32 v[2:3], s[18:19], v[34:35]
	v_mul_f64_e32 v[4:5], s[16:17], v[34:35]
	v_lshl_add_u64 v[20:21], v[14:15], 4, v[20:21]
	s_and_not1_b32 vcc_lo, exec_lo, s26
	s_mov_b32 s1, -1
	v_fma_f64 v[2:3], s[16:17], v[36:37], -v[2:3]
	s_delay_alu instid0(VALU_DEP_3)
	v_fmac_f64_e32 v[4:5], s[18:19], v[36:37]
	s_cbranch_vccnz .LBB139_36
; %bb.35:                               ;   in Loop: Header=BB139_7 Depth=1
	global_load_b128 v[22:25], v[20:21], off
	s_mov_b32 s1, 0
	s_wait_loadcnt 0x0
	v_mul_f64_e32 v[26:27], s[12:13], v[24:25]
	v_mul_f64_e32 v[24:25], s[10:11], v[24:25]
	s_delay_alu instid0(VALU_DEP_2) | instskip(NEXT) | instid1(VALU_DEP_2)
	v_fma_f64 v[26:27], s[10:11], v[22:23], -v[26:27]
	v_fmac_f64_e32 v[24:25], s[12:13], v[22:23]
	s_delay_alu instid0(VALU_DEP_2) | instskip(NEXT) | instid1(VALU_DEP_2)
	v_add_f64_e32 v[22:23], v[2:3], v[26:27]
	v_add_f64_e32 v[24:25], v[4:5], v[24:25]
	global_store_b128 v[20:21], v[22:25], off
.LBB139_36:                             ;   in Loop: Header=BB139_7 Depth=1
	s_and_not1_b32 vcc_lo, exec_lo, s1
	s_cbranch_vccnz .LBB139_6
; %bb.37:                               ;   in Loop: Header=BB139_7 Depth=1
	global_store_b128 v[20:21], v[2:5], off
	s_branch .LBB139_6
.LBB139_38:
.LBB139_39:
	s_sendmsg sendmsg(MSG_DEALLOC_VGPRS)
	s_endpgm
	.section	.rodata,"a",@progbits
	.p2align	6, 0x0
	.amdhsa_kernel _ZL29rocblas_internal_gemmt_kernelIiLi16ELi32ELi8ELc84ELc84ELc76ELb0ELb0E19rocblas_complex_numIdES1_PKS1_PS1_EviT_T9_T10_S5_lS7_S5_lS6_T11_S5_li
		.amdhsa_group_segment_fixed_size 8192
		.amdhsa_private_segment_fixed_size 0
		.amdhsa_kernarg_size 116
		.amdhsa_user_sgpr_count 2
		.amdhsa_user_sgpr_dispatch_ptr 0
		.amdhsa_user_sgpr_queue_ptr 0
		.amdhsa_user_sgpr_kernarg_segment_ptr 1
		.amdhsa_user_sgpr_dispatch_id 0
		.amdhsa_user_sgpr_kernarg_preload_length 0
		.amdhsa_user_sgpr_kernarg_preload_offset 0
		.amdhsa_user_sgpr_private_segment_size 0
		.amdhsa_wavefront_size32 1
		.amdhsa_uses_dynamic_stack 0
		.amdhsa_enable_private_segment 0
		.amdhsa_system_sgpr_workgroup_id_x 1
		.amdhsa_system_sgpr_workgroup_id_y 1
		.amdhsa_system_sgpr_workgroup_id_z 1
		.amdhsa_system_sgpr_workgroup_info 0
		.amdhsa_system_vgpr_workitem_id 1
		.amdhsa_next_free_vgpr 66
		.amdhsa_next_free_sgpr 41
		.amdhsa_named_barrier_count 0
		.amdhsa_reserve_vcc 1
		.amdhsa_float_round_mode_32 0
		.amdhsa_float_round_mode_16_64 0
		.amdhsa_float_denorm_mode_32 3
		.amdhsa_float_denorm_mode_16_64 3
		.amdhsa_fp16_overflow 0
		.amdhsa_memory_ordered 1
		.amdhsa_forward_progress 1
		.amdhsa_inst_pref_size 26
		.amdhsa_round_robin_scheduling 0
		.amdhsa_exception_fp_ieee_invalid_op 0
		.amdhsa_exception_fp_denorm_src 0
		.amdhsa_exception_fp_ieee_div_zero 0
		.amdhsa_exception_fp_ieee_overflow 0
		.amdhsa_exception_fp_ieee_underflow 0
		.amdhsa_exception_fp_ieee_inexact 0
		.amdhsa_exception_int_div_zero 0
	.end_amdhsa_kernel
	.section	.text._ZL29rocblas_internal_gemmt_kernelIiLi16ELi32ELi8ELc84ELc84ELc76ELb0ELb0E19rocblas_complex_numIdES1_PKS1_PS1_EviT_T9_T10_S5_lS7_S5_lS6_T11_S5_li,"axG",@progbits,_ZL29rocblas_internal_gemmt_kernelIiLi16ELi32ELi8ELc84ELc84ELc76ELb0ELb0E19rocblas_complex_numIdES1_PKS1_PS1_EviT_T9_T10_S5_lS7_S5_lS6_T11_S5_li,comdat
.Lfunc_end139:
	.size	_ZL29rocblas_internal_gemmt_kernelIiLi16ELi32ELi8ELc84ELc84ELc76ELb0ELb0E19rocblas_complex_numIdES1_PKS1_PS1_EviT_T9_T10_S5_lS7_S5_lS6_T11_S5_li, .Lfunc_end139-_ZL29rocblas_internal_gemmt_kernelIiLi16ELi32ELi8ELc84ELc84ELc76ELb0ELb0E19rocblas_complex_numIdES1_PKS1_PS1_EviT_T9_T10_S5_lS7_S5_lS6_T11_S5_li
                                        ; -- End function
	.set _ZL29rocblas_internal_gemmt_kernelIiLi16ELi32ELi8ELc84ELc84ELc76ELb0ELb0E19rocblas_complex_numIdES1_PKS1_PS1_EviT_T9_T10_S5_lS7_S5_lS6_T11_S5_li.num_vgpr, 66
	.set _ZL29rocblas_internal_gemmt_kernelIiLi16ELi32ELi8ELc84ELc84ELc76ELb0ELb0E19rocblas_complex_numIdES1_PKS1_PS1_EviT_T9_T10_S5_lS7_S5_lS6_T11_S5_li.num_agpr, 0
	.set _ZL29rocblas_internal_gemmt_kernelIiLi16ELi32ELi8ELc84ELc84ELc76ELb0ELb0E19rocblas_complex_numIdES1_PKS1_PS1_EviT_T9_T10_S5_lS7_S5_lS6_T11_S5_li.numbered_sgpr, 41
	.set _ZL29rocblas_internal_gemmt_kernelIiLi16ELi32ELi8ELc84ELc84ELc76ELb0ELb0E19rocblas_complex_numIdES1_PKS1_PS1_EviT_T9_T10_S5_lS7_S5_lS6_T11_S5_li.num_named_barrier, 0
	.set _ZL29rocblas_internal_gemmt_kernelIiLi16ELi32ELi8ELc84ELc84ELc76ELb0ELb0E19rocblas_complex_numIdES1_PKS1_PS1_EviT_T9_T10_S5_lS7_S5_lS6_T11_S5_li.private_seg_size, 0
	.set _ZL29rocblas_internal_gemmt_kernelIiLi16ELi32ELi8ELc84ELc84ELc76ELb0ELb0E19rocblas_complex_numIdES1_PKS1_PS1_EviT_T9_T10_S5_lS7_S5_lS6_T11_S5_li.uses_vcc, 1
	.set _ZL29rocblas_internal_gemmt_kernelIiLi16ELi32ELi8ELc84ELc84ELc76ELb0ELb0E19rocblas_complex_numIdES1_PKS1_PS1_EviT_T9_T10_S5_lS7_S5_lS6_T11_S5_li.uses_flat_scratch, 0
	.set _ZL29rocblas_internal_gemmt_kernelIiLi16ELi32ELi8ELc84ELc84ELc76ELb0ELb0E19rocblas_complex_numIdES1_PKS1_PS1_EviT_T9_T10_S5_lS7_S5_lS6_T11_S5_li.has_dyn_sized_stack, 0
	.set _ZL29rocblas_internal_gemmt_kernelIiLi16ELi32ELi8ELc84ELc84ELc76ELb0ELb0E19rocblas_complex_numIdES1_PKS1_PS1_EviT_T9_T10_S5_lS7_S5_lS6_T11_S5_li.has_recursion, 0
	.set _ZL29rocblas_internal_gemmt_kernelIiLi16ELi32ELi8ELc84ELc84ELc76ELb0ELb0E19rocblas_complex_numIdES1_PKS1_PS1_EviT_T9_T10_S5_lS7_S5_lS6_T11_S5_li.has_indirect_call, 0
	.section	.AMDGPU.csdata,"",@progbits
; Kernel info:
; codeLenInByte = 3228
; TotalNumSgprs: 43
; NumVgprs: 66
; ScratchSize: 0
; MemoryBound: 0
; FloatMode: 240
; IeeeMode: 1
; LDSByteSize: 8192 bytes/workgroup (compile time only)
; SGPRBlocks: 0
; VGPRBlocks: 4
; NumSGPRsForWavesPerEU: 43
; NumVGPRsForWavesPerEU: 66
; NamedBarCnt: 0
; Occupancy: 12
; WaveLimiterHint : 0
; COMPUTE_PGM_RSRC2:SCRATCH_EN: 0
; COMPUTE_PGM_RSRC2:USER_SGPR: 2
; COMPUTE_PGM_RSRC2:TRAP_HANDLER: 0
; COMPUTE_PGM_RSRC2:TGID_X_EN: 1
; COMPUTE_PGM_RSRC2:TGID_Y_EN: 1
; COMPUTE_PGM_RSRC2:TGID_Z_EN: 1
; COMPUTE_PGM_RSRC2:TIDIG_COMP_CNT: 1
	.section	.text._ZL29rocblas_internal_gemmt_kernelIiLi16ELi32ELi8ELc84ELc67ELc76ELb0ELb1E19rocblas_complex_numIdES1_PKS1_PS1_EviT_T9_T10_S5_lS7_S5_lS6_T11_S5_li,"axG",@progbits,_ZL29rocblas_internal_gemmt_kernelIiLi16ELi32ELi8ELc84ELc67ELc76ELb0ELb1E19rocblas_complex_numIdES1_PKS1_PS1_EviT_T9_T10_S5_lS7_S5_lS6_T11_S5_li,comdat
	.globl	_ZL29rocblas_internal_gemmt_kernelIiLi16ELi32ELi8ELc84ELc67ELc76ELb0ELb1E19rocblas_complex_numIdES1_PKS1_PS1_EviT_T9_T10_S5_lS7_S5_lS6_T11_S5_li ; -- Begin function _ZL29rocblas_internal_gemmt_kernelIiLi16ELi32ELi8ELc84ELc67ELc76ELb0ELb1E19rocblas_complex_numIdES1_PKS1_PS1_EviT_T9_T10_S5_lS7_S5_lS6_T11_S5_li
	.p2align	8
	.type	_ZL29rocblas_internal_gemmt_kernelIiLi16ELi32ELi8ELc84ELc67ELc76ELb0ELb1E19rocblas_complex_numIdES1_PKS1_PS1_EviT_T9_T10_S5_lS7_S5_lS6_T11_S5_li,@function
_ZL29rocblas_internal_gemmt_kernelIiLi16ELi32ELi8ELc84ELc67ELc76ELb0ELb1E19rocblas_complex_numIdES1_PKS1_PS1_EviT_T9_T10_S5_lS7_S5_lS6_T11_S5_li: ; @_ZL29rocblas_internal_gemmt_kernelIiLi16ELi32ELi8ELc84ELc67ELc76ELb0ELb1E19rocblas_complex_numIdES1_PKS1_PS1_EviT_T9_T10_S5_lS7_S5_lS6_T11_S5_li
; %bb.0:
	s_clause 0x2
	s_load_b256 s[8:15], s[0:1], 0x40
	s_load_b64 s[6:7], s[0:1], 0x0
	s_load_b128 s[16:19], s[0:1], 0x8
	s_wait_kmcnt 0x0
	v_cmp_eq_f64_e64 s2, s[10:11], 1.0
	v_cmp_eq_f64_e64 s4, s[12:13], 0
	s_and_b32 s2, s2, s4
	s_delay_alu instid0(SALU_CYCLE_1)
	s_and_not1_b32 vcc_lo, exec_lo, s2
	s_mov_b32 s2, -1
	s_cbranch_vccnz .LBB140_3
; %bb.1:
	s_cmp_lg_u32 s7, 0
	s_cbranch_scc0 .LBB140_36
; %bb.2:
	v_cmp_neq_f64_e64 s2, s[16:17], 0
	v_cmp_neq_f64_e64 s3, s[18:19], 0
	s_or_b32 s2, s2, s3
.LBB140_3:
	s_delay_alu instid0(SALU_CYCLE_1)
	s_and_b32 vcc_lo, exec_lo, s2
	s_cbranch_vccz .LBB140_37
; %bb.4:
	s_load_b32 s27, s[0:1], 0x70
	s_bfe_u32 s2, ttmp6, 0x40014
	s_lshr_b32 s3, ttmp7, 16
	s_add_co_i32 s2, s2, 1
	s_bfe_u32 s20, ttmp6, 0x40008
	s_mul_i32 s2, s3, s2
	s_getreg_b32 s5, hwreg(HW_REG_IB_STS2, 6, 4)
	s_add_co_i32 s20, s20, s2
	s_cmp_eq_u32 s5, 0
	s_mov_b32 s29, 0
	s_cselect_b32 s28, s3, s20
	s_wait_kmcnt 0x0
	s_cmp_ge_u32 s28, s27
	s_cbranch_scc1 .LBB140_37
; %bb.5:
	s_clause 0x2
	s_load_b96 s[24:26], s[0:1], 0x18
	s_load_b32 s34, s[0:1], 0x38
	s_load_b32 s2, s[0:1], 0x60
	v_and_b32_e32 v1, 0x3ff, v0
	v_bfe_u32 v9, v0, 10, 10
	s_clause 0x1
	s_load_b128 s[20:23], s[0:1], 0x28
	s_load_b64 s[30:31], s[0:1], 0x68
	s_wait_xcnt 0x0
	s_bfe_u32 s1, ttmp6, 0x4000c
	s_bfe_u32 s3, ttmp6, 0x40010
	s_and_b32 s37, ttmp7, 0xffff
	s_add_co_i32 s38, s1, 1
	s_add_co_i32 s39, s3, 1
	v_lshl_add_u32 v2, v9, 4, v1
	s_and_b32 s0, ttmp6, 15
	s_mul_i32 s38, ttmp9, s38
	s_mul_i32 s39, s37, s39
	s_bfe_u32 s40, ttmp6, 0x40004
	s_add_co_i32 s0, s0, s38
	s_add_co_i32 s40, s40, s39
	v_dual_lshrrev_b32 v40, 5, v2 :: v_dual_bitop2_b32 v6, 7, v0 bitop3:0x40
	s_wait_kmcnt 0x0
	s_ashr_i32 s1, s26, 31
	s_ashr_i32 s35, s34, 31
	;; [unrolled: 1-line block ×3, first 2 shown]
	s_cmp_eq_u32 s5, 0
	v_dual_mov_b32 v0, 0 :: v_dual_bitop2_b32 v5, 31, v2 bitop3:0x40
	s_cselect_b32 s0, ttmp9, s0
	s_cselect_b32 s5, s37, s40
	s_lshl_b32 s37, s0, 5
	s_delay_alu instid0(VALU_DEP_1) | instid1(SALU_CYCLE_1)
	v_dual_lshrrev_b32 v8, 3, v2 :: v_dual_bitop2_b32 v2, s37, v5 bitop3:0x54
	s_lshl_b32 s5, s5, 5
	v_mov_b32_e32 v7, v0
	v_cmp_neq_f64_e64 s33, s[16:17], 0
	v_cmp_neq_f64_e64 s36, s[18:19], 0
	v_dual_add_nc_u32 v4, s5, v8 :: v_dual_ashrrev_i32 v3, 31, v2
	v_add_nc_u32_e32 v18, s5, v9
	v_mul_u64_e32 v[16:17], s[34:35], v[6:7]
	s_mov_b32 s0, s26
	v_lshlrev_b32_e32 v7, 4, v6
	v_mul_u64_e32 v[20:21], s[0:1], v[2:3]
	v_lshlrev_b32_e32 v3, 4, v5
	v_cmp_gt_i32_e32 vcc_lo, s6, v2
	v_dual_add_nc_u32 v2, 16, v18 :: v_dual_ashrrev_i32 v19, 31, v18
	v_cmp_neq_f64_e64 s38, s[10:11], 0
	v_lshl_or_b32 v5, v8, 7, v7
	v_lshl_or_b32 v7, v40, 9, v3
	s_delay_alu instid0(VALU_DEP_4)
	v_ashrrev_i32_e32 v3, 31, v2
	v_mul_u64_e32 v[10:11], s[2:3], v[18:19]
	v_dual_add_nc_u32 v8, s37, v1 :: v_dual_lshlrev_b32 v42, 4, v1
	v_add_nc_u32_e32 v41, 0x1000, v5
	v_ashrrev_i32_e32 v5, 31, v4
	v_mul_u64_e32 v[12:13], s[2:3], v[2:3]
	v_cmp_gt_i32_e64 s0, s6, v4
	v_cmp_le_i32_e64 s1, v18, v8
	v_cmp_gt_i32_e64 s2, s6, v8
	v_lshlrev_b64_e32 v[4:5], 4, v[4:5]
	v_add_nc_u32_e32 v14, 16, v8
	v_lshl_add_u32 v43, v9, 7, 0x1000
	v_dual_ashrrev_i32 v9, 31, v8 :: v_dual_mov_b32 v19, v0
	s_delay_alu instid0(VALU_DEP_3)
	v_cmp_le_i32_e64 s5, v2, v14
	s_or_b32 s36, s33, s36
	s_cmp_gt_i32 s7, 0
	v_ashrrev_i32_e32 v15, 31, v14
	s_cselect_b32 s39, -1, 0
	v_lshl_add_u64 v[4:5], v[16:17], 4, v[4:5]
	s_and_b32 s33, s1, s2
	v_cmp_le_i32_e64 s1, v18, v14
	v_lshlrev_b32_e32 v18, 4, v40
	s_xor_b32 s3, s4, -1
	v_add_nc_u64_e32 v[4:5], s[22:23], v[4:5]
	v_cmp_le_i32_e64 s4, v2, v8
	s_and_b32 s23, s36, s39
	v_lshl_add_u64 v[2:3], v[20:21], 4, v[18:19]
	s_or_b32 s26, s38, s3
	v_cmp_gt_i32_e64 s3, s6, v14
	s_and_b32 s6, s4, s2
	v_add_nc_u64_e32 v[18:19], 8, v[4:5]
	v_add_nc_u64_e32 v[16:17], s[24:25], v[2:3]
	s_xor_b32 s24, vcc_lo, -1
	s_and_b32 s1, s1, s3
	s_and_b32 s22, s5, s3
	s_lshl_b64 s[2:3], s[20:21], 4
	s_lshl_b64 s[4:5], s[8:9], 4
	;; [unrolled: 1-line block ×3, first 2 shown]
	s_branch .LBB140_7
.LBB140_6:                              ;   in Loop: Header=BB140_7 Depth=1
	s_wait_xcnt 0x0
	s_or_b32 exec_lo, exec_lo, s20
	s_add_co_i32 s28, s28, 0x10000
	s_delay_alu instid0(SALU_CYCLE_1)
	s_cmp_lt_u32 s28, s27
	s_cbranch_scc0 .LBB140_37
.LBB140_7:                              ; =>This Loop Header: Depth=1
                                        ;     Child Loop BB140_10 Depth 2
	v_mov_b64_e32 v[36:37], 0
	v_mov_b64_e32 v[38:39], 0
	;; [unrolled: 1-line block ×8, first 2 shown]
	s_and_not1_b32 vcc_lo, exec_lo, s23
	s_cbranch_vccnz .LBB140_16
; %bb.8:                                ;   in Loop: Header=BB140_7 Depth=1
	v_mad_nc_u64_u32 v[24:25], s2, s28, v[16:17]
	v_mad_nc_u64_u32 v[26:27], s4, s28, v[18:19]
	v_mov_b64_e32 v[20:21], 0
	v_mov_b64_e32 v[22:23], 0
	;; [unrolled: 1-line block ×8, first 2 shown]
	s_mov_b32 s20, 0
	v_mad_u32 v25, s3, s28, v25
	v_mad_u32 v27, s5, s28, v27
	s_branch .LBB140_10
.LBB140_9:                              ;   in Loop: Header=BB140_10 Depth=2
	s_wait_xcnt 0x0
	s_or_b32 exec_lo, exec_lo, s21
	ds_store_b128 v41, v[2:5]
	s_wait_dscnt 0x0
	s_barrier_signal -1
	s_barrier_wait -1
	ds_load_b128 v[2:5], v43
	ds_load_b128 v[44:47], v42
	ds_load_b128 v[48:51], v42 offset:256
	ds_load_b128 v[52:55], v43 offset:2048
	ds_load_b128 v[56:59], v43 offset:16
	ds_load_b128 v[60:63], v42 offset:512
	ds_load_b128 v[64:67], v42 offset:768
	ds_load_b128 v[68:71], v43 offset:2064
	ds_load_b128 v[72:75], v43 offset:32
	ds_load_b128 v[76:79], v42 offset:1024
	ds_load_b128 v[80:83], v42 offset:1280
	ds_load_b128 v[84:87], v43 offset:2080
	v_add_nc_u64_e32 v[24:25], 0x80, v[24:25]
	v_add_nc_u64_e32 v[26:27], s[8:9], v[26:27]
	s_add_co_i32 s20, s20, 8
	s_delay_alu instid0(SALU_CYCLE_1)
	s_cmp_lt_i32 s20, s7
	s_wait_dscnt 0xa
	v_mul_f64_e32 v[88:89], v[4:5], v[46:47]
	v_mul_f64_e32 v[90:91], v[2:3], v[46:47]
	s_wait_dscnt 0x9
	v_mul_f64_e32 v[92:93], v[4:5], v[50:51]
	v_mul_f64_e32 v[94:95], v[2:3], v[50:51]
	s_wait_dscnt 0x8
	v_mul_f64_e32 v[96:97], v[54:55], v[46:47]
	v_mul_f64_e32 v[98:99], v[52:53], v[46:47]
	v_mul_f64_e32 v[46:47], v[54:55], v[50:51]
	v_mul_f64_e32 v[100:101], v[52:53], v[50:51]
	s_wait_dscnt 0x6
	v_mul_f64_e32 v[102:103], v[58:59], v[62:63]
	v_mul_f64_e32 v[104:105], v[56:57], v[62:63]
	s_wait_dscnt 0x5
	v_mul_f64_e32 v[106:107], v[58:59], v[66:67]
	v_mul_f64_e32 v[108:109], v[56:57], v[66:67]
	s_wait_dscnt 0x4
	v_mul_f64_e32 v[110:111], v[70:71], v[62:63]
	v_mul_f64_e32 v[62:63], v[68:69], v[62:63]
	v_mul_f64_e32 v[112:113], v[70:71], v[66:67]
	v_mul_f64_e32 v[66:67], v[68:69], v[66:67]
	;; [unrolled: 11-line block ×3, first 2 shown]
	v_fma_f64 v[88:89], v[2:3], v[44:45], -v[88:89]
	v_fmac_f64_e32 v[90:91], v[4:5], v[44:45]
	v_fma_f64 v[92:93], v[2:3], v[48:49], -v[92:93]
	v_fmac_f64_e32 v[94:95], v[4:5], v[48:49]
	;; [unrolled: 2-line block ×8, first 2 shown]
	ds_load_b128 v[2:5], v43 offset:48
	ds_load_b128 v[44:47], v43 offset:2096
	;; [unrolled: 1-line block ×4, first 2 shown]
	v_fma_f64 v[116:117], v[72:73], v[76:77], -v[116:117]
	v_fmac_f64_e32 v[118:119], v[74:75], v[76:77]
	v_fma_f64 v[72:73], v[72:73], v[80:81], -v[120:121]
	v_fmac_f64_e32 v[122:123], v[74:75], v[80:81]
	;; [unrolled: 2-line block ×4, first 2 shown]
	v_add_f64_e32 v[64:65], v[36:37], v[88:89]
	v_add_f64_e32 v[68:69], v[90:91], v[38:39]
	v_add_f64_e32 v[70:71], v[32:33], v[92:93]
	v_add_f64_e32 v[88:89], v[94:95], v[34:35]
	v_add_f64_e32 v[90:91], v[28:29], v[96:97]
	v_add_f64_e32 v[92:93], v[98:99], v[30:31]
	v_add_f64_e32 v[94:95], v[22:23], v[114:115]
	v_add_f64_e32 v[96:97], v[100:101], v[20:21]
	s_wait_dscnt 0x1
	v_mul_f64_e32 v[98:99], v[4:5], v[50:51]
	v_mul_f64_e32 v[100:101], v[2:3], v[50:51]
	s_wait_dscnt 0x0
	v_mul_f64_e32 v[106:107], v[4:5], v[54:55]
	v_mul_f64_e32 v[110:111], v[2:3], v[54:55]
	;; [unrolled: 1-line block ×6, first 2 shown]
	ds_load_b128 v[20:23], v43 offset:64
	ds_load_b128 v[28:31], v42 offset:2048
	;; [unrolled: 1-line block ×4, first 2 shown]
	v_add_f64_e32 v[80:81], v[64:65], v[102:103]
	v_add_f64_e32 v[84:85], v[104:105], v[68:69]
	v_add_f64_e32 v[70:71], v[70:71], v[56:57]
	v_add_f64_e32 v[86:87], v[108:109], v[88:89]
	v_add_f64_e32 v[88:89], v[90:91], v[58:59]
	v_add_f64_e32 v[90:91], v[62:63], v[92:93]
	v_add_f64_e32 v[92:93], v[94:95], v[60:61]
	v_add_f64_e32 v[94:95], v[66:67], v[96:97]
	s_wait_dscnt 0x2
	v_mul_f64_e32 v[96:97], v[22:23], v[30:31]
	v_mul_f64_e32 v[102:103], v[20:21], v[30:31]
	s_wait_dscnt 0x1
	v_mul_f64_e32 v[104:105], v[22:23], v[34:35]
	v_mul_f64_e32 v[108:109], v[20:21], v[34:35]
	;; [unrolled: 3-line block ×3, first 2 shown]
	v_mul_f64_e32 v[30:31], v[38:39], v[34:35]
	v_mul_f64_e32 v[126:127], v[36:37], v[34:35]
	v_fma_f64 v[34:35], v[2:3], v[48:49], -v[98:99]
	v_fmac_f64_e32 v[100:101], v[4:5], v[48:49]
	v_fma_f64 v[98:99], v[2:3], v[52:53], -v[106:107]
	v_fmac_f64_e32 v[110:111], v[4:5], v[52:53]
	;; [unrolled: 2-line block ×4, first 2 shown]
	ds_load_b128 v[54:57], v43 offset:80
	ds_load_b128 v[58:61], v43 offset:2128
	;; [unrolled: 1-line block ×4, first 2 shown]
	v_add_f64_e32 v[52:53], v[80:81], v[116:117]
	v_add_f64_e32 v[80:81], v[118:119], v[84:85]
	;; [unrolled: 1-line block ×8, first 2 shown]
	v_fma_f64 v[96:97], v[20:21], v[28:29], -v[96:97]
	v_fmac_f64_e32 v[102:103], v[22:23], v[28:29]
	v_fma_f64 v[104:105], v[20:21], v[32:33], -v[104:105]
	s_wait_dscnt 0x1
	v_mul_f64_e32 v[88:89], v[56:57], v[64:65]
	v_mul_f64_e32 v[90:91], v[54:55], v[64:65]
	s_wait_dscnt 0x0
	v_mul_f64_e32 v[92:93], v[56:57], v[68:69]
	v_mul_f64_e32 v[94:95], v[54:55], v[68:69]
	v_mul_f64_e32 v[116:117], v[60:61], v[64:65]
	v_mul_f64_e32 v[64:65], v[58:59], v[64:65]
	v_mul_f64_e32 v[118:119], v[60:61], v[68:69]
	v_mul_f64_e32 v[68:69], v[58:59], v[68:69]
	v_fmac_f64_e32 v[108:109], v[22:23], v[32:33]
	v_fma_f64 v[120:121], v[36:37], v[28:29], -v[120:121]
	v_fmac_f64_e32 v[124:125], v[38:39], v[28:29]
	v_fma_f64 v[122:123], v[36:37], v[32:33], -v[30:31]
	v_fmac_f64_e32 v[126:127], v[38:39], v[32:33]
	ds_load_b128 v[2:5], v43 offset:96
	ds_load_b128 v[44:47], v42 offset:3072
	ds_load_b128 v[48:51], v42 offset:3328
	ds_load_b128 v[70:73], v43 offset:2144
	v_add_f64_e32 v[52:53], v[52:53], v[34:35]
	v_add_f64_e32 v[80:81], v[100:101], v[80:81]
	;; [unrolled: 1-line block ×8, first 2 shown]
	ds_load_b128 v[20:23], v43 offset:112
	ds_load_b128 v[28:31], v43 offset:2160
	;; [unrolled: 1-line block ×4, first 2 shown]
	s_wait_dscnt 0x0
	v_mul_f64_e32 v[98:99], v[4:5], v[46:47]
	v_mul_f64_e32 v[100:101], v[2:3], v[46:47]
	;; [unrolled: 1-line block ×8, first 2 shown]
	v_fma_f64 v[88:89], v[54:55], v[62:63], -v[88:89]
	v_fmac_f64_e32 v[90:91], v[56:57], v[62:63]
	v_fma_f64 v[54:55], v[54:55], v[66:67], -v[92:93]
	v_fmac_f64_e32 v[94:95], v[56:57], v[66:67]
	;; [unrolled: 2-line block ×4, first 2 shown]
	s_barrier_signal -1
	s_barrier_wait -1
	v_mul_f64_e32 v[92:93], v[20:21], v[38:39]
	v_add_f64_e32 v[52:53], v[52:53], v[96:97]
	v_add_f64_e32 v[60:61], v[102:103], v[80:81]
	v_add_f64_e32 v[62:63], v[84:85], v[104:105]
	v_add_f64_e32 v[66:67], v[108:109], v[86:87]
	v_add_f64_e32 v[74:75], v[74:75], v[120:121]
	v_add_f64_e32 v[78:79], v[124:125], v[78:79]
	v_add_f64_e32 v[76:77], v[76:77], v[122:123]
	v_add_f64_e32 v[80:81], v[126:127], v[82:83]
	v_mul_f64_e32 v[82:83], v[22:23], v[34:35]
	v_mul_f64_e32 v[84:85], v[20:21], v[34:35]
	;; [unrolled: 1-line block ×7, first 2 shown]
	v_fma_f64 v[38:39], v[2:3], v[44:45], -v[98:99]
	v_fmac_f64_e32 v[100:101], v[4:5], v[44:45]
	v_fma_f64 v[2:3], v[2:3], v[48:49], -v[106:107]
	v_fmac_f64_e32 v[110:111], v[4:5], v[48:49]
	;; [unrolled: 2-line block ×4, first 2 shown]
	v_fmac_f64_e32 v[92:93], v[22:23], v[36:37]
	v_add_f64_e32 v[48:49], v[52:53], v[88:89]
	v_add_f64_e32 v[52:53], v[90:91], v[60:61]
	;; [unrolled: 1-line block ×8, first 2 shown]
	v_fma_f64 v[66:67], v[20:21], v[32:33], -v[82:83]
	v_fmac_f64_e32 v[84:85], v[22:23], v[32:33]
	v_fma_f64 v[20:21], v[20:21], v[36:37], -v[86:87]
	v_fma_f64 v[22:23], v[28:29], v[32:33], -v[96:97]
	v_fmac_f64_e32 v[102:103], v[30:31], v[32:33]
	v_fma_f64 v[68:69], v[28:29], v[36:37], -v[34:35]
	v_fmac_f64_e32 v[104:105], v[30:31], v[36:37]
	v_add_f64_e32 v[28:29], v[48:49], v[38:39]
	v_add_f64_e32 v[30:31], v[100:101], v[52:53]
	;; [unrolled: 1-line block ×16, first 2 shown]
	s_cbranch_scc0 .LBB140_16
.LBB140_10:                             ;   Parent Loop BB140_7 Depth=1
                                        ; =>  This Inner Loop Header: Depth=2
	v_add_nc_u32_e32 v1, s20, v40
	s_delay_alu instid0(VALU_DEP_1) | instskip(SKIP_1) | instid1(SALU_CYCLE_1)
	v_cmp_le_i32_e32 vcc_lo, s7, v1
	s_or_b32 s21, s24, vcc_lo
	s_and_saveexec_b32 s25, s21
	s_delay_alu instid0(SALU_CYCLE_1)
	s_xor_b32 s21, exec_lo, s25
; %bb.11:                               ;   in Loop: Header=BB140_10 Depth=2
	v_dual_mov_b32 v1, v0 :: v_dual_mov_b32 v2, v0
	v_mov_b32_e32 v3, v0
	ds_store_b128 v7, v[0:3]
; %bb.12:                               ;   in Loop: Header=BB140_10 Depth=2
	s_and_not1_saveexec_b32 s21, s21
	s_cbranch_execz .LBB140_14
; %bb.13:                               ;   in Loop: Header=BB140_10 Depth=2
	global_load_b128 v[2:5], v[24:25], off
	s_wait_loadcnt 0x0
	ds_store_2addr_b64 v7, v[2:3], v[4:5] offset1:1
.LBB140_14:                             ;   in Loop: Header=BB140_10 Depth=2
	s_wait_xcnt 0x0
	s_or_b32 exec_lo, exec_lo, s21
	v_add_nc_u32_e32 v1, s20, v6
	v_mov_b64_e32 v[2:3], 0
	v_mov_b64_e32 v[4:5], 0
	s_delay_alu instid0(VALU_DEP_3) | instskip(SKIP_1) | instid1(SALU_CYCLE_1)
	v_cmp_gt_i32_e32 vcc_lo, s7, v1
	s_and_b32 s25, vcc_lo, s0
	s_and_saveexec_b32 s21, s25
	s_cbranch_execz .LBB140_9
; %bb.15:                               ;   in Loop: Header=BB140_10 Depth=2
	global_load_b128 v[2:5], v[26:27], off offset:-8
	s_wait_loadcnt 0x0
	v_xor_b32_e32 v5, 0x80000000, v5
	s_branch .LBB140_9
.LBB140_16:                             ;   in Loop: Header=BB140_7 Depth=1
	s_mul_u64 s[20:21], s[30:31], s[28:29]
	s_delay_alu instid0(SALU_CYCLE_1) | instskip(NEXT) | instid1(SALU_CYCLE_1)
	s_lshl_b64 s[20:21], s[20:21], 4
	s_add_nc_u64 s[20:21], s[14:15], s[20:21]
	s_delay_alu instid0(SALU_CYCLE_1)
	v_lshl_add_u64 v[24:25], v[10:11], 4, s[20:21]
	s_and_saveexec_b32 s25, s33
	s_cbranch_execz .LBB140_21
; %bb.17:                               ;   in Loop: Header=BB140_7 Depth=1
	v_mul_f64_e32 v[2:3], s[18:19], v[38:39]
	v_mul_f64_e32 v[4:5], s[16:17], v[38:39]
	v_lshl_add_u64 v[26:27], v[8:9], 4, v[24:25]
	s_and_b32 vcc_lo, exec_lo, s26
	s_mov_b32 s34, -1
	s_delay_alu instid0(VALU_DEP_3) | instskip(NEXT) | instid1(VALU_DEP_3)
	v_fma_f64 v[2:3], s[16:17], v[36:37], -v[2:3]
	v_fmac_f64_e32 v[4:5], s[18:19], v[36:37]
	s_cbranch_vccz .LBB140_19
; %bb.18:                               ;   in Loop: Header=BB140_7 Depth=1
	global_load_b128 v[36:39], v[26:27], off
	s_mov_b32 s34, 0
	s_wait_loadcnt 0x0
	v_mul_f64_e32 v[44:45], s[12:13], v[38:39]
	v_mul_f64_e32 v[38:39], s[10:11], v[38:39]
	s_delay_alu instid0(VALU_DEP_2) | instskip(NEXT) | instid1(VALU_DEP_2)
	v_fma_f64 v[44:45], s[10:11], v[36:37], -v[44:45]
	v_fmac_f64_e32 v[38:39], s[12:13], v[36:37]
	s_delay_alu instid0(VALU_DEP_2) | instskip(NEXT) | instid1(VALU_DEP_2)
	v_add_f64_e32 v[36:37], v[2:3], v[44:45]
	v_add_f64_e32 v[38:39], v[4:5], v[38:39]
	global_store_b128 v[26:27], v[36:39], off
.LBB140_19:                             ;   in Loop: Header=BB140_7 Depth=1
	s_and_not1_b32 vcc_lo, exec_lo, s34
	s_cbranch_vccnz .LBB140_21
; %bb.20:                               ;   in Loop: Header=BB140_7 Depth=1
	global_store_b128 v[26:27], v[2:5], off
.LBB140_21:                             ;   in Loop: Header=BB140_7 Depth=1
	s_wait_xcnt 0x0
	s_or_b32 exec_lo, exec_lo, s25
	s_and_saveexec_b32 s25, s1
	s_cbranch_execz .LBB140_26
; %bb.22:                               ;   in Loop: Header=BB140_7 Depth=1
	v_mul_f64_e32 v[2:3], s[18:19], v[34:35]
	v_mul_f64_e32 v[4:5], s[16:17], v[34:35]
	v_lshl_add_u64 v[24:25], v[14:15], 4, v[24:25]
	s_and_not1_b32 vcc_lo, exec_lo, s26
	s_mov_b32 s34, -1
	s_delay_alu instid0(VALU_DEP_3) | instskip(NEXT) | instid1(VALU_DEP_3)
	v_fma_f64 v[2:3], s[16:17], v[32:33], -v[2:3]
	v_fmac_f64_e32 v[4:5], s[18:19], v[32:33]
	s_cbranch_vccnz .LBB140_24
; %bb.23:                               ;   in Loop: Header=BB140_7 Depth=1
	global_load_b128 v[32:35], v[24:25], off
	s_mov_b32 s34, 0
	s_wait_loadcnt 0x0
	v_mul_f64_e32 v[26:27], s[12:13], v[34:35]
	v_mul_f64_e32 v[34:35], s[10:11], v[34:35]
	s_delay_alu instid0(VALU_DEP_2) | instskip(NEXT) | instid1(VALU_DEP_2)
	v_fma_f64 v[26:27], s[10:11], v[32:33], -v[26:27]
	v_fmac_f64_e32 v[34:35], s[12:13], v[32:33]
	s_delay_alu instid0(VALU_DEP_2) | instskip(NEXT) | instid1(VALU_DEP_2)
	v_add_f64_e32 v[32:33], v[2:3], v[26:27]
	v_add_f64_e32 v[34:35], v[4:5], v[34:35]
	global_store_b128 v[24:25], v[32:35], off
.LBB140_24:                             ;   in Loop: Header=BB140_7 Depth=1
	s_and_not1_b32 vcc_lo, exec_lo, s34
	s_cbranch_vccnz .LBB140_26
; %bb.25:                               ;   in Loop: Header=BB140_7 Depth=1
	global_store_b128 v[24:25], v[2:5], off
.LBB140_26:                             ;   in Loop: Header=BB140_7 Depth=1
	s_wait_xcnt 0x0
	s_or_b32 exec_lo, exec_lo, s25
	v_lshl_add_u64 v[24:25], v[12:13], 4, s[20:21]
	s_and_saveexec_b32 s20, s6
	s_cbranch_execz .LBB140_31
; %bb.27:                               ;   in Loop: Header=BB140_7 Depth=1
	v_mul_f64_e32 v[2:3], s[18:19], v[30:31]
	v_mul_f64_e32 v[4:5], s[16:17], v[30:31]
	v_lshl_add_u64 v[26:27], v[8:9], 4, v[24:25]
	s_and_not1_b32 vcc_lo, exec_lo, s26
	s_mov_b32 s21, -1
	s_delay_alu instid0(VALU_DEP_3) | instskip(NEXT) | instid1(VALU_DEP_3)
	v_fma_f64 v[2:3], s[16:17], v[28:29], -v[2:3]
	v_fmac_f64_e32 v[4:5], s[18:19], v[28:29]
	s_cbranch_vccnz .LBB140_29
; %bb.28:                               ;   in Loop: Header=BB140_7 Depth=1
	global_load_b128 v[28:31], v[26:27], off
	s_mov_b32 s21, 0
	s_wait_loadcnt 0x0
	v_mul_f64_e32 v[32:33], s[12:13], v[30:31]
	v_mul_f64_e32 v[30:31], s[10:11], v[30:31]
	s_delay_alu instid0(VALU_DEP_2) | instskip(NEXT) | instid1(VALU_DEP_2)
	v_fma_f64 v[32:33], s[10:11], v[28:29], -v[32:33]
	v_fmac_f64_e32 v[30:31], s[12:13], v[28:29]
	s_delay_alu instid0(VALU_DEP_2) | instskip(NEXT) | instid1(VALU_DEP_2)
	v_add_f64_e32 v[28:29], v[2:3], v[32:33]
	v_add_f64_e32 v[30:31], v[4:5], v[30:31]
	global_store_b128 v[26:27], v[28:31], off
.LBB140_29:                             ;   in Loop: Header=BB140_7 Depth=1
	s_and_not1_b32 vcc_lo, exec_lo, s21
	s_cbranch_vccnz .LBB140_31
; %bb.30:                               ;   in Loop: Header=BB140_7 Depth=1
	global_store_b128 v[26:27], v[2:5], off
.LBB140_31:                             ;   in Loop: Header=BB140_7 Depth=1
	s_wait_xcnt 0x0
	s_or_b32 exec_lo, exec_lo, s20
	s_and_saveexec_b32 s20, s22
	s_cbranch_execz .LBB140_6
; %bb.32:                               ;   in Loop: Header=BB140_7 Depth=1
	s_delay_alu instid0(VALU_DEP_3) | instskip(SKIP_4) | instid1(VALU_DEP_3)
	v_mul_f64_e32 v[2:3], s[18:19], v[20:21]
	v_mul_f64_e32 v[4:5], s[16:17], v[20:21]
	v_lshl_add_u64 v[20:21], v[14:15], 4, v[24:25]
	s_and_not1_b32 vcc_lo, exec_lo, s26
	s_mov_b32 s21, -1
	v_fma_f64 v[2:3], s[16:17], v[22:23], -v[2:3]
	s_delay_alu instid0(VALU_DEP_3)
	v_fmac_f64_e32 v[4:5], s[18:19], v[22:23]
	s_cbranch_vccnz .LBB140_34
; %bb.33:                               ;   in Loop: Header=BB140_7 Depth=1
	global_load_b128 v[22:25], v[20:21], off
	s_mov_b32 s21, 0
	s_wait_loadcnt 0x0
	v_mul_f64_e32 v[26:27], s[12:13], v[24:25]
	v_mul_f64_e32 v[24:25], s[10:11], v[24:25]
	s_delay_alu instid0(VALU_DEP_2) | instskip(NEXT) | instid1(VALU_DEP_2)
	v_fma_f64 v[26:27], s[10:11], v[22:23], -v[26:27]
	v_fmac_f64_e32 v[24:25], s[12:13], v[22:23]
	s_delay_alu instid0(VALU_DEP_2) | instskip(NEXT) | instid1(VALU_DEP_2)
	v_add_f64_e32 v[22:23], v[2:3], v[26:27]
	v_add_f64_e32 v[24:25], v[4:5], v[24:25]
	global_store_b128 v[20:21], v[22:25], off
.LBB140_34:                             ;   in Loop: Header=BB140_7 Depth=1
	s_and_not1_b32 vcc_lo, exec_lo, s21
	s_cbranch_vccnz .LBB140_6
; %bb.35:                               ;   in Loop: Header=BB140_7 Depth=1
	global_store_b128 v[20:21], v[2:5], off
	s_branch .LBB140_6
.LBB140_36:
.LBB140_37:
	s_sendmsg sendmsg(MSG_DEALLOC_VGPRS)
	s_endpgm
	.section	.rodata,"a",@progbits
	.p2align	6, 0x0
	.amdhsa_kernel _ZL29rocblas_internal_gemmt_kernelIiLi16ELi32ELi8ELc84ELc67ELc76ELb0ELb1E19rocblas_complex_numIdES1_PKS1_PS1_EviT_T9_T10_S5_lS7_S5_lS6_T11_S5_li
		.amdhsa_group_segment_fixed_size 8192
		.amdhsa_private_segment_fixed_size 0
		.amdhsa_kernarg_size 116
		.amdhsa_user_sgpr_count 2
		.amdhsa_user_sgpr_dispatch_ptr 0
		.amdhsa_user_sgpr_queue_ptr 0
		.amdhsa_user_sgpr_kernarg_segment_ptr 1
		.amdhsa_user_sgpr_dispatch_id 0
		.amdhsa_user_sgpr_kernarg_preload_length 0
		.amdhsa_user_sgpr_kernarg_preload_offset 0
		.amdhsa_user_sgpr_private_segment_size 0
		.amdhsa_wavefront_size32 1
		.amdhsa_uses_dynamic_stack 0
		.amdhsa_enable_private_segment 0
		.amdhsa_system_sgpr_workgroup_id_x 1
		.amdhsa_system_sgpr_workgroup_id_y 1
		.amdhsa_system_sgpr_workgroup_id_z 1
		.amdhsa_system_sgpr_workgroup_info 0
		.amdhsa_system_vgpr_workitem_id 1
		.amdhsa_next_free_vgpr 130
		.amdhsa_next_free_sgpr 41
		.amdhsa_named_barrier_count 0
		.amdhsa_reserve_vcc 1
		.amdhsa_float_round_mode_32 0
		.amdhsa_float_round_mode_16_64 0
		.amdhsa_float_denorm_mode_32 3
		.amdhsa_float_denorm_mode_16_64 3
		.amdhsa_fp16_overflow 0
		.amdhsa_memory_ordered 1
		.amdhsa_forward_progress 1
		.amdhsa_inst_pref_size 23
		.amdhsa_round_robin_scheduling 0
		.amdhsa_exception_fp_ieee_invalid_op 0
		.amdhsa_exception_fp_denorm_src 0
		.amdhsa_exception_fp_ieee_div_zero 0
		.amdhsa_exception_fp_ieee_overflow 0
		.amdhsa_exception_fp_ieee_underflow 0
		.amdhsa_exception_fp_ieee_inexact 0
		.amdhsa_exception_int_div_zero 0
	.end_amdhsa_kernel
	.section	.text._ZL29rocblas_internal_gemmt_kernelIiLi16ELi32ELi8ELc84ELc67ELc76ELb0ELb1E19rocblas_complex_numIdES1_PKS1_PS1_EviT_T9_T10_S5_lS7_S5_lS6_T11_S5_li,"axG",@progbits,_ZL29rocblas_internal_gemmt_kernelIiLi16ELi32ELi8ELc84ELc67ELc76ELb0ELb1E19rocblas_complex_numIdES1_PKS1_PS1_EviT_T9_T10_S5_lS7_S5_lS6_T11_S5_li,comdat
.Lfunc_end140:
	.size	_ZL29rocblas_internal_gemmt_kernelIiLi16ELi32ELi8ELc84ELc67ELc76ELb0ELb1E19rocblas_complex_numIdES1_PKS1_PS1_EviT_T9_T10_S5_lS7_S5_lS6_T11_S5_li, .Lfunc_end140-_ZL29rocblas_internal_gemmt_kernelIiLi16ELi32ELi8ELc84ELc67ELc76ELb0ELb1E19rocblas_complex_numIdES1_PKS1_PS1_EviT_T9_T10_S5_lS7_S5_lS6_T11_S5_li
                                        ; -- End function
	.set _ZL29rocblas_internal_gemmt_kernelIiLi16ELi32ELi8ELc84ELc67ELc76ELb0ELb1E19rocblas_complex_numIdES1_PKS1_PS1_EviT_T9_T10_S5_lS7_S5_lS6_T11_S5_li.num_vgpr, 130
	.set _ZL29rocblas_internal_gemmt_kernelIiLi16ELi32ELi8ELc84ELc67ELc76ELb0ELb1E19rocblas_complex_numIdES1_PKS1_PS1_EviT_T9_T10_S5_lS7_S5_lS6_T11_S5_li.num_agpr, 0
	.set _ZL29rocblas_internal_gemmt_kernelIiLi16ELi32ELi8ELc84ELc67ELc76ELb0ELb1E19rocblas_complex_numIdES1_PKS1_PS1_EviT_T9_T10_S5_lS7_S5_lS6_T11_S5_li.numbered_sgpr, 41
	.set _ZL29rocblas_internal_gemmt_kernelIiLi16ELi32ELi8ELc84ELc67ELc76ELb0ELb1E19rocblas_complex_numIdES1_PKS1_PS1_EviT_T9_T10_S5_lS7_S5_lS6_T11_S5_li.num_named_barrier, 0
	.set _ZL29rocblas_internal_gemmt_kernelIiLi16ELi32ELi8ELc84ELc67ELc76ELb0ELb1E19rocblas_complex_numIdES1_PKS1_PS1_EviT_T9_T10_S5_lS7_S5_lS6_T11_S5_li.private_seg_size, 0
	.set _ZL29rocblas_internal_gemmt_kernelIiLi16ELi32ELi8ELc84ELc67ELc76ELb0ELb1E19rocblas_complex_numIdES1_PKS1_PS1_EviT_T9_T10_S5_lS7_S5_lS6_T11_S5_li.uses_vcc, 1
	.set _ZL29rocblas_internal_gemmt_kernelIiLi16ELi32ELi8ELc84ELc67ELc76ELb0ELb1E19rocblas_complex_numIdES1_PKS1_PS1_EviT_T9_T10_S5_lS7_S5_lS6_T11_S5_li.uses_flat_scratch, 0
	.set _ZL29rocblas_internal_gemmt_kernelIiLi16ELi32ELi8ELc84ELc67ELc76ELb0ELb1E19rocblas_complex_numIdES1_PKS1_PS1_EviT_T9_T10_S5_lS7_S5_lS6_T11_S5_li.has_dyn_sized_stack, 0
	.set _ZL29rocblas_internal_gemmt_kernelIiLi16ELi32ELi8ELc84ELc67ELc76ELb0ELb1E19rocblas_complex_numIdES1_PKS1_PS1_EviT_T9_T10_S5_lS7_S5_lS6_T11_S5_li.has_recursion, 0
	.set _ZL29rocblas_internal_gemmt_kernelIiLi16ELi32ELi8ELc84ELc67ELc76ELb0ELb1E19rocblas_complex_numIdES1_PKS1_PS1_EviT_T9_T10_S5_lS7_S5_lS6_T11_S5_li.has_indirect_call, 0
	.section	.AMDGPU.csdata,"",@progbits
; Kernel info:
; codeLenInByte = 2920
; TotalNumSgprs: 43
; NumVgprs: 130
; ScratchSize: 0
; MemoryBound: 1
; FloatMode: 240
; IeeeMode: 1
; LDSByteSize: 8192 bytes/workgroup (compile time only)
; SGPRBlocks: 0
; VGPRBlocks: 8
; NumSGPRsForWavesPerEU: 43
; NumVGPRsForWavesPerEU: 130
; NamedBarCnt: 0
; Occupancy: 7
; WaveLimiterHint : 0
; COMPUTE_PGM_RSRC2:SCRATCH_EN: 0
; COMPUTE_PGM_RSRC2:USER_SGPR: 2
; COMPUTE_PGM_RSRC2:TRAP_HANDLER: 0
; COMPUTE_PGM_RSRC2:TGID_X_EN: 1
; COMPUTE_PGM_RSRC2:TGID_Y_EN: 1
; COMPUTE_PGM_RSRC2:TGID_Z_EN: 1
; COMPUTE_PGM_RSRC2:TIDIG_COMP_CNT: 1
	.section	.text._ZL29rocblas_internal_gemmt_kernelIiLi16ELi32ELi8ELc67ELc78ELc76ELb1ELb0E19rocblas_complex_numIdES1_PKS1_PS1_EviT_T9_T10_S5_lS7_S5_lS6_T11_S5_li,"axG",@progbits,_ZL29rocblas_internal_gemmt_kernelIiLi16ELi32ELi8ELc67ELc78ELc76ELb1ELb0E19rocblas_complex_numIdES1_PKS1_PS1_EviT_T9_T10_S5_lS7_S5_lS6_T11_S5_li,comdat
	.globl	_ZL29rocblas_internal_gemmt_kernelIiLi16ELi32ELi8ELc67ELc78ELc76ELb1ELb0E19rocblas_complex_numIdES1_PKS1_PS1_EviT_T9_T10_S5_lS7_S5_lS6_T11_S5_li ; -- Begin function _ZL29rocblas_internal_gemmt_kernelIiLi16ELi32ELi8ELc67ELc78ELc76ELb1ELb0E19rocblas_complex_numIdES1_PKS1_PS1_EviT_T9_T10_S5_lS7_S5_lS6_T11_S5_li
	.p2align	8
	.type	_ZL29rocblas_internal_gemmt_kernelIiLi16ELi32ELi8ELc67ELc78ELc76ELb1ELb0E19rocblas_complex_numIdES1_PKS1_PS1_EviT_T9_T10_S5_lS7_S5_lS6_T11_S5_li,@function
_ZL29rocblas_internal_gemmt_kernelIiLi16ELi32ELi8ELc67ELc78ELc76ELb1ELb0E19rocblas_complex_numIdES1_PKS1_PS1_EviT_T9_T10_S5_lS7_S5_lS6_T11_S5_li: ; @_ZL29rocblas_internal_gemmt_kernelIiLi16ELi32ELi8ELc67ELc78ELc76ELb1ELb0E19rocblas_complex_numIdES1_PKS1_PS1_EviT_T9_T10_S5_lS7_S5_lS6_T11_S5_li
; %bb.0:
	s_clause 0x2
	s_load_b256 s[8:15], s[0:1], 0x40
	s_load_b64 s[6:7], s[0:1], 0x0
	s_load_b128 s[16:19], s[0:1], 0x8
	s_wait_kmcnt 0x0
	v_cmp_eq_f64_e64 s2, s[10:11], 1.0
	v_cmp_eq_f64_e64 s33, s[12:13], 0
	s_and_b32 s2, s2, s33
	s_delay_alu instid0(SALU_CYCLE_1)
	s_and_not1_b32 vcc_lo, exec_lo, s2
	s_mov_b32 s2, -1
	s_cbranch_vccnz .LBB141_3
; %bb.1:
	s_cmp_lg_u32 s7, 0
	s_cbranch_scc0 .LBB141_36
; %bb.2:
	v_cmp_neq_f64_e64 s2, s[16:17], 0
	v_cmp_neq_f64_e64 s3, s[18:19], 0
	s_or_b32 s2, s2, s3
.LBB141_3:
	s_delay_alu instid0(SALU_CYCLE_1)
	s_and_b32 vcc_lo, exec_lo, s2
	s_cbranch_vccz .LBB141_37
; %bb.4:
	s_load_b32 s27, s[0:1], 0x70
	s_bfe_u32 s2, ttmp6, 0x40014
	s_lshr_b32 s3, ttmp7, 16
	s_add_co_i32 s2, s2, 1
	s_bfe_u32 s4, ttmp6, 0x40008
	s_mul_i32 s2, s3, s2
	s_getreg_b32 s34, hwreg(HW_REG_IB_STS2, 6, 4)
	s_add_co_i32 s4, s4, s2
	s_cmp_eq_u32 s34, 0
	s_mov_b32 s29, 0
	s_cselect_b32 s28, s3, s4
	s_wait_kmcnt 0x0
	s_cmp_ge_u32 s28, s27
	s_cbranch_scc1 .LBB141_37
; %bb.5:
	s_clause 0x2
	s_load_b96 s[24:26], s[0:1], 0x18
	s_load_b32 s2, s[0:1], 0x38
	s_load_b32 s4, s[0:1], 0x60
	v_and_b32_e32 v1, 0x3ff, v0
	v_bfe_u32 v7, v0, 10, 10
	s_clause 0x1
	s_load_b128 s[20:23], s[0:1], 0x28
	s_load_b64 s[30:31], s[0:1], 0x68
	s_wait_xcnt 0x0
	s_bfe_u32 s1, ttmp6, 0x4000c
	s_bfe_u32 s3, ttmp6, 0x40010
	s_and_b32 s37, ttmp7, 0xffff
	s_add_co_i32 s1, s1, 1
	s_add_co_i32 s3, s3, 1
	v_lshl_add_u32 v3, v7, 4, v1
	s_and_b32 s0, ttmp6, 15
	s_mul_i32 s38, ttmp9, s1
	s_mul_i32 s39, s37, s3
	s_bfe_u32 s40, ttmp6, 0x40004
	s_add_co_i32 s0, s0, s38
	s_add_co_i32 s40, s40, s39
	v_dual_lshrrev_b32 v38, 5, v3 :: v_dual_bitop2_b32 v6, 31, v3 bitop3:0x40
	s_wait_kmcnt 0x0
	s_ashr_i32 s1, s26, 31
	s_ashr_i32 s3, s2, 31
	;; [unrolled: 1-line block ×3, first 2 shown]
	s_cmp_eq_u32 s34, 0
	v_cmp_neq_f64_e64 s35, s[16:17], 0
	s_cselect_b32 s0, ttmp9, s0
	s_cselect_b32 s34, s37, s40
	s_lshl_b32 s37, s0, 5
	s_mov_b32 s0, s26
	v_dual_lshrrev_b32 v8, 3, v3 :: v_dual_bitop2_b32 v2, s37, v6 bitop3:0x54
	s_lshl_b32 s26, s34, 5
	s_delay_alu instid0(SALU_CYCLE_1) | instskip(NEXT) | instid1(VALU_DEP_2)
	v_dual_add_nc_u32 v16, s26, v7 :: v_dual_bitop2_b32 v39, 7, v0 bitop3:0x40
	v_dual_ashrrev_i32 v3, 31, v2 :: v_dual_add_nc_u32 v4, s26, v8
	v_cmp_neq_f64_e64 s36, s[18:19], 0
	v_lshlrev_b32_e32 v0, 4, v6
	v_cmp_neq_f64_e64 s34, s[10:11], 0
	s_delay_alu instid0(VALU_DEP_4) | instskip(SKIP_3) | instid1(VALU_DEP_3)
	v_mul_u64_e32 v[14:15], s[0:1], v[2:3]
	v_dual_ashrrev_i32 v5, 31, v4 :: v_dual_lshlrev_b32 v18, 4, v39
	v_cmp_gt_i32_e64 s0, s6, v2
	v_dual_add_nc_u32 v2, 16, v16 :: v_dual_ashrrev_i32 v17, 31, v16
	v_mul_u64_e32 v[20:21], s[2:3], v[4:5]
	s_delay_alu instid0(VALU_DEP_4) | instskip(SKIP_1) | instid1(VALU_DEP_4)
	v_lshl_or_b32 v5, v8, 7, v18
	v_lshl_or_b32 v40, v38, 9, v0
	v_ashrrev_i32_e32 v3, 31, v2
	v_mul_u64_e32 v[8:9], s[4:5], v[16:17]
	s_delay_alu instid0(VALU_DEP_4) | instskip(SKIP_1) | instid1(VALU_DEP_4)
	v_dual_mov_b32 v0, 0 :: v_dual_add_nc_u32 v41, 0x1000, v5
	v_cmp_gt_i32_e32 vcc_lo, s6, v4
	v_mul_u64_e32 v[10:11], s[4:5], v[2:3]
	s_delay_alu instid0(VALU_DEP_3) | instskip(SKIP_2) | instid1(VALU_DEP_2)
	v_dual_mov_b32 v5, v0 :: v_dual_lshlrev_b32 v4, 4, v38
	v_dual_lshlrev_b32 v42, 4, v1 :: v_dual_add_nc_u32 v6, s37, v1
	v_lshl_add_u32 v43, v7, 7, 0x1000
	v_dual_add_nc_u32 v12, 16, v6 :: v_dual_ashrrev_i32 v7, 31, v6
	v_mov_b32_e32 v19, v0
	v_cmp_le_i32_e64 s1, v16, v6
	v_cmp_gt_i32_e64 s2, s6, v6
	v_cmp_le_i32_e64 s4, v2, v6
	s_or_b32 s35, s35, s36
	v_cmp_le_i32_e64 s5, v2, v12
	v_ashrrev_i32_e32 v13, 31, v12
	v_lshl_add_u64 v[4:5], v[14:15], 4, v[4:5]
	s_cmp_gt_i32 s7, 0
	s_cselect_b32 s36, -1, 0
	s_xor_b32 s3, s33, -1
	s_delay_alu instid0(VALU_DEP_1)
	v_add_nc_u64_e32 v[4:5], s[24:25], v[4:5]
	v_lshl_add_u64 v[2:3], v[20:21], 4, v[18:19]
	s_or_b32 s26, s34, s3
	s_and_b32 s33, s1, s2
	v_cmp_le_i32_e64 s1, v16, v12
	v_cmp_gt_i32_e64 s3, s6, v12
	v_add_nc_u64_e32 v[16:17], s[22:23], v[2:3]
	v_add_nc_u64_e32 v[14:15], 8, v[4:5]
	s_and_b32 s6, s4, s2
	s_and_b32 s22, s35, s36
	;; [unrolled: 1-line block ×4, first 2 shown]
	s_lshl_b64 s[2:3], s[20:21], 4
	s_lshl_b64 s[4:5], s[8:9], 4
	s_xor_b32 s20, vcc_lo, -1
	s_branch .LBB141_7
.LBB141_6:                              ;   in Loop: Header=BB141_7 Depth=1
	s_wait_xcnt 0x0
	s_or_b32 exec_lo, exec_lo, s8
	s_add_co_i32 s28, s28, 0x10000
	s_delay_alu instid0(SALU_CYCLE_1)
	s_cmp_lt_u32 s28, s27
	s_cbranch_scc0 .LBB141_37
.LBB141_7:                              ; =>This Loop Header: Depth=1
                                        ;     Child Loop BB141_10 Depth 2
	v_mov_b64_e32 v[34:35], 0
	v_mov_b64_e32 v[36:37], 0
	;; [unrolled: 1-line block ×8, first 2 shown]
	s_and_not1_b32 vcc_lo, exec_lo, s22
	s_cbranch_vccnz .LBB141_16
; %bb.8:                                ;   in Loop: Header=BB141_7 Depth=1
	v_mad_nc_u64_u32 v[22:23], s2, s28, v[14:15]
	v_mad_nc_u64_u32 v[24:25], s4, s28, v[16:17]
	v_mov_b64_e32 v[18:19], 0
	v_mov_b64_e32 v[20:21], 0
	v_mov_b64_e32 v[28:29], 0
	v_mov_b64_e32 v[26:27], 0
	v_mov_b64_e32 v[32:33], 0
	v_mov_b64_e32 v[30:31], 0
	v_mov_b64_e32 v[36:37], 0
	v_mov_b64_e32 v[34:35], 0
	s_mov_b32 s8, 0
	v_mad_u32 v23, s3, s28, v23
	v_mad_u32 v25, s5, s28, v25
	s_branch .LBB141_10
.LBB141_9:                              ;   in Loop: Header=BB141_10 Depth=2
	s_wait_xcnt 0x0
	s_or_b32 exec_lo, exec_lo, s9
	s_wait_dscnt 0x0
	s_barrier_signal -1
	s_barrier_wait -1
	ds_load_b128 v[2:5], v43
	ds_load_b128 v[44:47], v42
	ds_load_b128 v[48:51], v42 offset:256
	ds_load_b128 v[52:55], v43 offset:2048
	;; [unrolled: 1-line block ×10, first 2 shown]
	v_add_nc_u64_e32 v[22:23], 0x80, v[22:23]
	v_add_nc_u64_e32 v[24:25], 0x80, v[24:25]
	s_add_co_i32 s8, s8, 8
	s_delay_alu instid0(SALU_CYCLE_1)
	s_cmp_lt_i32 s8, s7
	s_wait_dscnt 0xa
	v_mul_f64_e32 v[88:89], v[4:5], v[46:47]
	v_mul_f64_e32 v[90:91], v[2:3], v[46:47]
	s_wait_dscnt 0x9
	v_mul_f64_e32 v[92:93], v[4:5], v[50:51]
	v_mul_f64_e32 v[94:95], v[2:3], v[50:51]
	s_wait_dscnt 0x8
	v_mul_f64_e32 v[96:97], v[54:55], v[46:47]
	v_mul_f64_e32 v[98:99], v[52:53], v[46:47]
	v_mul_f64_e32 v[46:47], v[54:55], v[50:51]
	v_mul_f64_e32 v[100:101], v[52:53], v[50:51]
	s_wait_dscnt 0x6
	v_mul_f64_e32 v[102:103], v[58:59], v[62:63]
	v_mul_f64_e32 v[104:105], v[56:57], v[62:63]
	s_wait_dscnt 0x5
	v_mul_f64_e32 v[106:107], v[58:59], v[66:67]
	v_mul_f64_e32 v[108:109], v[56:57], v[66:67]
	s_wait_dscnt 0x4
	v_mul_f64_e32 v[110:111], v[70:71], v[62:63]
	v_mul_f64_e32 v[62:63], v[68:69], v[62:63]
	v_mul_f64_e32 v[112:113], v[70:71], v[66:67]
	v_mul_f64_e32 v[66:67], v[68:69], v[66:67]
	;; [unrolled: 11-line block ×3, first 2 shown]
	v_fma_f64 v[88:89], v[2:3], v[44:45], -v[88:89]
	v_fmac_f64_e32 v[90:91], v[4:5], v[44:45]
	v_fma_f64 v[92:93], v[2:3], v[48:49], -v[92:93]
	v_fmac_f64_e32 v[94:95], v[4:5], v[48:49]
	v_fma_f64 v[96:97], v[52:53], v[44:45], -v[96:97]
	v_fmac_f64_e32 v[98:99], v[54:55], v[44:45]
	v_fma_f64 v[114:115], v[52:53], v[48:49], -v[46:47]
	v_fmac_f64_e32 v[100:101], v[54:55], v[48:49]
	v_fma_f64 v[102:103], v[56:57], v[60:61], -v[102:103]
	v_fmac_f64_e32 v[104:105], v[58:59], v[60:61]
	v_fma_f64 v[56:57], v[56:57], v[64:65], -v[106:107]
	v_fmac_f64_e32 v[108:109], v[58:59], v[64:65]
	v_fma_f64 v[58:59], v[68:69], v[60:61], -v[110:111]
	v_fmac_f64_e32 v[62:63], v[70:71], v[60:61]
	v_fma_f64 v[60:61], v[68:69], v[64:65], -v[112:113]
	v_fmac_f64_e32 v[66:67], v[70:71], v[64:65]
	ds_load_b128 v[2:5], v43 offset:48
	ds_load_b128 v[44:47], v43 offset:2096
	ds_load_b128 v[48:51], v42 offset:1536
	ds_load_b128 v[52:55], v42 offset:1792
	v_fma_f64 v[116:117], v[72:73], v[76:77], -v[116:117]
	v_fmac_f64_e32 v[118:119], v[74:75], v[76:77]
	v_fma_f64 v[72:73], v[72:73], v[80:81], -v[120:121]
	v_fmac_f64_e32 v[122:123], v[74:75], v[80:81]
	;; [unrolled: 2-line block ×4, first 2 shown]
	v_add_f64_e32 v[64:65], v[34:35], v[88:89]
	v_add_f64_e32 v[68:69], v[90:91], v[36:37]
	;; [unrolled: 1-line block ×8, first 2 shown]
	s_wait_dscnt 0x1
	v_mul_f64_e32 v[98:99], v[4:5], v[50:51]
	v_mul_f64_e32 v[100:101], v[2:3], v[50:51]
	s_wait_dscnt 0x0
	v_mul_f64_e32 v[106:107], v[4:5], v[54:55]
	v_mul_f64_e32 v[110:111], v[2:3], v[54:55]
	;; [unrolled: 1-line block ×6, first 2 shown]
	ds_load_b128 v[18:21], v43 offset:64
	ds_load_b128 v[26:29], v42 offset:2048
	;; [unrolled: 1-line block ×4, first 2 shown]
	v_add_f64_e32 v[80:81], v[64:65], v[102:103]
	v_add_f64_e32 v[84:85], v[104:105], v[68:69]
	;; [unrolled: 1-line block ×8, first 2 shown]
	s_wait_dscnt 0x2
	v_mul_f64_e32 v[96:97], v[20:21], v[28:29]
	v_mul_f64_e32 v[102:103], v[18:19], v[28:29]
	s_wait_dscnt 0x1
	v_mul_f64_e32 v[104:105], v[20:21], v[32:33]
	v_mul_f64_e32 v[108:109], v[18:19], v[32:33]
	;; [unrolled: 3-line block ×3, first 2 shown]
	v_mul_f64_e32 v[28:29], v[36:37], v[32:33]
	v_mul_f64_e32 v[126:127], v[34:35], v[32:33]
	v_fma_f64 v[32:33], v[2:3], v[48:49], -v[98:99]
	v_fmac_f64_e32 v[100:101], v[4:5], v[48:49]
	v_fma_f64 v[98:99], v[2:3], v[52:53], -v[106:107]
	v_fmac_f64_e32 v[110:111], v[4:5], v[52:53]
	;; [unrolled: 2-line block ×4, first 2 shown]
	ds_load_b128 v[54:57], v43 offset:80
	ds_load_b128 v[58:61], v43 offset:2128
	;; [unrolled: 1-line block ×4, first 2 shown]
	v_add_f64_e32 v[52:53], v[80:81], v[116:117]
	v_add_f64_e32 v[80:81], v[118:119], v[84:85]
	;; [unrolled: 1-line block ×8, first 2 shown]
	v_fma_f64 v[96:97], v[18:19], v[26:27], -v[96:97]
	v_fmac_f64_e32 v[102:103], v[20:21], v[26:27]
	v_fma_f64 v[104:105], v[18:19], v[30:31], -v[104:105]
	s_wait_dscnt 0x1
	v_mul_f64_e32 v[88:89], v[56:57], v[64:65]
	v_mul_f64_e32 v[90:91], v[54:55], v[64:65]
	s_wait_dscnt 0x0
	v_mul_f64_e32 v[92:93], v[56:57], v[68:69]
	v_mul_f64_e32 v[94:95], v[54:55], v[68:69]
	;; [unrolled: 1-line block ×6, first 2 shown]
	v_fmac_f64_e32 v[108:109], v[20:21], v[30:31]
	v_fma_f64 v[120:121], v[34:35], v[26:27], -v[120:121]
	v_fmac_f64_e32 v[124:125], v[36:37], v[26:27]
	v_fma_f64 v[122:123], v[34:35], v[30:31], -v[28:29]
	v_fmac_f64_e32 v[126:127], v[36:37], v[30:31]
	ds_load_b128 v[2:5], v43 offset:96
	ds_load_b128 v[44:47], v42 offset:3072
	;; [unrolled: 1-line block ×4, first 2 shown]
	v_add_f64_e32 v[52:53], v[52:53], v[32:33]
	v_add_f64_e32 v[80:81], v[100:101], v[80:81]
	;; [unrolled: 1-line block ×8, first 2 shown]
	ds_load_b128 v[18:21], v43 offset:112
	ds_load_b128 v[26:29], v43 offset:2160
	;; [unrolled: 1-line block ×4, first 2 shown]
	s_wait_dscnt 0x0
	v_mul_f64_e32 v[98:99], v[4:5], v[46:47]
	v_mul_f64_e32 v[100:101], v[2:3], v[46:47]
	;; [unrolled: 1-line block ×8, first 2 shown]
	v_fma_f64 v[88:89], v[54:55], v[62:63], -v[88:89]
	v_fmac_f64_e32 v[90:91], v[56:57], v[62:63]
	v_fma_f64 v[54:55], v[54:55], v[66:67], -v[92:93]
	v_fmac_f64_e32 v[94:95], v[56:57], v[66:67]
	;; [unrolled: 2-line block ×4, first 2 shown]
	s_barrier_signal -1
	s_barrier_wait -1
	v_mul_f64_e32 v[92:93], v[18:19], v[36:37]
	v_add_f64_e32 v[52:53], v[52:53], v[96:97]
	v_add_f64_e32 v[60:61], v[102:103], v[80:81]
	;; [unrolled: 1-line block ×8, first 2 shown]
	v_mul_f64_e32 v[82:83], v[20:21], v[32:33]
	v_mul_f64_e32 v[84:85], v[18:19], v[32:33]
	;; [unrolled: 1-line block ×7, first 2 shown]
	v_fma_f64 v[36:37], v[2:3], v[44:45], -v[98:99]
	v_fmac_f64_e32 v[100:101], v[4:5], v[44:45]
	v_fma_f64 v[2:3], v[2:3], v[48:49], -v[106:107]
	v_fmac_f64_e32 v[110:111], v[4:5], v[48:49]
	;; [unrolled: 2-line block ×4, first 2 shown]
	v_fmac_f64_e32 v[92:93], v[20:21], v[34:35]
	v_add_f64_e32 v[48:49], v[52:53], v[88:89]
	v_add_f64_e32 v[52:53], v[90:91], v[60:61]
	;; [unrolled: 1-line block ×8, first 2 shown]
	v_fma_f64 v[66:67], v[18:19], v[30:31], -v[82:83]
	v_fmac_f64_e32 v[84:85], v[20:21], v[30:31]
	v_fma_f64 v[18:19], v[18:19], v[34:35], -v[86:87]
	v_fma_f64 v[20:21], v[26:27], v[30:31], -v[96:97]
	v_fmac_f64_e32 v[102:103], v[28:29], v[30:31]
	v_fma_f64 v[68:69], v[26:27], v[34:35], -v[32:33]
	v_fmac_f64_e32 v[104:105], v[28:29], v[34:35]
	v_add_f64_e32 v[26:27], v[48:49], v[36:37]
	v_add_f64_e32 v[28:29], v[100:101], v[52:53]
	;; [unrolled: 1-line block ×16, first 2 shown]
	s_cbranch_scc0 .LBB141_16
.LBB141_10:                             ;   Parent Loop BB141_7 Depth=1
                                        ; =>  This Inner Loop Header: Depth=2
	v_add_nc_u32_e32 v1, s8, v38
	v_mov_b64_e32 v[2:3], 0
	v_mov_b64_e32 v[4:5], 0
	s_delay_alu instid0(VALU_DEP_3) | instskip(SKIP_1) | instid1(SALU_CYCLE_1)
	v_cmp_gt_i32_e32 vcc_lo, s7, v1
	s_and_b32 s21, s0, vcc_lo
	s_and_saveexec_b32 s9, s21
	s_cbranch_execz .LBB141_12
; %bb.11:                               ;   in Loop: Header=BB141_10 Depth=2
	global_load_b128 v[2:5], v[22:23], off offset:-8
	s_wait_loadcnt 0x0
	v_xor_b32_e32 v5, 0x80000000, v5
.LBB141_12:                             ;   in Loop: Header=BB141_10 Depth=2
	s_wait_xcnt 0x0
	s_or_b32 exec_lo, exec_lo, s9
	v_add_nc_u32_e32 v1, s8, v39
	ds_store_b128 v40, v[2:5]
	v_cmp_le_i32_e32 vcc_lo, s7, v1
	s_or_b32 s9, vcc_lo, s20
	s_delay_alu instid0(SALU_CYCLE_1) | instskip(NEXT) | instid1(SALU_CYCLE_1)
	s_and_saveexec_b32 s21, s9
	s_xor_b32 s9, exec_lo, s21
; %bb.13:                               ;   in Loop: Header=BB141_10 Depth=2
	v_dual_mov_b32 v1, v0 :: v_dual_mov_b32 v2, v0
	v_mov_b32_e32 v3, v0
	ds_store_b128 v41, v[0:3]
; %bb.14:                               ;   in Loop: Header=BB141_10 Depth=2
	s_and_not1_saveexec_b32 s9, s9
	s_cbranch_execz .LBB141_9
; %bb.15:                               ;   in Loop: Header=BB141_10 Depth=2
	global_load_b128 v[2:5], v[24:25], off
	s_wait_loadcnt 0x0
	ds_store_2addr_b64 v41, v[2:3], v[4:5] offset1:1
	s_branch .LBB141_9
.LBB141_16:                             ;   in Loop: Header=BB141_7 Depth=1
	s_mul_u64 s[8:9], s[30:31], s[28:29]
	s_delay_alu instid0(SALU_CYCLE_1) | instskip(NEXT) | instid1(SALU_CYCLE_1)
	s_lshl_b64 s[8:9], s[8:9], 4
	s_add_nc_u64 s[8:9], s[14:15], s[8:9]
	s_delay_alu instid0(SALU_CYCLE_1)
	v_lshl_add_u64 v[22:23], v[8:9], 4, s[8:9]
	s_and_saveexec_b32 s21, s33
	s_cbranch_execz .LBB141_21
; %bb.17:                               ;   in Loop: Header=BB141_7 Depth=1
	v_mul_f64_e32 v[2:3], s[18:19], v[36:37]
	v_mul_f64_e32 v[4:5], s[16:17], v[36:37]
	v_lshl_add_u64 v[24:25], v[6:7], 4, v[22:23]
	s_and_b32 vcc_lo, exec_lo, s26
	s_mov_b32 s23, -1
	s_delay_alu instid0(VALU_DEP_3) | instskip(NEXT) | instid1(VALU_DEP_3)
	v_fma_f64 v[2:3], s[16:17], v[34:35], -v[2:3]
	v_fmac_f64_e32 v[4:5], s[18:19], v[34:35]
	s_cbranch_vccz .LBB141_19
; %bb.18:                               ;   in Loop: Header=BB141_7 Depth=1
	global_load_b128 v[34:37], v[24:25], off
	s_mov_b32 s23, 0
	s_wait_loadcnt 0x0
	v_mul_f64_e32 v[44:45], s[12:13], v[36:37]
	v_mul_f64_e32 v[36:37], s[10:11], v[36:37]
	s_delay_alu instid0(VALU_DEP_2) | instskip(NEXT) | instid1(VALU_DEP_2)
	v_fma_f64 v[44:45], s[10:11], v[34:35], -v[44:45]
	v_fmac_f64_e32 v[36:37], s[12:13], v[34:35]
	s_delay_alu instid0(VALU_DEP_2) | instskip(NEXT) | instid1(VALU_DEP_2)
	v_add_f64_e32 v[34:35], v[2:3], v[44:45]
	v_add_f64_e32 v[36:37], v[4:5], v[36:37]
	global_store_b128 v[24:25], v[34:37], off
.LBB141_19:                             ;   in Loop: Header=BB141_7 Depth=1
	s_and_not1_b32 vcc_lo, exec_lo, s23
	s_cbranch_vccnz .LBB141_21
; %bb.20:                               ;   in Loop: Header=BB141_7 Depth=1
	global_store_b128 v[24:25], v[2:5], off
.LBB141_21:                             ;   in Loop: Header=BB141_7 Depth=1
	s_wait_xcnt 0x0
	s_or_b32 exec_lo, exec_lo, s21
	s_and_saveexec_b32 s21, s1
	s_cbranch_execz .LBB141_26
; %bb.22:                               ;   in Loop: Header=BB141_7 Depth=1
	v_mul_f64_e32 v[2:3], s[18:19], v[32:33]
	v_mul_f64_e32 v[4:5], s[16:17], v[32:33]
	v_lshl_add_u64 v[22:23], v[12:13], 4, v[22:23]
	s_and_not1_b32 vcc_lo, exec_lo, s26
	s_mov_b32 s23, -1
	s_delay_alu instid0(VALU_DEP_3) | instskip(NEXT) | instid1(VALU_DEP_3)
	v_fma_f64 v[2:3], s[16:17], v[30:31], -v[2:3]
	v_fmac_f64_e32 v[4:5], s[18:19], v[30:31]
	s_cbranch_vccnz .LBB141_24
; %bb.23:                               ;   in Loop: Header=BB141_7 Depth=1
	global_load_b128 v[30:33], v[22:23], off
	s_mov_b32 s23, 0
	s_wait_loadcnt 0x0
	v_mul_f64_e32 v[24:25], s[12:13], v[32:33]
	v_mul_f64_e32 v[32:33], s[10:11], v[32:33]
	s_delay_alu instid0(VALU_DEP_2) | instskip(NEXT) | instid1(VALU_DEP_2)
	v_fma_f64 v[24:25], s[10:11], v[30:31], -v[24:25]
	v_fmac_f64_e32 v[32:33], s[12:13], v[30:31]
	s_delay_alu instid0(VALU_DEP_2) | instskip(NEXT) | instid1(VALU_DEP_2)
	v_add_f64_e32 v[30:31], v[2:3], v[24:25]
	v_add_f64_e32 v[32:33], v[4:5], v[32:33]
	global_store_b128 v[22:23], v[30:33], off
.LBB141_24:                             ;   in Loop: Header=BB141_7 Depth=1
	s_and_not1_b32 vcc_lo, exec_lo, s23
	s_cbranch_vccnz .LBB141_26
; %bb.25:                               ;   in Loop: Header=BB141_7 Depth=1
	global_store_b128 v[22:23], v[2:5], off
.LBB141_26:                             ;   in Loop: Header=BB141_7 Depth=1
	s_wait_xcnt 0x0
	s_or_b32 exec_lo, exec_lo, s21
	v_lshl_add_u64 v[22:23], v[10:11], 4, s[8:9]
	s_and_saveexec_b32 s8, s6
	s_cbranch_execz .LBB141_31
; %bb.27:                               ;   in Loop: Header=BB141_7 Depth=1
	v_mul_f64_e32 v[2:3], s[18:19], v[28:29]
	v_mul_f64_e32 v[4:5], s[16:17], v[28:29]
	v_lshl_add_u64 v[24:25], v[6:7], 4, v[22:23]
	s_and_not1_b32 vcc_lo, exec_lo, s26
	s_mov_b32 s9, -1
	s_delay_alu instid0(VALU_DEP_3) | instskip(NEXT) | instid1(VALU_DEP_3)
	v_fma_f64 v[2:3], s[16:17], v[26:27], -v[2:3]
	v_fmac_f64_e32 v[4:5], s[18:19], v[26:27]
	s_cbranch_vccnz .LBB141_29
; %bb.28:                               ;   in Loop: Header=BB141_7 Depth=1
	global_load_b128 v[26:29], v[24:25], off
	s_mov_b32 s9, 0
	s_wait_loadcnt 0x0
	v_mul_f64_e32 v[30:31], s[12:13], v[28:29]
	v_mul_f64_e32 v[28:29], s[10:11], v[28:29]
	s_delay_alu instid0(VALU_DEP_2) | instskip(NEXT) | instid1(VALU_DEP_2)
	v_fma_f64 v[30:31], s[10:11], v[26:27], -v[30:31]
	v_fmac_f64_e32 v[28:29], s[12:13], v[26:27]
	s_delay_alu instid0(VALU_DEP_2) | instskip(NEXT) | instid1(VALU_DEP_2)
	v_add_f64_e32 v[26:27], v[2:3], v[30:31]
	v_add_f64_e32 v[28:29], v[4:5], v[28:29]
	global_store_b128 v[24:25], v[26:29], off
.LBB141_29:                             ;   in Loop: Header=BB141_7 Depth=1
	s_and_not1_b32 vcc_lo, exec_lo, s9
	s_cbranch_vccnz .LBB141_31
; %bb.30:                               ;   in Loop: Header=BB141_7 Depth=1
	global_store_b128 v[24:25], v[2:5], off
.LBB141_31:                             ;   in Loop: Header=BB141_7 Depth=1
	s_wait_xcnt 0x0
	s_or_b32 exec_lo, exec_lo, s8
	s_and_saveexec_b32 s8, s24
	s_cbranch_execz .LBB141_6
; %bb.32:                               ;   in Loop: Header=BB141_7 Depth=1
	s_delay_alu instid0(VALU_DEP_3) | instskip(SKIP_4) | instid1(VALU_DEP_3)
	v_mul_f64_e32 v[2:3], s[18:19], v[18:19]
	v_mul_f64_e32 v[4:5], s[16:17], v[18:19]
	v_lshl_add_u64 v[18:19], v[12:13], 4, v[22:23]
	s_and_not1_b32 vcc_lo, exec_lo, s26
	s_mov_b32 s9, -1
	v_fma_f64 v[2:3], s[16:17], v[20:21], -v[2:3]
	s_delay_alu instid0(VALU_DEP_3)
	v_fmac_f64_e32 v[4:5], s[18:19], v[20:21]
	s_cbranch_vccnz .LBB141_34
; %bb.33:                               ;   in Loop: Header=BB141_7 Depth=1
	global_load_b128 v[20:23], v[18:19], off
	s_mov_b32 s9, 0
	s_wait_loadcnt 0x0
	v_mul_f64_e32 v[24:25], s[12:13], v[22:23]
	v_mul_f64_e32 v[22:23], s[10:11], v[22:23]
	s_delay_alu instid0(VALU_DEP_2) | instskip(NEXT) | instid1(VALU_DEP_2)
	v_fma_f64 v[24:25], s[10:11], v[20:21], -v[24:25]
	v_fmac_f64_e32 v[22:23], s[12:13], v[20:21]
	s_delay_alu instid0(VALU_DEP_2) | instskip(NEXT) | instid1(VALU_DEP_2)
	v_add_f64_e32 v[20:21], v[2:3], v[24:25]
	v_add_f64_e32 v[22:23], v[4:5], v[22:23]
	global_store_b128 v[18:19], v[20:23], off
.LBB141_34:                             ;   in Loop: Header=BB141_7 Depth=1
	s_and_not1_b32 vcc_lo, exec_lo, s9
	s_cbranch_vccnz .LBB141_6
; %bb.35:                               ;   in Loop: Header=BB141_7 Depth=1
	global_store_b128 v[18:19], v[2:5], off
	s_branch .LBB141_6
.LBB141_36:
.LBB141_37:
	s_sendmsg sendmsg(MSG_DEALLOC_VGPRS)
	s_endpgm
	.section	.rodata,"a",@progbits
	.p2align	6, 0x0
	.amdhsa_kernel _ZL29rocblas_internal_gemmt_kernelIiLi16ELi32ELi8ELc67ELc78ELc76ELb1ELb0E19rocblas_complex_numIdES1_PKS1_PS1_EviT_T9_T10_S5_lS7_S5_lS6_T11_S5_li
		.amdhsa_group_segment_fixed_size 8192
		.amdhsa_private_segment_fixed_size 0
		.amdhsa_kernarg_size 116
		.amdhsa_user_sgpr_count 2
		.amdhsa_user_sgpr_dispatch_ptr 0
		.amdhsa_user_sgpr_queue_ptr 0
		.amdhsa_user_sgpr_kernarg_segment_ptr 1
		.amdhsa_user_sgpr_dispatch_id 0
		.amdhsa_user_sgpr_kernarg_preload_length 0
		.amdhsa_user_sgpr_kernarg_preload_offset 0
		.amdhsa_user_sgpr_private_segment_size 0
		.amdhsa_wavefront_size32 1
		.amdhsa_uses_dynamic_stack 0
		.amdhsa_enable_private_segment 0
		.amdhsa_system_sgpr_workgroup_id_x 1
		.amdhsa_system_sgpr_workgroup_id_y 1
		.amdhsa_system_sgpr_workgroup_id_z 1
		.amdhsa_system_sgpr_workgroup_info 0
		.amdhsa_system_vgpr_workitem_id 1
		.amdhsa_next_free_vgpr 130
		.amdhsa_next_free_sgpr 41
		.amdhsa_named_barrier_count 0
		.amdhsa_reserve_vcc 1
		.amdhsa_float_round_mode_32 0
		.amdhsa_float_round_mode_16_64 0
		.amdhsa_float_denorm_mode_32 3
		.amdhsa_float_denorm_mode_16_64 3
		.amdhsa_fp16_overflow 0
		.amdhsa_memory_ordered 1
		.amdhsa_forward_progress 1
		.amdhsa_inst_pref_size 23
		.amdhsa_round_robin_scheduling 0
		.amdhsa_exception_fp_ieee_invalid_op 0
		.amdhsa_exception_fp_denorm_src 0
		.amdhsa_exception_fp_ieee_div_zero 0
		.amdhsa_exception_fp_ieee_overflow 0
		.amdhsa_exception_fp_ieee_underflow 0
		.amdhsa_exception_fp_ieee_inexact 0
		.amdhsa_exception_int_div_zero 0
	.end_amdhsa_kernel
	.section	.text._ZL29rocblas_internal_gemmt_kernelIiLi16ELi32ELi8ELc67ELc78ELc76ELb1ELb0E19rocblas_complex_numIdES1_PKS1_PS1_EviT_T9_T10_S5_lS7_S5_lS6_T11_S5_li,"axG",@progbits,_ZL29rocblas_internal_gemmt_kernelIiLi16ELi32ELi8ELc67ELc78ELc76ELb1ELb0E19rocblas_complex_numIdES1_PKS1_PS1_EviT_T9_T10_S5_lS7_S5_lS6_T11_S5_li,comdat
.Lfunc_end141:
	.size	_ZL29rocblas_internal_gemmt_kernelIiLi16ELi32ELi8ELc67ELc78ELc76ELb1ELb0E19rocblas_complex_numIdES1_PKS1_PS1_EviT_T9_T10_S5_lS7_S5_lS6_T11_S5_li, .Lfunc_end141-_ZL29rocblas_internal_gemmt_kernelIiLi16ELi32ELi8ELc67ELc78ELc76ELb1ELb0E19rocblas_complex_numIdES1_PKS1_PS1_EviT_T9_T10_S5_lS7_S5_lS6_T11_S5_li
                                        ; -- End function
	.set _ZL29rocblas_internal_gemmt_kernelIiLi16ELi32ELi8ELc67ELc78ELc76ELb1ELb0E19rocblas_complex_numIdES1_PKS1_PS1_EviT_T9_T10_S5_lS7_S5_lS6_T11_S5_li.num_vgpr, 130
	.set _ZL29rocblas_internal_gemmt_kernelIiLi16ELi32ELi8ELc67ELc78ELc76ELb1ELb0E19rocblas_complex_numIdES1_PKS1_PS1_EviT_T9_T10_S5_lS7_S5_lS6_T11_S5_li.num_agpr, 0
	.set _ZL29rocblas_internal_gemmt_kernelIiLi16ELi32ELi8ELc67ELc78ELc76ELb1ELb0E19rocblas_complex_numIdES1_PKS1_PS1_EviT_T9_T10_S5_lS7_S5_lS6_T11_S5_li.numbered_sgpr, 41
	.set _ZL29rocblas_internal_gemmt_kernelIiLi16ELi32ELi8ELc67ELc78ELc76ELb1ELb0E19rocblas_complex_numIdES1_PKS1_PS1_EviT_T9_T10_S5_lS7_S5_lS6_T11_S5_li.num_named_barrier, 0
	.set _ZL29rocblas_internal_gemmt_kernelIiLi16ELi32ELi8ELc67ELc78ELc76ELb1ELb0E19rocblas_complex_numIdES1_PKS1_PS1_EviT_T9_T10_S5_lS7_S5_lS6_T11_S5_li.private_seg_size, 0
	.set _ZL29rocblas_internal_gemmt_kernelIiLi16ELi32ELi8ELc67ELc78ELc76ELb1ELb0E19rocblas_complex_numIdES1_PKS1_PS1_EviT_T9_T10_S5_lS7_S5_lS6_T11_S5_li.uses_vcc, 1
	.set _ZL29rocblas_internal_gemmt_kernelIiLi16ELi32ELi8ELc67ELc78ELc76ELb1ELb0E19rocblas_complex_numIdES1_PKS1_PS1_EviT_T9_T10_S5_lS7_S5_lS6_T11_S5_li.uses_flat_scratch, 0
	.set _ZL29rocblas_internal_gemmt_kernelIiLi16ELi32ELi8ELc67ELc78ELc76ELb1ELb0E19rocblas_complex_numIdES1_PKS1_PS1_EviT_T9_T10_S5_lS7_S5_lS6_T11_S5_li.has_dyn_sized_stack, 0
	.set _ZL29rocblas_internal_gemmt_kernelIiLi16ELi32ELi8ELc67ELc78ELc76ELb1ELb0E19rocblas_complex_numIdES1_PKS1_PS1_EviT_T9_T10_S5_lS7_S5_lS6_T11_S5_li.has_recursion, 0
	.set _ZL29rocblas_internal_gemmt_kernelIiLi16ELi32ELi8ELc67ELc78ELc76ELb1ELb0E19rocblas_complex_numIdES1_PKS1_PS1_EviT_T9_T10_S5_lS7_S5_lS6_T11_S5_li.has_indirect_call, 0
	.section	.AMDGPU.csdata,"",@progbits
; Kernel info:
; codeLenInByte = 2928
; TotalNumSgprs: 43
; NumVgprs: 130
; ScratchSize: 0
; MemoryBound: 1
; FloatMode: 240
; IeeeMode: 1
; LDSByteSize: 8192 bytes/workgroup (compile time only)
; SGPRBlocks: 0
; VGPRBlocks: 8
; NumSGPRsForWavesPerEU: 43
; NumVGPRsForWavesPerEU: 130
; NamedBarCnt: 0
; Occupancy: 7
; WaveLimiterHint : 0
; COMPUTE_PGM_RSRC2:SCRATCH_EN: 0
; COMPUTE_PGM_RSRC2:USER_SGPR: 2
; COMPUTE_PGM_RSRC2:TRAP_HANDLER: 0
; COMPUTE_PGM_RSRC2:TGID_X_EN: 1
; COMPUTE_PGM_RSRC2:TGID_Y_EN: 1
; COMPUTE_PGM_RSRC2:TGID_Z_EN: 1
; COMPUTE_PGM_RSRC2:TIDIG_COMP_CNT: 1
	.section	.text._ZL29rocblas_internal_gemmt_kernelIiLi16ELi32ELi8ELc67ELc84ELc76ELb1ELb0E19rocblas_complex_numIdES1_PKS1_PS1_EviT_T9_T10_S5_lS7_S5_lS6_T11_S5_li,"axG",@progbits,_ZL29rocblas_internal_gemmt_kernelIiLi16ELi32ELi8ELc67ELc84ELc76ELb1ELb0E19rocblas_complex_numIdES1_PKS1_PS1_EviT_T9_T10_S5_lS7_S5_lS6_T11_S5_li,comdat
	.globl	_ZL29rocblas_internal_gemmt_kernelIiLi16ELi32ELi8ELc67ELc84ELc76ELb1ELb0E19rocblas_complex_numIdES1_PKS1_PS1_EviT_T9_T10_S5_lS7_S5_lS6_T11_S5_li ; -- Begin function _ZL29rocblas_internal_gemmt_kernelIiLi16ELi32ELi8ELc67ELc84ELc76ELb1ELb0E19rocblas_complex_numIdES1_PKS1_PS1_EviT_T9_T10_S5_lS7_S5_lS6_T11_S5_li
	.p2align	8
	.type	_ZL29rocblas_internal_gemmt_kernelIiLi16ELi32ELi8ELc67ELc84ELc76ELb1ELb0E19rocblas_complex_numIdES1_PKS1_PS1_EviT_T9_T10_S5_lS7_S5_lS6_T11_S5_li,@function
_ZL29rocblas_internal_gemmt_kernelIiLi16ELi32ELi8ELc67ELc84ELc76ELb1ELb0E19rocblas_complex_numIdES1_PKS1_PS1_EviT_T9_T10_S5_lS7_S5_lS6_T11_S5_li: ; @_ZL29rocblas_internal_gemmt_kernelIiLi16ELi32ELi8ELc67ELc84ELc76ELb1ELb0E19rocblas_complex_numIdES1_PKS1_PS1_EviT_T9_T10_S5_lS7_S5_lS6_T11_S5_li
; %bb.0:
	s_clause 0x2
	s_load_b256 s[8:15], s[0:1], 0x40
	s_load_b64 s[6:7], s[0:1], 0x0
	s_load_b128 s[16:19], s[0:1], 0x8
	s_wait_kmcnt 0x0
	v_cmp_eq_f64_e64 s2, s[10:11], 1.0
	v_cmp_eq_f64_e64 s4, s[12:13], 0
	s_and_b32 s2, s2, s4
	s_delay_alu instid0(SALU_CYCLE_1)
	s_and_not1_b32 vcc_lo, exec_lo, s2
	s_mov_b32 s2, -1
	s_cbranch_vccnz .LBB142_3
; %bb.1:
	s_cmp_lg_u32 s7, 0
	s_cbranch_scc0 .LBB142_36
; %bb.2:
	v_cmp_neq_f64_e64 s2, s[16:17], 0
	v_cmp_neq_f64_e64 s3, s[18:19], 0
	s_or_b32 s2, s2, s3
.LBB142_3:
	s_delay_alu instid0(SALU_CYCLE_1)
	s_and_b32 vcc_lo, exec_lo, s2
	s_cbranch_vccz .LBB142_37
; %bb.4:
	s_load_b32 s27, s[0:1], 0x70
	s_bfe_u32 s2, ttmp6, 0x40014
	s_lshr_b32 s3, ttmp7, 16
	s_add_co_i32 s2, s2, 1
	s_bfe_u32 s20, ttmp6, 0x40008
	s_mul_i32 s2, s3, s2
	s_getreg_b32 s5, hwreg(HW_REG_IB_STS2, 6, 4)
	s_add_co_i32 s20, s20, s2
	s_cmp_eq_u32 s5, 0
	s_mov_b32 s29, 0
	s_cselect_b32 s28, s3, s20
	s_wait_kmcnt 0x0
	s_cmp_ge_u32 s28, s27
	s_cbranch_scc1 .LBB142_37
; %bb.5:
	s_clause 0x2
	s_load_b96 s[24:26], s[0:1], 0x18
	s_load_b32 s34, s[0:1], 0x38
	s_load_b32 s2, s[0:1], 0x60
	v_and_b32_e32 v1, 0x3ff, v0
	v_bfe_u32 v9, v0, 10, 10
	s_clause 0x1
	s_load_b128 s[20:23], s[0:1], 0x28
	s_load_b64 s[30:31], s[0:1], 0x68
	s_wait_xcnt 0x0
	s_bfe_u32 s1, ttmp6, 0x4000c
	s_bfe_u32 s3, ttmp6, 0x40010
	s_and_b32 s37, ttmp7, 0xffff
	s_add_co_i32 s1, s1, 1
	s_add_co_i32 s3, s3, 1
	v_lshl_add_u32 v3, v9, 4, v1
	s_and_b32 s0, ttmp6, 15
	s_mul_i32 s38, ttmp9, s1
	s_mul_i32 s39, s37, s3
	s_bfe_u32 s40, ttmp6, 0x40004
	s_add_co_i32 s0, s0, s38
	s_add_co_i32 s40, s40, s39
	v_dual_lshrrev_b32 v40, 5, v3 :: v_dual_bitop2_b32 v5, 31, v3 bitop3:0x40
	s_wait_kmcnt 0x0
	s_ashr_i32 s1, s26, 31
	s_ashr_i32 s35, s34, 31
	;; [unrolled: 1-line block ×3, first 2 shown]
	s_cmp_eq_u32 s5, 0
	v_cmp_neq_f64_e64 s33, s[16:17], 0
	s_cselect_b32 s0, ttmp9, s0
	s_cselect_b32 s5, s37, s40
	s_lshl_b32 s37, s0, 5
	s_lshl_b32 s5, s5, 5
	v_dual_lshrrev_b32 v8, 3, v3 :: v_dual_bitop2_b32 v2, s37, v5 bitop3:0x54
	v_and_b32_e32 v6, 7, v0
	s_mov_b32 s0, s26
	v_cmp_neq_f64_e64 s36, s[18:19], 0
	s_delay_alu instid0(VALU_DEP_3) | instskip(SKIP_2) | instid1(VALU_DEP_3)
	v_dual_ashrrev_i32 v3, 31, v2 :: v_dual_add_nc_u32 v4, s5, v8
	v_dual_mov_b32 v0, 0 :: v_dual_add_nc_u32 v18, s5, v9
	v_lshlrev_b32_e32 v5, 4, v5
	v_mul_u64_e32 v[16:17], s[0:1], v[2:3]
	s_delay_alu instid0(VALU_DEP_3) | instskip(SKIP_3) | instid1(VALU_DEP_4)
	v_dual_lshlrev_b32 v3, 4, v6 :: v_dual_mov_b32 v7, v0
	v_cmp_gt_i32_e64 s0, s6, v2
	v_add_nc_u32_e32 v2, 16, v18
	v_cmp_neq_f64_e64 s26, s[10:11], 0
	v_lshl_or_b32 v3, v8, 7, v3
	v_mul_u64_e32 v[20:21], s[34:35], v[6:7]
	v_lshl_or_b32 v7, v40, 9, v5
	v_dual_add_nc_u32 v8, s37, v1 :: v_dual_lshlrev_b32 v42, 4, v1
	s_delay_alu instid0(VALU_DEP_4) | instskip(SKIP_2) | instid1(VALU_DEP_4)
	v_add_nc_u32_e32 v41, 0x1000, v3
	v_ashrrev_i32_e32 v3, 31, v2
	v_dual_ashrrev_i32 v19, 31, v18 :: v_dual_ashrrev_i32 v5, 31, v4
	v_dual_mov_b32 v23, v0 :: v_dual_add_nc_u32 v14, 16, v8
	s_delay_alu instid0(VALU_DEP_3) | instskip(NEXT) | instid1(VALU_DEP_3)
	v_mul_u64_e32 v[12:13], s[2:3], v[2:3]
	v_mul_u64_e32 v[10:11], s[2:3], v[18:19]
	s_delay_alu instid0(VALU_DEP_3)
	v_dual_lshlrev_b32 v22, 4, v40 :: v_dual_ashrrev_i32 v15, 31, v14
	v_cmp_gt_i32_e32 vcc_lo, s6, v4
	v_lshlrev_b64_e32 v[4:5], 4, v[4:5]
	v_cmp_le_i32_e64 s1, v18, v8
	v_cmp_gt_i32_e64 s2, s6, v8
	v_cmp_le_i32_e64 s5, v2, v14
	s_or_b32 s36, s33, s36
	s_cmp_gt_i32 s7, 0
	v_lshl_add_u32 v43, v9, 7, 0x1000
	s_cselect_b32 s38, -1, 0
	s_xor_b32 s3, s4, -1
	v_cmp_le_i32_e64 s4, v2, v8
	v_lshl_add_u64 v[16:17], v[16:17], 4, v[22:23]
	s_and_b32 s33, s1, s2
	v_cmp_le_i32_e64 s1, v18, v14
	v_ashrrev_i32_e32 v9, 31, v8
	s_or_b32 s26, s26, s3
	v_add_nc_u64_e32 v[16:17], s[24:25], v[16:17]
	v_lshl_add_u64 v[2:3], v[20:21], 4, v[4:5]
	v_cmp_gt_i32_e64 s3, s6, v14
	s_and_b32 s6, s4, s2
	v_add_nc_u64_e32 v[18:19], s[22:23], v[2:3]
	v_add_nc_u64_e32 v[16:17], 8, v[16:17]
	s_and_b32 s1, s1, s3
	s_and_b32 s24, s5, s3
	s_lshl_b64 s[2:3], s[20:21], 4
	s_and_b32 s22, s36, s38
	s_lshl_b64 s[4:5], s[8:9], 4
	s_lshl_b64 s[8:9], s[34:35], 7
	s_xor_b32 s23, vcc_lo, -1
	s_branch .LBB142_7
.LBB142_6:                              ;   in Loop: Header=BB142_7 Depth=1
	s_wait_xcnt 0x0
	s_or_b32 exec_lo, exec_lo, s20
	s_add_co_i32 s28, s28, 0x10000
	s_delay_alu instid0(SALU_CYCLE_1)
	s_cmp_lt_u32 s28, s27
	s_cbranch_scc0 .LBB142_37
.LBB142_7:                              ; =>This Loop Header: Depth=1
                                        ;     Child Loop BB142_10 Depth 2
	v_mov_b64_e32 v[36:37], 0
	v_mov_b64_e32 v[38:39], 0
	v_mov_b64_e32 v[32:33], 0
	v_mov_b64_e32 v[34:35], 0
	v_mov_b64_e32 v[28:29], 0
	v_mov_b64_e32 v[30:31], 0
	v_mov_b64_e32 v[22:23], 0
	v_mov_b64_e32 v[20:21], 0
	s_and_not1_b32 vcc_lo, exec_lo, s22
	s_cbranch_vccnz .LBB142_16
; %bb.8:                                ;   in Loop: Header=BB142_7 Depth=1
	v_mad_nc_u64_u32 v[24:25], s2, s28, v[16:17]
	v_mad_nc_u64_u32 v[26:27], s4, s28, v[18:19]
	v_mov_b64_e32 v[20:21], 0
	v_mov_b64_e32 v[22:23], 0
	;; [unrolled: 1-line block ×8, first 2 shown]
	s_mov_b32 s20, 0
	v_mad_u32 v25, s3, s28, v25
	v_mad_u32 v27, s5, s28, v27
	s_branch .LBB142_10
.LBB142_9:                              ;   in Loop: Header=BB142_10 Depth=2
	s_wait_xcnt 0x0
	s_or_b32 exec_lo, exec_lo, s21
	s_wait_dscnt 0x0
	s_barrier_signal -1
	s_barrier_wait -1
	ds_load_b128 v[2:5], v43
	ds_load_b128 v[44:47], v42
	ds_load_b128 v[48:51], v42 offset:256
	ds_load_b128 v[52:55], v43 offset:2048
	ds_load_b128 v[56:59], v43 offset:16
	ds_load_b128 v[60:63], v42 offset:512
	ds_load_b128 v[64:67], v42 offset:768
	ds_load_b128 v[68:71], v43 offset:2064
	ds_load_b128 v[72:75], v43 offset:32
	ds_load_b128 v[76:79], v42 offset:1024
	ds_load_b128 v[80:83], v42 offset:1280
	ds_load_b128 v[84:87], v43 offset:2080
	v_add_nc_u64_e32 v[24:25], 0x80, v[24:25]
	v_add_nc_u64_e32 v[26:27], s[8:9], v[26:27]
	s_add_co_i32 s20, s20, 8
	s_delay_alu instid0(SALU_CYCLE_1)
	s_cmp_lt_i32 s20, s7
	s_wait_dscnt 0xa
	v_mul_f64_e32 v[88:89], v[4:5], v[46:47]
	v_mul_f64_e32 v[90:91], v[2:3], v[46:47]
	s_wait_dscnt 0x9
	v_mul_f64_e32 v[92:93], v[4:5], v[50:51]
	v_mul_f64_e32 v[94:95], v[2:3], v[50:51]
	s_wait_dscnt 0x8
	v_mul_f64_e32 v[96:97], v[54:55], v[46:47]
	v_mul_f64_e32 v[98:99], v[52:53], v[46:47]
	v_mul_f64_e32 v[46:47], v[54:55], v[50:51]
	v_mul_f64_e32 v[100:101], v[52:53], v[50:51]
	s_wait_dscnt 0x6
	v_mul_f64_e32 v[102:103], v[58:59], v[62:63]
	v_mul_f64_e32 v[104:105], v[56:57], v[62:63]
	s_wait_dscnt 0x5
	v_mul_f64_e32 v[106:107], v[58:59], v[66:67]
	v_mul_f64_e32 v[108:109], v[56:57], v[66:67]
	s_wait_dscnt 0x4
	v_mul_f64_e32 v[110:111], v[70:71], v[62:63]
	v_mul_f64_e32 v[62:63], v[68:69], v[62:63]
	v_mul_f64_e32 v[112:113], v[70:71], v[66:67]
	v_mul_f64_e32 v[66:67], v[68:69], v[66:67]
	;; [unrolled: 11-line block ×3, first 2 shown]
	v_fma_f64 v[88:89], v[2:3], v[44:45], -v[88:89]
	v_fmac_f64_e32 v[90:91], v[4:5], v[44:45]
	v_fma_f64 v[92:93], v[2:3], v[48:49], -v[92:93]
	v_fmac_f64_e32 v[94:95], v[4:5], v[48:49]
	;; [unrolled: 2-line block ×8, first 2 shown]
	ds_load_b128 v[2:5], v43 offset:48
	ds_load_b128 v[44:47], v43 offset:2096
	;; [unrolled: 1-line block ×4, first 2 shown]
	v_fma_f64 v[116:117], v[72:73], v[76:77], -v[116:117]
	v_fmac_f64_e32 v[118:119], v[74:75], v[76:77]
	v_fma_f64 v[72:73], v[72:73], v[80:81], -v[120:121]
	v_fmac_f64_e32 v[122:123], v[74:75], v[80:81]
	;; [unrolled: 2-line block ×4, first 2 shown]
	v_add_f64_e32 v[64:65], v[36:37], v[88:89]
	v_add_f64_e32 v[68:69], v[90:91], v[38:39]
	v_add_f64_e32 v[70:71], v[32:33], v[92:93]
	v_add_f64_e32 v[88:89], v[94:95], v[34:35]
	v_add_f64_e32 v[90:91], v[28:29], v[96:97]
	v_add_f64_e32 v[92:93], v[98:99], v[30:31]
	v_add_f64_e32 v[94:95], v[22:23], v[114:115]
	v_add_f64_e32 v[96:97], v[100:101], v[20:21]
	s_wait_dscnt 0x1
	v_mul_f64_e32 v[98:99], v[4:5], v[50:51]
	v_mul_f64_e32 v[100:101], v[2:3], v[50:51]
	s_wait_dscnt 0x0
	v_mul_f64_e32 v[106:107], v[4:5], v[54:55]
	v_mul_f64_e32 v[110:111], v[2:3], v[54:55]
	;; [unrolled: 1-line block ×6, first 2 shown]
	ds_load_b128 v[20:23], v43 offset:64
	ds_load_b128 v[28:31], v42 offset:2048
	;; [unrolled: 1-line block ×4, first 2 shown]
	v_add_f64_e32 v[80:81], v[64:65], v[102:103]
	v_add_f64_e32 v[84:85], v[104:105], v[68:69]
	;; [unrolled: 1-line block ×8, first 2 shown]
	s_wait_dscnt 0x2
	v_mul_f64_e32 v[96:97], v[22:23], v[30:31]
	v_mul_f64_e32 v[102:103], v[20:21], v[30:31]
	s_wait_dscnt 0x1
	v_mul_f64_e32 v[104:105], v[22:23], v[34:35]
	v_mul_f64_e32 v[108:109], v[20:21], v[34:35]
	;; [unrolled: 3-line block ×3, first 2 shown]
	v_mul_f64_e32 v[30:31], v[38:39], v[34:35]
	v_mul_f64_e32 v[126:127], v[36:37], v[34:35]
	v_fma_f64 v[34:35], v[2:3], v[48:49], -v[98:99]
	v_fmac_f64_e32 v[100:101], v[4:5], v[48:49]
	v_fma_f64 v[98:99], v[2:3], v[52:53], -v[106:107]
	v_fmac_f64_e32 v[110:111], v[4:5], v[52:53]
	;; [unrolled: 2-line block ×4, first 2 shown]
	ds_load_b128 v[54:57], v43 offset:80
	ds_load_b128 v[58:61], v43 offset:2128
	;; [unrolled: 1-line block ×4, first 2 shown]
	v_add_f64_e32 v[52:53], v[80:81], v[116:117]
	v_add_f64_e32 v[80:81], v[118:119], v[84:85]
	;; [unrolled: 1-line block ×8, first 2 shown]
	v_fma_f64 v[96:97], v[20:21], v[28:29], -v[96:97]
	v_fmac_f64_e32 v[102:103], v[22:23], v[28:29]
	v_fma_f64 v[104:105], v[20:21], v[32:33], -v[104:105]
	s_wait_dscnt 0x1
	v_mul_f64_e32 v[88:89], v[56:57], v[64:65]
	v_mul_f64_e32 v[90:91], v[54:55], v[64:65]
	s_wait_dscnt 0x0
	v_mul_f64_e32 v[92:93], v[56:57], v[68:69]
	v_mul_f64_e32 v[94:95], v[54:55], v[68:69]
	;; [unrolled: 1-line block ×6, first 2 shown]
	v_fmac_f64_e32 v[108:109], v[22:23], v[32:33]
	v_fma_f64 v[120:121], v[36:37], v[28:29], -v[120:121]
	v_fmac_f64_e32 v[124:125], v[38:39], v[28:29]
	v_fma_f64 v[122:123], v[36:37], v[32:33], -v[30:31]
	v_fmac_f64_e32 v[126:127], v[38:39], v[32:33]
	ds_load_b128 v[2:5], v43 offset:96
	ds_load_b128 v[44:47], v42 offset:3072
	ds_load_b128 v[48:51], v42 offset:3328
	ds_load_b128 v[70:73], v43 offset:2144
	v_add_f64_e32 v[52:53], v[52:53], v[34:35]
	v_add_f64_e32 v[80:81], v[100:101], v[80:81]
	;; [unrolled: 1-line block ×8, first 2 shown]
	ds_load_b128 v[20:23], v43 offset:112
	ds_load_b128 v[28:31], v43 offset:2160
	;; [unrolled: 1-line block ×4, first 2 shown]
	s_wait_dscnt 0x0
	v_mul_f64_e32 v[98:99], v[4:5], v[46:47]
	v_mul_f64_e32 v[100:101], v[2:3], v[46:47]
	;; [unrolled: 1-line block ×8, first 2 shown]
	v_fma_f64 v[88:89], v[54:55], v[62:63], -v[88:89]
	v_fmac_f64_e32 v[90:91], v[56:57], v[62:63]
	v_fma_f64 v[54:55], v[54:55], v[66:67], -v[92:93]
	v_fmac_f64_e32 v[94:95], v[56:57], v[66:67]
	;; [unrolled: 2-line block ×4, first 2 shown]
	s_barrier_signal -1
	s_barrier_wait -1
	v_mul_f64_e32 v[92:93], v[20:21], v[38:39]
	v_add_f64_e32 v[52:53], v[52:53], v[96:97]
	v_add_f64_e32 v[60:61], v[102:103], v[80:81]
	;; [unrolled: 1-line block ×8, first 2 shown]
	v_mul_f64_e32 v[82:83], v[22:23], v[34:35]
	v_mul_f64_e32 v[84:85], v[20:21], v[34:35]
	;; [unrolled: 1-line block ×7, first 2 shown]
	v_fma_f64 v[38:39], v[2:3], v[44:45], -v[98:99]
	v_fmac_f64_e32 v[100:101], v[4:5], v[44:45]
	v_fma_f64 v[2:3], v[2:3], v[48:49], -v[106:107]
	v_fmac_f64_e32 v[110:111], v[4:5], v[48:49]
	;; [unrolled: 2-line block ×4, first 2 shown]
	v_fmac_f64_e32 v[92:93], v[22:23], v[36:37]
	v_add_f64_e32 v[48:49], v[52:53], v[88:89]
	v_add_f64_e32 v[52:53], v[90:91], v[60:61]
	v_add_f64_e32 v[54:55], v[62:63], v[54:55]
	v_add_f64_e32 v[60:61], v[94:95], v[66:67]
	v_add_f64_e32 v[56:57], v[74:75], v[56:57]
	v_add_f64_e32 v[62:63], v[64:65], v[78:79]
	v_add_f64_e32 v[58:59], v[76:77], v[58:59]
	v_add_f64_e32 v[64:65], v[68:69], v[80:81]
	v_fma_f64 v[66:67], v[20:21], v[32:33], -v[82:83]
	v_fmac_f64_e32 v[84:85], v[22:23], v[32:33]
	v_fma_f64 v[20:21], v[20:21], v[36:37], -v[86:87]
	v_fma_f64 v[22:23], v[28:29], v[32:33], -v[96:97]
	v_fmac_f64_e32 v[102:103], v[30:31], v[32:33]
	v_fma_f64 v[68:69], v[28:29], v[36:37], -v[34:35]
	v_fmac_f64_e32 v[104:105], v[30:31], v[36:37]
	v_add_f64_e32 v[28:29], v[48:49], v[38:39]
	v_add_f64_e32 v[30:31], v[100:101], v[52:53]
	;; [unrolled: 1-line block ×16, first 2 shown]
	s_cbranch_scc0 .LBB142_16
.LBB142_10:                             ;   Parent Loop BB142_7 Depth=1
                                        ; =>  This Inner Loop Header: Depth=2
	v_add_nc_u32_e32 v1, s20, v40
	v_mov_b64_e32 v[2:3], 0
	v_mov_b64_e32 v[4:5], 0
	s_delay_alu instid0(VALU_DEP_3) | instskip(SKIP_1) | instid1(SALU_CYCLE_1)
	v_cmp_gt_i32_e32 vcc_lo, s7, v1
	s_and_b32 s25, s0, vcc_lo
	s_and_saveexec_b32 s21, s25
	s_cbranch_execz .LBB142_12
; %bb.11:                               ;   in Loop: Header=BB142_10 Depth=2
	global_load_b128 v[2:5], v[24:25], off offset:-8
	s_wait_loadcnt 0x0
	v_xor_b32_e32 v5, 0x80000000, v5
.LBB142_12:                             ;   in Loop: Header=BB142_10 Depth=2
	s_wait_xcnt 0x0
	s_or_b32 exec_lo, exec_lo, s21
	v_add_nc_u32_e32 v1, s20, v6
	ds_store_b128 v7, v[2:5]
	v_cmp_le_i32_e32 vcc_lo, s7, v1
	s_or_b32 s21, vcc_lo, s23
	s_delay_alu instid0(SALU_CYCLE_1) | instskip(NEXT) | instid1(SALU_CYCLE_1)
	s_and_saveexec_b32 s25, s21
	s_xor_b32 s21, exec_lo, s25
; %bb.13:                               ;   in Loop: Header=BB142_10 Depth=2
	v_dual_mov_b32 v1, v0 :: v_dual_mov_b32 v2, v0
	v_mov_b32_e32 v3, v0
	ds_store_b128 v41, v[0:3]
; %bb.14:                               ;   in Loop: Header=BB142_10 Depth=2
	s_and_not1_saveexec_b32 s21, s21
	s_cbranch_execz .LBB142_9
; %bb.15:                               ;   in Loop: Header=BB142_10 Depth=2
	global_load_b128 v[2:5], v[26:27], off
	s_wait_loadcnt 0x0
	ds_store_2addr_b64 v41, v[2:3], v[4:5] offset1:1
	s_branch .LBB142_9
.LBB142_16:                             ;   in Loop: Header=BB142_7 Depth=1
	s_mul_u64 s[20:21], s[30:31], s[28:29]
	s_delay_alu instid0(SALU_CYCLE_1) | instskip(NEXT) | instid1(SALU_CYCLE_1)
	s_lshl_b64 s[20:21], s[20:21], 4
	s_add_nc_u64 s[20:21], s[14:15], s[20:21]
	s_delay_alu instid0(SALU_CYCLE_1)
	v_lshl_add_u64 v[24:25], v[10:11], 4, s[20:21]
	s_and_saveexec_b32 s25, s33
	s_cbranch_execz .LBB142_21
; %bb.17:                               ;   in Loop: Header=BB142_7 Depth=1
	v_mul_f64_e32 v[2:3], s[18:19], v[38:39]
	v_mul_f64_e32 v[4:5], s[16:17], v[38:39]
	v_lshl_add_u64 v[26:27], v[8:9], 4, v[24:25]
	s_and_b32 vcc_lo, exec_lo, s26
	s_mov_b32 s34, -1
	s_delay_alu instid0(VALU_DEP_3) | instskip(NEXT) | instid1(VALU_DEP_3)
	v_fma_f64 v[2:3], s[16:17], v[36:37], -v[2:3]
	v_fmac_f64_e32 v[4:5], s[18:19], v[36:37]
	s_cbranch_vccz .LBB142_19
; %bb.18:                               ;   in Loop: Header=BB142_7 Depth=1
	global_load_b128 v[36:39], v[26:27], off
	s_mov_b32 s34, 0
	s_wait_loadcnt 0x0
	v_mul_f64_e32 v[44:45], s[12:13], v[38:39]
	v_mul_f64_e32 v[38:39], s[10:11], v[38:39]
	s_delay_alu instid0(VALU_DEP_2) | instskip(NEXT) | instid1(VALU_DEP_2)
	v_fma_f64 v[44:45], s[10:11], v[36:37], -v[44:45]
	v_fmac_f64_e32 v[38:39], s[12:13], v[36:37]
	s_delay_alu instid0(VALU_DEP_2) | instskip(NEXT) | instid1(VALU_DEP_2)
	v_add_f64_e32 v[36:37], v[2:3], v[44:45]
	v_add_f64_e32 v[38:39], v[4:5], v[38:39]
	global_store_b128 v[26:27], v[36:39], off
.LBB142_19:                             ;   in Loop: Header=BB142_7 Depth=1
	s_and_not1_b32 vcc_lo, exec_lo, s34
	s_cbranch_vccnz .LBB142_21
; %bb.20:                               ;   in Loop: Header=BB142_7 Depth=1
	global_store_b128 v[26:27], v[2:5], off
.LBB142_21:                             ;   in Loop: Header=BB142_7 Depth=1
	s_wait_xcnt 0x0
	s_or_b32 exec_lo, exec_lo, s25
	s_and_saveexec_b32 s25, s1
	s_cbranch_execz .LBB142_26
; %bb.22:                               ;   in Loop: Header=BB142_7 Depth=1
	v_mul_f64_e32 v[2:3], s[18:19], v[34:35]
	v_mul_f64_e32 v[4:5], s[16:17], v[34:35]
	v_lshl_add_u64 v[24:25], v[14:15], 4, v[24:25]
	s_and_not1_b32 vcc_lo, exec_lo, s26
	s_mov_b32 s34, -1
	s_delay_alu instid0(VALU_DEP_3) | instskip(NEXT) | instid1(VALU_DEP_3)
	v_fma_f64 v[2:3], s[16:17], v[32:33], -v[2:3]
	v_fmac_f64_e32 v[4:5], s[18:19], v[32:33]
	s_cbranch_vccnz .LBB142_24
; %bb.23:                               ;   in Loop: Header=BB142_7 Depth=1
	global_load_b128 v[32:35], v[24:25], off
	s_mov_b32 s34, 0
	s_wait_loadcnt 0x0
	v_mul_f64_e32 v[26:27], s[12:13], v[34:35]
	v_mul_f64_e32 v[34:35], s[10:11], v[34:35]
	s_delay_alu instid0(VALU_DEP_2) | instskip(NEXT) | instid1(VALU_DEP_2)
	v_fma_f64 v[26:27], s[10:11], v[32:33], -v[26:27]
	v_fmac_f64_e32 v[34:35], s[12:13], v[32:33]
	s_delay_alu instid0(VALU_DEP_2) | instskip(NEXT) | instid1(VALU_DEP_2)
	v_add_f64_e32 v[32:33], v[2:3], v[26:27]
	v_add_f64_e32 v[34:35], v[4:5], v[34:35]
	global_store_b128 v[24:25], v[32:35], off
.LBB142_24:                             ;   in Loop: Header=BB142_7 Depth=1
	s_and_not1_b32 vcc_lo, exec_lo, s34
	s_cbranch_vccnz .LBB142_26
; %bb.25:                               ;   in Loop: Header=BB142_7 Depth=1
	global_store_b128 v[24:25], v[2:5], off
.LBB142_26:                             ;   in Loop: Header=BB142_7 Depth=1
	s_wait_xcnt 0x0
	s_or_b32 exec_lo, exec_lo, s25
	v_lshl_add_u64 v[24:25], v[12:13], 4, s[20:21]
	s_and_saveexec_b32 s20, s6
	s_cbranch_execz .LBB142_31
; %bb.27:                               ;   in Loop: Header=BB142_7 Depth=1
	v_mul_f64_e32 v[2:3], s[18:19], v[30:31]
	v_mul_f64_e32 v[4:5], s[16:17], v[30:31]
	v_lshl_add_u64 v[26:27], v[8:9], 4, v[24:25]
	s_and_not1_b32 vcc_lo, exec_lo, s26
	s_mov_b32 s21, -1
	s_delay_alu instid0(VALU_DEP_3) | instskip(NEXT) | instid1(VALU_DEP_3)
	v_fma_f64 v[2:3], s[16:17], v[28:29], -v[2:3]
	v_fmac_f64_e32 v[4:5], s[18:19], v[28:29]
	s_cbranch_vccnz .LBB142_29
; %bb.28:                               ;   in Loop: Header=BB142_7 Depth=1
	global_load_b128 v[28:31], v[26:27], off
	s_mov_b32 s21, 0
	s_wait_loadcnt 0x0
	v_mul_f64_e32 v[32:33], s[12:13], v[30:31]
	v_mul_f64_e32 v[30:31], s[10:11], v[30:31]
	s_delay_alu instid0(VALU_DEP_2) | instskip(NEXT) | instid1(VALU_DEP_2)
	v_fma_f64 v[32:33], s[10:11], v[28:29], -v[32:33]
	v_fmac_f64_e32 v[30:31], s[12:13], v[28:29]
	s_delay_alu instid0(VALU_DEP_2) | instskip(NEXT) | instid1(VALU_DEP_2)
	v_add_f64_e32 v[28:29], v[2:3], v[32:33]
	v_add_f64_e32 v[30:31], v[4:5], v[30:31]
	global_store_b128 v[26:27], v[28:31], off
.LBB142_29:                             ;   in Loop: Header=BB142_7 Depth=1
	s_and_not1_b32 vcc_lo, exec_lo, s21
	s_cbranch_vccnz .LBB142_31
; %bb.30:                               ;   in Loop: Header=BB142_7 Depth=1
	global_store_b128 v[26:27], v[2:5], off
.LBB142_31:                             ;   in Loop: Header=BB142_7 Depth=1
	s_wait_xcnt 0x0
	s_or_b32 exec_lo, exec_lo, s20
	s_and_saveexec_b32 s20, s24
	s_cbranch_execz .LBB142_6
; %bb.32:                               ;   in Loop: Header=BB142_7 Depth=1
	s_delay_alu instid0(VALU_DEP_3) | instskip(SKIP_4) | instid1(VALU_DEP_3)
	v_mul_f64_e32 v[2:3], s[18:19], v[20:21]
	v_mul_f64_e32 v[4:5], s[16:17], v[20:21]
	v_lshl_add_u64 v[20:21], v[14:15], 4, v[24:25]
	s_and_not1_b32 vcc_lo, exec_lo, s26
	s_mov_b32 s21, -1
	v_fma_f64 v[2:3], s[16:17], v[22:23], -v[2:3]
	s_delay_alu instid0(VALU_DEP_3)
	v_fmac_f64_e32 v[4:5], s[18:19], v[22:23]
	s_cbranch_vccnz .LBB142_34
; %bb.33:                               ;   in Loop: Header=BB142_7 Depth=1
	global_load_b128 v[22:25], v[20:21], off
	s_mov_b32 s21, 0
	s_wait_loadcnt 0x0
	v_mul_f64_e32 v[26:27], s[12:13], v[24:25]
	v_mul_f64_e32 v[24:25], s[10:11], v[24:25]
	s_delay_alu instid0(VALU_DEP_2) | instskip(NEXT) | instid1(VALU_DEP_2)
	v_fma_f64 v[26:27], s[10:11], v[22:23], -v[26:27]
	v_fmac_f64_e32 v[24:25], s[12:13], v[22:23]
	s_delay_alu instid0(VALU_DEP_2) | instskip(NEXT) | instid1(VALU_DEP_2)
	v_add_f64_e32 v[22:23], v[2:3], v[26:27]
	v_add_f64_e32 v[24:25], v[4:5], v[24:25]
	global_store_b128 v[20:21], v[22:25], off
.LBB142_34:                             ;   in Loop: Header=BB142_7 Depth=1
	s_and_not1_b32 vcc_lo, exec_lo, s21
	s_cbranch_vccnz .LBB142_6
; %bb.35:                               ;   in Loop: Header=BB142_7 Depth=1
	global_store_b128 v[20:21], v[2:5], off
	s_branch .LBB142_6
.LBB142_36:
.LBB142_37:
	s_sendmsg sendmsg(MSG_DEALLOC_VGPRS)
	s_endpgm
	.section	.rodata,"a",@progbits
	.p2align	6, 0x0
	.amdhsa_kernel _ZL29rocblas_internal_gemmt_kernelIiLi16ELi32ELi8ELc67ELc84ELc76ELb1ELb0E19rocblas_complex_numIdES1_PKS1_PS1_EviT_T9_T10_S5_lS7_S5_lS6_T11_S5_li
		.amdhsa_group_segment_fixed_size 8192
		.amdhsa_private_segment_fixed_size 0
		.amdhsa_kernarg_size 116
		.amdhsa_user_sgpr_count 2
		.amdhsa_user_sgpr_dispatch_ptr 0
		.amdhsa_user_sgpr_queue_ptr 0
		.amdhsa_user_sgpr_kernarg_segment_ptr 1
		.amdhsa_user_sgpr_dispatch_id 0
		.amdhsa_user_sgpr_kernarg_preload_length 0
		.amdhsa_user_sgpr_kernarg_preload_offset 0
		.amdhsa_user_sgpr_private_segment_size 0
		.amdhsa_wavefront_size32 1
		.amdhsa_uses_dynamic_stack 0
		.amdhsa_enable_private_segment 0
		.amdhsa_system_sgpr_workgroup_id_x 1
		.amdhsa_system_sgpr_workgroup_id_y 1
		.amdhsa_system_sgpr_workgroup_id_z 1
		.amdhsa_system_sgpr_workgroup_info 0
		.amdhsa_system_vgpr_workitem_id 1
		.amdhsa_next_free_vgpr 130
		.amdhsa_next_free_sgpr 41
		.amdhsa_named_barrier_count 0
		.amdhsa_reserve_vcc 1
		.amdhsa_float_round_mode_32 0
		.amdhsa_float_round_mode_16_64 0
		.amdhsa_float_denorm_mode_32 3
		.amdhsa_float_denorm_mode_16_64 3
		.amdhsa_fp16_overflow 0
		.amdhsa_memory_ordered 1
		.amdhsa_forward_progress 1
		.amdhsa_inst_pref_size 23
		.amdhsa_round_robin_scheduling 0
		.amdhsa_exception_fp_ieee_invalid_op 0
		.amdhsa_exception_fp_denorm_src 0
		.amdhsa_exception_fp_ieee_div_zero 0
		.amdhsa_exception_fp_ieee_overflow 0
		.amdhsa_exception_fp_ieee_underflow 0
		.amdhsa_exception_fp_ieee_inexact 0
		.amdhsa_exception_int_div_zero 0
	.end_amdhsa_kernel
	.section	.text._ZL29rocblas_internal_gemmt_kernelIiLi16ELi32ELi8ELc67ELc84ELc76ELb1ELb0E19rocblas_complex_numIdES1_PKS1_PS1_EviT_T9_T10_S5_lS7_S5_lS6_T11_S5_li,"axG",@progbits,_ZL29rocblas_internal_gemmt_kernelIiLi16ELi32ELi8ELc67ELc84ELc76ELb1ELb0E19rocblas_complex_numIdES1_PKS1_PS1_EviT_T9_T10_S5_lS7_S5_lS6_T11_S5_li,comdat
.Lfunc_end142:
	.size	_ZL29rocblas_internal_gemmt_kernelIiLi16ELi32ELi8ELc67ELc84ELc76ELb1ELb0E19rocblas_complex_numIdES1_PKS1_PS1_EviT_T9_T10_S5_lS7_S5_lS6_T11_S5_li, .Lfunc_end142-_ZL29rocblas_internal_gemmt_kernelIiLi16ELi32ELi8ELc67ELc84ELc76ELb1ELb0E19rocblas_complex_numIdES1_PKS1_PS1_EviT_T9_T10_S5_lS7_S5_lS6_T11_S5_li
                                        ; -- End function
	.set _ZL29rocblas_internal_gemmt_kernelIiLi16ELi32ELi8ELc67ELc84ELc76ELb1ELb0E19rocblas_complex_numIdES1_PKS1_PS1_EviT_T9_T10_S5_lS7_S5_lS6_T11_S5_li.num_vgpr, 130
	.set _ZL29rocblas_internal_gemmt_kernelIiLi16ELi32ELi8ELc67ELc84ELc76ELb1ELb0E19rocblas_complex_numIdES1_PKS1_PS1_EviT_T9_T10_S5_lS7_S5_lS6_T11_S5_li.num_agpr, 0
	.set _ZL29rocblas_internal_gemmt_kernelIiLi16ELi32ELi8ELc67ELc84ELc76ELb1ELb0E19rocblas_complex_numIdES1_PKS1_PS1_EviT_T9_T10_S5_lS7_S5_lS6_T11_S5_li.numbered_sgpr, 41
	.set _ZL29rocblas_internal_gemmt_kernelIiLi16ELi32ELi8ELc67ELc84ELc76ELb1ELb0E19rocblas_complex_numIdES1_PKS1_PS1_EviT_T9_T10_S5_lS7_S5_lS6_T11_S5_li.num_named_barrier, 0
	.set _ZL29rocblas_internal_gemmt_kernelIiLi16ELi32ELi8ELc67ELc84ELc76ELb1ELb0E19rocblas_complex_numIdES1_PKS1_PS1_EviT_T9_T10_S5_lS7_S5_lS6_T11_S5_li.private_seg_size, 0
	.set _ZL29rocblas_internal_gemmt_kernelIiLi16ELi32ELi8ELc67ELc84ELc76ELb1ELb0E19rocblas_complex_numIdES1_PKS1_PS1_EviT_T9_T10_S5_lS7_S5_lS6_T11_S5_li.uses_vcc, 1
	.set _ZL29rocblas_internal_gemmt_kernelIiLi16ELi32ELi8ELc67ELc84ELc76ELb1ELb0E19rocblas_complex_numIdES1_PKS1_PS1_EviT_T9_T10_S5_lS7_S5_lS6_T11_S5_li.uses_flat_scratch, 0
	.set _ZL29rocblas_internal_gemmt_kernelIiLi16ELi32ELi8ELc67ELc84ELc76ELb1ELb0E19rocblas_complex_numIdES1_PKS1_PS1_EviT_T9_T10_S5_lS7_S5_lS6_T11_S5_li.has_dyn_sized_stack, 0
	.set _ZL29rocblas_internal_gemmt_kernelIiLi16ELi32ELi8ELc67ELc84ELc76ELb1ELb0E19rocblas_complex_numIdES1_PKS1_PS1_EviT_T9_T10_S5_lS7_S5_lS6_T11_S5_li.has_recursion, 0
	.set _ZL29rocblas_internal_gemmt_kernelIiLi16ELi32ELi8ELc67ELc84ELc76ELb1ELb0E19rocblas_complex_numIdES1_PKS1_PS1_EviT_T9_T10_S5_lS7_S5_lS6_T11_S5_li.has_indirect_call, 0
	.section	.AMDGPU.csdata,"",@progbits
; Kernel info:
; codeLenInByte = 2928
; TotalNumSgprs: 43
; NumVgprs: 130
; ScratchSize: 0
; MemoryBound: 1
; FloatMode: 240
; IeeeMode: 1
; LDSByteSize: 8192 bytes/workgroup (compile time only)
; SGPRBlocks: 0
; VGPRBlocks: 8
; NumSGPRsForWavesPerEU: 43
; NumVGPRsForWavesPerEU: 130
; NamedBarCnt: 0
; Occupancy: 7
; WaveLimiterHint : 0
; COMPUTE_PGM_RSRC2:SCRATCH_EN: 0
; COMPUTE_PGM_RSRC2:USER_SGPR: 2
; COMPUTE_PGM_RSRC2:TRAP_HANDLER: 0
; COMPUTE_PGM_RSRC2:TGID_X_EN: 1
; COMPUTE_PGM_RSRC2:TGID_Y_EN: 1
; COMPUTE_PGM_RSRC2:TGID_Z_EN: 1
; COMPUTE_PGM_RSRC2:TIDIG_COMP_CNT: 1
	.section	.text._ZL29rocblas_internal_gemmt_kernelIiLi16ELi32ELi8ELc67ELc67ELc76ELb1ELb1E19rocblas_complex_numIdES1_PKS1_PS1_EviT_T9_T10_S5_lS7_S5_lS6_T11_S5_li,"axG",@progbits,_ZL29rocblas_internal_gemmt_kernelIiLi16ELi32ELi8ELc67ELc67ELc76ELb1ELb1E19rocblas_complex_numIdES1_PKS1_PS1_EviT_T9_T10_S5_lS7_S5_lS6_T11_S5_li,comdat
	.globl	_ZL29rocblas_internal_gemmt_kernelIiLi16ELi32ELi8ELc67ELc67ELc76ELb1ELb1E19rocblas_complex_numIdES1_PKS1_PS1_EviT_T9_T10_S5_lS7_S5_lS6_T11_S5_li ; -- Begin function _ZL29rocblas_internal_gemmt_kernelIiLi16ELi32ELi8ELc67ELc67ELc76ELb1ELb1E19rocblas_complex_numIdES1_PKS1_PS1_EviT_T9_T10_S5_lS7_S5_lS6_T11_S5_li
	.p2align	8
	.type	_ZL29rocblas_internal_gemmt_kernelIiLi16ELi32ELi8ELc67ELc67ELc76ELb1ELb1E19rocblas_complex_numIdES1_PKS1_PS1_EviT_T9_T10_S5_lS7_S5_lS6_T11_S5_li,@function
_ZL29rocblas_internal_gemmt_kernelIiLi16ELi32ELi8ELc67ELc67ELc76ELb1ELb1E19rocblas_complex_numIdES1_PKS1_PS1_EviT_T9_T10_S5_lS7_S5_lS6_T11_S5_li: ; @_ZL29rocblas_internal_gemmt_kernelIiLi16ELi32ELi8ELc67ELc67ELc76ELb1ELb1E19rocblas_complex_numIdES1_PKS1_PS1_EviT_T9_T10_S5_lS7_S5_lS6_T11_S5_li
; %bb.0:
	s_clause 0x2
	s_load_b256 s[8:15], s[0:1], 0x40
	s_load_b64 s[6:7], s[0:1], 0x0
	s_load_b128 s[16:19], s[0:1], 0x8
	s_wait_kmcnt 0x0
	v_cmp_eq_f64_e64 s2, s[10:11], 1.0
	v_cmp_eq_f64_e64 s4, s[12:13], 0
	s_and_b32 s2, s2, s4
	s_delay_alu instid0(SALU_CYCLE_1)
	s_and_not1_b32 vcc_lo, exec_lo, s2
	s_mov_b32 s2, -1
	s_cbranch_vccnz .LBB143_3
; %bb.1:
	s_cmp_lg_u32 s7, 0
	s_cbranch_scc0 .LBB143_34
; %bb.2:
	v_cmp_neq_f64_e64 s2, s[16:17], 0
	v_cmp_neq_f64_e64 s3, s[18:19], 0
	s_or_b32 s2, s2, s3
.LBB143_3:
	s_delay_alu instid0(SALU_CYCLE_1)
	s_and_b32 vcc_lo, exec_lo, s2
	s_cbranch_vccz .LBB143_35
; %bb.4:
	s_load_b32 s27, s[0:1], 0x70
	s_bfe_u32 s2, ttmp6, 0x40014
	s_lshr_b32 s3, ttmp7, 16
	s_add_co_i32 s2, s2, 1
	s_bfe_u32 s20, ttmp6, 0x40008
	s_mul_i32 s2, s3, s2
	s_getreg_b32 s5, hwreg(HW_REG_IB_STS2, 6, 4)
	s_add_co_i32 s20, s20, s2
	s_cmp_eq_u32 s5, 0
	s_mov_b32 s29, 0
	s_cselect_b32 s28, s3, s20
	s_wait_kmcnt 0x0
	s_cmp_ge_u32 s28, s27
	s_cbranch_scc1 .LBB143_35
; %bb.5:
	s_clause 0x2
	s_load_b96 s[24:26], s[0:1], 0x18
	s_load_b32 s34, s[0:1], 0x38
	s_load_b32 s2, s[0:1], 0x60
	v_and_b32_e32 v11, 0x3ff, v0
	v_bfe_u32 v17, v0, 10, 10
	s_clause 0x1
	s_load_b128 s[20:23], s[0:1], 0x28
	s_load_b64 s[30:31], s[0:1], 0x68
	s_wait_xcnt 0x0
	s_bfe_u32 s1, ttmp6, 0x4000c
	s_bfe_u32 s3, ttmp6, 0x40010
	s_and_b32 s33, ttmp7, 0xffff
	s_add_co_i32 s1, s1, 1
	s_add_co_i32 s3, s3, 1
	v_lshl_add_u32 v3, v17, 4, v11
	s_and_b32 s0, ttmp6, 15
	s_mul_i32 s38, ttmp9, s1
	s_mul_i32 s39, s33, s3
	s_bfe_u32 s40, ttmp6, 0x40004
	s_add_co_i32 s0, s0, s38
	s_add_co_i32 s40, s40, s39
	v_dual_mov_b32 v1, 0 :: v_dual_bitop2_b32 v10, 31, v3 bitop3:0x40
	s_wait_kmcnt 0x0
	s_ashr_i32 s1, s26, 31
	s_ashr_i32 s35, s34, 31
	;; [unrolled: 1-line block ×3, first 2 shown]
	s_cmp_eq_u32 s5, 0
	v_dual_lshrrev_b32 v0, 3, v3 :: v_dual_bitop2_b32 v8, 7, v0 bitop3:0x40
	s_cselect_b32 s0, ttmp9, s0
	s_cselect_b32 s5, s33, s40
	s_lshl_b32 s33, s0, 5
	s_delay_alu instid0(SALU_CYCLE_1) | instskip(SKIP_3) | instid1(VALU_DEP_3)
	v_dual_lshrrev_b32 v42, 5, v3 :: v_dual_bitop2_b32 v2, s33, v10 bitop3:0x54
	s_mov_b32 s0, s26
	v_cmp_neq_f64_e64 s36, s[16:17], 0
	v_cmp_neq_f64_e64 s37, s[18:19], 0
	v_dual_mov_b32 v9, v1 :: v_dual_ashrrev_i32 v3, 31, v2
	s_lshl_b32 s5, s5, 5
	v_cmp_neq_f64_e64 s38, s[10:11], 0
	v_dual_add_nc_u32 v18, s5, v0 :: v_dual_add_nc_u32 v20, s5, v17
	s_delay_alu instid0(VALU_DEP_3) | instskip(SKIP_4) | instid1(VALU_DEP_3)
	v_mul_u64_e32 v[4:5], s[0:1], v[2:3]
	v_mul_u64_e32 v[6:7], s[34:35], v[8:9]
	v_dual_lshlrev_b32 v3, 4, v8 :: v_dual_lshlrev_b32 v9, 4, v10
	v_cmp_gt_i32_e64 s0, s6, v2
	v_dual_add_nc_u32 v2, 16, v20 :: v_dual_ashrrev_i32 v21, 31, v20
	v_lshl_or_b32 v0, v0, 7, v3
	v_dual_add_nc_u32 v10, s33, v11 :: v_dual_ashrrev_i32 v19, 31, v18
	s_delay_alu instid0(VALU_DEP_3) | instskip(NEXT) | instid1(VALU_DEP_4)
	v_dual_lshlrev_b32 v44, 4, v11 :: v_dual_ashrrev_i32 v3, 31, v2
	v_mul_u64_e32 v[12:13], s[2:3], v[20:21]
	v_cmp_gt_i32_e64 s1, s6, v18
	s_delay_alu instid0(VALU_DEP_4)
	v_lshlrev_b64_e32 v[18:19], 4, v[18:19]
	v_add_nc_u32_e32 v43, 0x1000, v0
	v_mul_u64_e32 v[14:15], s[2:3], v[2:3]
	v_dual_add_nc_u32 v16, 16, v10 :: v_dual_ashrrev_i32 v11, 31, v10
	v_lshlrev_b32_e32 v0, 4, v42
	v_lshl_add_u32 v45, v17, 7, 0x1000
	v_cmp_le_i32_e32 vcc_lo, v20, v10
	s_delay_alu instid0(VALU_DEP_4)
	v_ashrrev_i32_e32 v17, 31, v16
	v_cmp_le_i32_e64 s5, v2, v16
	v_cmp_gt_i32_e64 s2, s6, v10
	s_or_b32 s36, s36, s37
	s_cmp_gt_i32 s7, 0
	v_lshl_or_b32 v9, v42, 9, v9
	s_cselect_b32 s37, -1, 0
	s_xor_b32 s3, s4, -1
	v_cmp_le_i32_e64 s4, v2, v10
	s_or_b32 s26, s38, s3
	v_lshl_add_u64 v[0:1], v[4:5], 4, v[0:1]
	v_lshl_add_u64 v[4:5], v[6:7], 4, v[18:19]
	s_and_b32 s33, vcc_lo, s2
	v_cmp_le_i32_e32 vcc_lo, v20, v16
	v_cmp_gt_i32_e64 s3, s6, v16
	v_add_nc_u64_e32 v[0:1], s[24:25], v[0:1]
	v_add_nc_u64_e32 v[2:3], s[22:23], v[4:5]
	s_and_b32 s22, s4, s2
	s_and_b32 s24, s36, s37
	s_and_b32 s6, vcc_lo, s3
	s_and_b32 s23, s5, s3
	s_lshl_b64 s[2:3], s[20:21], 4
	v_add_nc_u64_e32 v[18:19], 8, v[0:1]
	v_add_nc_u64_e32 v[20:21], 8, v[2:3]
	s_lshl_b64 s[4:5], s[8:9], 4
	s_lshl_b64 s[8:9], s[34:35], 7
	s_branch .LBB143_7
.LBB143_6:                              ;   in Loop: Header=BB143_7 Depth=1
	s_wait_xcnt 0x0
	s_or_b32 exec_lo, exec_lo, s20
	s_add_co_i32 s28, s28, 0x10000
	s_delay_alu instid0(SALU_CYCLE_1)
	s_cmp_lt_u32 s28, s27
	s_cbranch_scc0 .LBB143_35
.LBB143_7:                              ; =>This Loop Header: Depth=1
                                        ;     Child Loop BB143_10 Depth 2
	v_mov_b64_e32 v[38:39], 0
	v_mov_b64_e32 v[40:41], 0
	;; [unrolled: 1-line block ×8, first 2 shown]
	s_and_not1_b32 vcc_lo, exec_lo, s24
	s_cbranch_vccnz .LBB143_14
; %bb.8:                                ;   in Loop: Header=BB143_7 Depth=1
	v_mad_nc_u64_u32 v[26:27], s2, s28, v[18:19]
	v_mad_nc_u64_u32 v[28:29], s4, s28, v[20:21]
	v_mov_b64_e32 v[22:23], 0
	v_mov_b64_e32 v[24:25], 0
	;; [unrolled: 1-line block ×8, first 2 shown]
	s_mov_b32 s20, 0
	v_mad_u32 v27, s3, s28, v27
	v_mad_u32 v29, s5, s28, v29
	s_branch .LBB143_10
.LBB143_9:                              ;   in Loop: Header=BB143_10 Depth=2
	s_wait_xcnt 0x0
	s_or_b32 exec_lo, exec_lo, s21
	ds_store_b128 v43, v[4:7]
	s_wait_dscnt 0x0
	s_barrier_signal -1
	s_barrier_wait -1
	ds_load_b128 v[0:3], v45
	ds_load_b128 v[4:7], v44
	ds_load_b128 v[46:49], v44 offset:256
	ds_load_b128 v[50:53], v45 offset:2048
	;; [unrolled: 1-line block ×10, first 2 shown]
	v_add_nc_u64_e32 v[26:27], 0x80, v[26:27]
	v_add_nc_u64_e32 v[28:29], s[8:9], v[28:29]
	s_add_co_i32 s20, s20, 8
	s_delay_alu instid0(SALU_CYCLE_1)
	s_cmp_lt_i32 s20, s7
	s_wait_dscnt 0xa
	v_mul_f64_e32 v[86:87], v[2:3], v[6:7]
	v_mul_f64_e32 v[88:89], v[0:1], v[6:7]
	s_wait_dscnt 0x9
	v_mul_f64_e32 v[90:91], v[2:3], v[48:49]
	v_mul_f64_e32 v[92:93], v[0:1], v[48:49]
	s_wait_dscnt 0x8
	v_mul_f64_e32 v[94:95], v[52:53], v[6:7]
	v_mul_f64_e32 v[96:97], v[50:51], v[6:7]
	v_mul_f64_e32 v[6:7], v[52:53], v[48:49]
	v_mul_f64_e32 v[98:99], v[50:51], v[48:49]
	s_wait_dscnt 0x6
	v_mul_f64_e32 v[100:101], v[56:57], v[60:61]
	v_mul_f64_e32 v[102:103], v[54:55], v[60:61]
	s_wait_dscnt 0x5
	v_mul_f64_e32 v[104:105], v[56:57], v[64:65]
	v_mul_f64_e32 v[106:107], v[54:55], v[64:65]
	s_wait_dscnt 0x4
	v_mul_f64_e32 v[108:109], v[68:69], v[60:61]
	v_mul_f64_e32 v[60:61], v[66:67], v[60:61]
	v_mul_f64_e32 v[110:111], v[68:69], v[64:65]
	v_mul_f64_e32 v[64:65], v[66:67], v[64:65]
	;; [unrolled: 11-line block ×3, first 2 shown]
	v_fma_f64 v[86:87], v[0:1], v[4:5], -v[86:87]
	v_fmac_f64_e32 v[88:89], v[2:3], v[4:5]
	v_fma_f64 v[90:91], v[0:1], v[46:47], -v[90:91]
	v_fmac_f64_e32 v[92:93], v[2:3], v[46:47]
	;; [unrolled: 2-line block ×8, first 2 shown]
	ds_load_b128 v[0:3], v45 offset:48
	ds_load_b128 v[4:7], v45 offset:2096
	;; [unrolled: 1-line block ×4, first 2 shown]
	v_fma_f64 v[114:115], v[70:71], v[74:75], -v[114:115]
	v_fmac_f64_e32 v[116:117], v[72:73], v[74:75]
	v_fma_f64 v[70:71], v[70:71], v[78:79], -v[118:119]
	v_fmac_f64_e32 v[120:121], v[72:73], v[78:79]
	;; [unrolled: 2-line block ×4, first 2 shown]
	v_add_f64_e32 v[62:63], v[38:39], v[86:87]
	v_add_f64_e32 v[66:67], v[88:89], v[40:41]
	;; [unrolled: 1-line block ×8, first 2 shown]
	s_wait_dscnt 0x1
	v_mul_f64_e32 v[96:97], v[2:3], v[48:49]
	v_mul_f64_e32 v[98:99], v[0:1], v[48:49]
	s_wait_dscnt 0x0
	v_mul_f64_e32 v[104:105], v[2:3], v[52:53]
	v_mul_f64_e32 v[108:109], v[0:1], v[52:53]
	;; [unrolled: 1-line block ×6, first 2 shown]
	ds_load_b128 v[22:25], v45 offset:64
	ds_load_b128 v[30:33], v44 offset:2048
	;; [unrolled: 1-line block ×4, first 2 shown]
	v_add_f64_e32 v[78:79], v[62:63], v[100:101]
	v_add_f64_e32 v[82:83], v[102:103], v[66:67]
	;; [unrolled: 1-line block ×8, first 2 shown]
	s_wait_dscnt 0x2
	v_mul_f64_e32 v[94:95], v[24:25], v[32:33]
	v_mul_f64_e32 v[100:101], v[22:23], v[32:33]
	s_wait_dscnt 0x1
	v_mul_f64_e32 v[102:103], v[24:25], v[36:37]
	v_mul_f64_e32 v[106:107], v[22:23], v[36:37]
	;; [unrolled: 3-line block ×3, first 2 shown]
	v_mul_f64_e32 v[32:33], v[40:41], v[36:37]
	v_mul_f64_e32 v[124:125], v[38:39], v[36:37]
	v_fma_f64 v[36:37], v[0:1], v[46:47], -v[96:97]
	v_fmac_f64_e32 v[98:99], v[2:3], v[46:47]
	v_fma_f64 v[96:97], v[0:1], v[50:51], -v[104:105]
	v_fmac_f64_e32 v[108:109], v[2:3], v[50:51]
	;; [unrolled: 2-line block ×4, first 2 shown]
	ds_load_b128 v[52:55], v45 offset:80
	ds_load_b128 v[56:59], v45 offset:2128
	;; [unrolled: 1-line block ×4, first 2 shown]
	v_add_f64_e32 v[50:51], v[78:79], v[114:115]
	v_add_f64_e32 v[78:79], v[116:117], v[82:83]
	v_add_f64_e32 v[82:83], v[68:69], v[70:71]
	v_add_f64_e32 v[84:85], v[120:121], v[84:85]
	v_add_f64_e32 v[72:73], v[86:87], v[72:73]
	v_add_f64_e32 v[76:77], v[76:77], v[88:89]
	v_add_f64_e32 v[74:75], v[90:91], v[74:75]
	v_add_f64_e32 v[80:81], v[80:81], v[92:93]
	v_fma_f64 v[94:95], v[22:23], v[30:31], -v[94:95]
	v_fmac_f64_e32 v[100:101], v[24:25], v[30:31]
	v_fma_f64 v[102:103], v[22:23], v[34:35], -v[102:103]
	s_wait_dscnt 0x1
	v_mul_f64_e32 v[86:87], v[54:55], v[62:63]
	v_mul_f64_e32 v[88:89], v[52:53], v[62:63]
	s_wait_dscnt 0x0
	v_mul_f64_e32 v[90:91], v[54:55], v[66:67]
	v_mul_f64_e32 v[92:93], v[52:53], v[66:67]
	;; [unrolled: 1-line block ×6, first 2 shown]
	v_fmac_f64_e32 v[106:107], v[24:25], v[34:35]
	v_fma_f64 v[118:119], v[38:39], v[30:31], -v[118:119]
	v_fmac_f64_e32 v[122:123], v[40:41], v[30:31]
	v_fma_f64 v[120:121], v[38:39], v[34:35], -v[32:33]
	v_fmac_f64_e32 v[124:125], v[40:41], v[34:35]
	ds_load_b128 v[0:3], v45 offset:96
	ds_load_b128 v[4:7], v44 offset:3072
	;; [unrolled: 1-line block ×4, first 2 shown]
	v_add_f64_e32 v[50:51], v[50:51], v[36:37]
	v_add_f64_e32 v[78:79], v[98:99], v[78:79]
	;; [unrolled: 1-line block ×8, first 2 shown]
	ds_load_b128 v[22:25], v45 offset:112
	ds_load_b128 v[30:33], v45 offset:2160
	;; [unrolled: 1-line block ×4, first 2 shown]
	s_wait_dscnt 0x0
	v_mul_f64_e32 v[96:97], v[2:3], v[6:7]
	v_mul_f64_e32 v[98:99], v[0:1], v[6:7]
	;; [unrolled: 1-line block ×8, first 2 shown]
	v_fma_f64 v[86:87], v[52:53], v[60:61], -v[86:87]
	v_fmac_f64_e32 v[88:89], v[54:55], v[60:61]
	v_fma_f64 v[52:53], v[52:53], v[64:65], -v[90:91]
	v_fmac_f64_e32 v[92:93], v[54:55], v[64:65]
	v_fma_f64 v[54:55], v[56:57], v[60:61], -v[114:115]
	v_fmac_f64_e32 v[62:63], v[58:59], v[60:61]
	v_fma_f64 v[56:57], v[56:57], v[64:65], -v[116:117]
	v_fmac_f64_e32 v[66:67], v[58:59], v[64:65]
	s_barrier_signal -1
	s_barrier_wait -1
	v_mul_f64_e32 v[90:91], v[22:23], v[40:41]
	v_add_f64_e32 v[50:51], v[50:51], v[94:95]
	v_add_f64_e32 v[58:59], v[100:101], v[78:79]
	;; [unrolled: 1-line block ×8, first 2 shown]
	v_mul_f64_e32 v[80:81], v[24:25], v[36:37]
	v_mul_f64_e32 v[82:83], v[22:23], v[36:37]
	;; [unrolled: 1-line block ×7, first 2 shown]
	v_fma_f64 v[40:41], v[0:1], v[4:5], -v[96:97]
	v_fmac_f64_e32 v[98:99], v[2:3], v[4:5]
	v_fma_f64 v[0:1], v[0:1], v[46:47], -v[104:105]
	v_fmac_f64_e32 v[108:109], v[2:3], v[46:47]
	;; [unrolled: 2-line block ×4, first 2 shown]
	v_fmac_f64_e32 v[90:91], v[24:25], v[38:39]
	v_add_f64_e32 v[46:47], v[50:51], v[86:87]
	v_add_f64_e32 v[50:51], v[88:89], v[58:59]
	;; [unrolled: 1-line block ×8, first 2 shown]
	v_fma_f64 v[64:65], v[22:23], v[34:35], -v[80:81]
	v_fmac_f64_e32 v[82:83], v[24:25], v[34:35]
	v_fma_f64 v[22:23], v[22:23], v[38:39], -v[84:85]
	v_fma_f64 v[24:25], v[30:31], v[34:35], -v[94:95]
	v_fmac_f64_e32 v[100:101], v[32:33], v[34:35]
	v_fma_f64 v[66:67], v[30:31], v[38:39], -v[36:37]
	v_fmac_f64_e32 v[102:103], v[32:33], v[38:39]
	v_add_f64_e32 v[30:31], v[46:47], v[40:41]
	v_add_f64_e32 v[32:33], v[98:99], v[50:51]
	;; [unrolled: 1-line block ×16, first 2 shown]
	s_cbranch_scc0 .LBB143_14
.LBB143_10:                             ;   Parent Loop BB143_7 Depth=1
                                        ; =>  This Inner Loop Header: Depth=2
	v_add_nc_u32_e32 v2, s20, v42
	v_mov_b64_e32 v[0:1], 0
	s_delay_alu instid0(VALU_DEP_2) | instskip(SKIP_2) | instid1(SALU_CYCLE_1)
	v_cmp_gt_i32_e32 vcc_lo, s7, v2
	v_mov_b64_e32 v[2:3], 0
	s_and_b32 s25, s0, vcc_lo
	s_and_saveexec_b32 s21, s25
	s_cbranch_execz .LBB143_12
; %bb.11:                               ;   in Loop: Header=BB143_10 Depth=2
	global_load_b128 v[0:3], v[26:27], off offset:-8
	s_wait_loadcnt 0x0
	v_xor_b32_e32 v3, 0x80000000, v3
.LBB143_12:                             ;   in Loop: Header=BB143_10 Depth=2
	s_wait_xcnt 0x0
	s_or_b32 exec_lo, exec_lo, s21
	v_add_nc_u32_e32 v6, s20, v8
	v_mov_b64_e32 v[4:5], 0
	ds_store_b128 v9, v[0:3]
	v_cmp_gt_i32_e32 vcc_lo, s7, v6
	v_mov_b64_e32 v[6:7], 0
	s_and_b32 s25, vcc_lo, s1
	s_delay_alu instid0(SALU_CYCLE_1)
	s_and_saveexec_b32 s21, s25
	s_cbranch_execz .LBB143_9
; %bb.13:                               ;   in Loop: Header=BB143_10 Depth=2
	global_load_b128 v[4:7], v[28:29], off offset:-8
	s_wait_loadcnt 0x0
	v_xor_b32_e32 v7, 0x80000000, v7
	s_branch .LBB143_9
.LBB143_14:                             ;   in Loop: Header=BB143_7 Depth=1
	s_mul_u64 s[20:21], s[30:31], s[28:29]
	s_delay_alu instid0(SALU_CYCLE_1) | instskip(NEXT) | instid1(SALU_CYCLE_1)
	s_lshl_b64 s[20:21], s[20:21], 4
	s_add_nc_u64 s[20:21], s[14:15], s[20:21]
	s_delay_alu instid0(SALU_CYCLE_1)
	v_lshl_add_u64 v[4:5], v[12:13], 4, s[20:21]
	s_and_saveexec_b32 s25, s33
	s_cbranch_execz .LBB143_19
; %bb.15:                               ;   in Loop: Header=BB143_7 Depth=1
	v_mul_f64_e32 v[0:1], s[18:19], v[40:41]
	v_mul_f64_e32 v[2:3], s[16:17], v[40:41]
	v_lshl_add_u64 v[6:7], v[10:11], 4, v[4:5]
	s_and_b32 vcc_lo, exec_lo, s26
	s_mov_b32 s34, -1
	s_delay_alu instid0(VALU_DEP_3) | instskip(NEXT) | instid1(VALU_DEP_3)
	v_fma_f64 v[0:1], s[16:17], v[38:39], -v[0:1]
	v_fmac_f64_e32 v[2:3], s[18:19], v[38:39]
	s_cbranch_vccz .LBB143_17
; %bb.16:                               ;   in Loop: Header=BB143_7 Depth=1
	global_load_b128 v[26:29], v[6:7], off
	s_mov_b32 s34, 0
	s_wait_loadcnt 0x0
	v_mul_f64_e32 v[38:39], s[12:13], v[28:29]
	v_mul_f64_e32 v[28:29], s[10:11], v[28:29]
	s_delay_alu instid0(VALU_DEP_2) | instskip(NEXT) | instid1(VALU_DEP_2)
	v_fma_f64 v[38:39], s[10:11], v[26:27], -v[38:39]
	v_fmac_f64_e32 v[28:29], s[12:13], v[26:27]
	s_delay_alu instid0(VALU_DEP_2) | instskip(NEXT) | instid1(VALU_DEP_2)
	v_add_f64_e32 v[26:27], v[0:1], v[38:39]
	v_add_f64_e32 v[28:29], v[2:3], v[28:29]
	global_store_b128 v[6:7], v[26:29], off
.LBB143_17:                             ;   in Loop: Header=BB143_7 Depth=1
	s_and_not1_b32 vcc_lo, exec_lo, s34
	s_cbranch_vccnz .LBB143_19
; %bb.18:                               ;   in Loop: Header=BB143_7 Depth=1
	global_store_b128 v[6:7], v[0:3], off
.LBB143_19:                             ;   in Loop: Header=BB143_7 Depth=1
	s_wait_xcnt 0x0
	s_or_b32 exec_lo, exec_lo, s25
	s_and_saveexec_b32 s25, s6
	s_cbranch_execz .LBB143_24
; %bb.20:                               ;   in Loop: Header=BB143_7 Depth=1
	v_mul_f64_e32 v[0:1], s[18:19], v[36:37]
	v_mul_f64_e32 v[2:3], s[16:17], v[36:37]
	v_lshl_add_u64 v[4:5], v[16:17], 4, v[4:5]
	s_and_not1_b32 vcc_lo, exec_lo, s26
	s_mov_b32 s34, -1
	s_delay_alu instid0(VALU_DEP_3) | instskip(NEXT) | instid1(VALU_DEP_3)
	v_fma_f64 v[0:1], s[16:17], v[34:35], -v[0:1]
	v_fmac_f64_e32 v[2:3], s[18:19], v[34:35]
	s_cbranch_vccnz .LBB143_22
; %bb.21:                               ;   in Loop: Header=BB143_7 Depth=1
	global_load_b128 v[26:29], v[4:5], off
	s_mov_b32 s34, 0
	s_wait_loadcnt 0x0
	v_mul_f64_e32 v[6:7], s[12:13], v[28:29]
	v_mul_f64_e32 v[28:29], s[10:11], v[28:29]
	s_delay_alu instid0(VALU_DEP_2) | instskip(NEXT) | instid1(VALU_DEP_2)
	v_fma_f64 v[6:7], s[10:11], v[26:27], -v[6:7]
	v_fmac_f64_e32 v[28:29], s[12:13], v[26:27]
	s_delay_alu instid0(VALU_DEP_2) | instskip(NEXT) | instid1(VALU_DEP_2)
	v_add_f64_e32 v[26:27], v[0:1], v[6:7]
	v_add_f64_e32 v[28:29], v[2:3], v[28:29]
	global_store_b128 v[4:5], v[26:29], off
.LBB143_22:                             ;   in Loop: Header=BB143_7 Depth=1
	s_and_not1_b32 vcc_lo, exec_lo, s34
	s_cbranch_vccnz .LBB143_24
; %bb.23:                               ;   in Loop: Header=BB143_7 Depth=1
	global_store_b128 v[4:5], v[0:3], off
.LBB143_24:                             ;   in Loop: Header=BB143_7 Depth=1
	s_wait_xcnt 0x0
	s_or_b32 exec_lo, exec_lo, s25
	v_lshl_add_u64 v[4:5], v[14:15], 4, s[20:21]
	s_and_saveexec_b32 s20, s22
	s_cbranch_execz .LBB143_29
; %bb.25:                               ;   in Loop: Header=BB143_7 Depth=1
	v_mul_f64_e32 v[0:1], s[18:19], v[32:33]
	v_mul_f64_e32 v[2:3], s[16:17], v[32:33]
	v_lshl_add_u64 v[6:7], v[10:11], 4, v[4:5]
	s_and_not1_b32 vcc_lo, exec_lo, s26
	s_mov_b32 s21, -1
	s_delay_alu instid0(VALU_DEP_3) | instskip(NEXT) | instid1(VALU_DEP_3)
	v_fma_f64 v[0:1], s[16:17], v[30:31], -v[0:1]
	v_fmac_f64_e32 v[2:3], s[18:19], v[30:31]
	s_cbranch_vccnz .LBB143_27
; %bb.26:                               ;   in Loop: Header=BB143_7 Depth=1
	global_load_b128 v[26:29], v[6:7], off
	s_mov_b32 s21, 0
	s_wait_loadcnt 0x0
	v_mul_f64_e32 v[30:31], s[12:13], v[28:29]
	v_mul_f64_e32 v[28:29], s[10:11], v[28:29]
	s_delay_alu instid0(VALU_DEP_2) | instskip(NEXT) | instid1(VALU_DEP_2)
	v_fma_f64 v[30:31], s[10:11], v[26:27], -v[30:31]
	v_fmac_f64_e32 v[28:29], s[12:13], v[26:27]
	s_delay_alu instid0(VALU_DEP_2) | instskip(NEXT) | instid1(VALU_DEP_2)
	v_add_f64_e32 v[26:27], v[0:1], v[30:31]
	v_add_f64_e32 v[28:29], v[2:3], v[28:29]
	global_store_b128 v[6:7], v[26:29], off
.LBB143_27:                             ;   in Loop: Header=BB143_7 Depth=1
	s_and_not1_b32 vcc_lo, exec_lo, s21
	s_cbranch_vccnz .LBB143_29
; %bb.28:                               ;   in Loop: Header=BB143_7 Depth=1
	global_store_b128 v[6:7], v[0:3], off
.LBB143_29:                             ;   in Loop: Header=BB143_7 Depth=1
	s_wait_xcnt 0x0
	s_or_b32 exec_lo, exec_lo, s20
	s_and_saveexec_b32 s20, s23
	s_cbranch_execz .LBB143_6
; %bb.30:                               ;   in Loop: Header=BB143_7 Depth=1
	s_delay_alu instid0(VALU_DEP_3) | instskip(SKIP_4) | instid1(VALU_DEP_3)
	v_mul_f64_e32 v[0:1], s[18:19], v[22:23]
	v_mul_f64_e32 v[2:3], s[16:17], v[22:23]
	v_lshl_add_u64 v[4:5], v[16:17], 4, v[4:5]
	s_and_not1_b32 vcc_lo, exec_lo, s26
	s_mov_b32 s21, -1
	v_fma_f64 v[0:1], s[16:17], v[24:25], -v[0:1]
	s_delay_alu instid0(VALU_DEP_3)
	v_fmac_f64_e32 v[2:3], s[18:19], v[24:25]
	s_cbranch_vccnz .LBB143_32
; %bb.31:                               ;   in Loop: Header=BB143_7 Depth=1
	global_load_b128 v[22:25], v[4:5], off
	s_mov_b32 s21, 0
	s_wait_loadcnt 0x0
	v_mul_f64_e32 v[6:7], s[12:13], v[24:25]
	v_mul_f64_e32 v[24:25], s[10:11], v[24:25]
	s_delay_alu instid0(VALU_DEP_2) | instskip(NEXT) | instid1(VALU_DEP_2)
	v_fma_f64 v[6:7], s[10:11], v[22:23], -v[6:7]
	v_fmac_f64_e32 v[24:25], s[12:13], v[22:23]
	s_delay_alu instid0(VALU_DEP_2) | instskip(NEXT) | instid1(VALU_DEP_2)
	v_add_f64_e32 v[22:23], v[0:1], v[6:7]
	v_add_f64_e32 v[24:25], v[2:3], v[24:25]
	global_store_b128 v[4:5], v[22:25], off
.LBB143_32:                             ;   in Loop: Header=BB143_7 Depth=1
	s_and_not1_b32 vcc_lo, exec_lo, s21
	s_cbranch_vccnz .LBB143_6
; %bb.33:                               ;   in Loop: Header=BB143_7 Depth=1
	global_store_b128 v[4:5], v[0:3], off
	s_branch .LBB143_6
.LBB143_34:
.LBB143_35:
	s_sendmsg sendmsg(MSG_DEALLOC_VGPRS)
	s_endpgm
	.section	.rodata,"a",@progbits
	.p2align	6, 0x0
	.amdhsa_kernel _ZL29rocblas_internal_gemmt_kernelIiLi16ELi32ELi8ELc67ELc67ELc76ELb1ELb1E19rocblas_complex_numIdES1_PKS1_PS1_EviT_T9_T10_S5_lS7_S5_lS6_T11_S5_li
		.amdhsa_group_segment_fixed_size 8192
		.amdhsa_private_segment_fixed_size 0
		.amdhsa_kernarg_size 116
		.amdhsa_user_sgpr_count 2
		.amdhsa_user_sgpr_dispatch_ptr 0
		.amdhsa_user_sgpr_queue_ptr 0
		.amdhsa_user_sgpr_kernarg_segment_ptr 1
		.amdhsa_user_sgpr_dispatch_id 0
		.amdhsa_user_sgpr_kernarg_preload_length 0
		.amdhsa_user_sgpr_kernarg_preload_offset 0
		.amdhsa_user_sgpr_private_segment_size 0
		.amdhsa_wavefront_size32 1
		.amdhsa_uses_dynamic_stack 0
		.amdhsa_enable_private_segment 0
		.amdhsa_system_sgpr_workgroup_id_x 1
		.amdhsa_system_sgpr_workgroup_id_y 1
		.amdhsa_system_sgpr_workgroup_id_z 1
		.amdhsa_system_sgpr_workgroup_info 0
		.amdhsa_system_vgpr_workitem_id 1
		.amdhsa_next_free_vgpr 128
		.amdhsa_next_free_sgpr 41
		.amdhsa_named_barrier_count 0
		.amdhsa_reserve_vcc 1
		.amdhsa_float_round_mode_32 0
		.amdhsa_float_round_mode_16_64 0
		.amdhsa_float_denorm_mode_32 3
		.amdhsa_float_denorm_mode_16_64 3
		.amdhsa_fp16_overflow 0
		.amdhsa_memory_ordered 1
		.amdhsa_forward_progress 1
		.amdhsa_inst_pref_size 23
		.amdhsa_round_robin_scheduling 0
		.amdhsa_exception_fp_ieee_invalid_op 0
		.amdhsa_exception_fp_denorm_src 0
		.amdhsa_exception_fp_ieee_div_zero 0
		.amdhsa_exception_fp_ieee_overflow 0
		.amdhsa_exception_fp_ieee_underflow 0
		.amdhsa_exception_fp_ieee_inexact 0
		.amdhsa_exception_int_div_zero 0
	.end_amdhsa_kernel
	.section	.text._ZL29rocblas_internal_gemmt_kernelIiLi16ELi32ELi8ELc67ELc67ELc76ELb1ELb1E19rocblas_complex_numIdES1_PKS1_PS1_EviT_T9_T10_S5_lS7_S5_lS6_T11_S5_li,"axG",@progbits,_ZL29rocblas_internal_gemmt_kernelIiLi16ELi32ELi8ELc67ELc67ELc76ELb1ELb1E19rocblas_complex_numIdES1_PKS1_PS1_EviT_T9_T10_S5_lS7_S5_lS6_T11_S5_li,comdat
.Lfunc_end143:
	.size	_ZL29rocblas_internal_gemmt_kernelIiLi16ELi32ELi8ELc67ELc67ELc76ELb1ELb1E19rocblas_complex_numIdES1_PKS1_PS1_EviT_T9_T10_S5_lS7_S5_lS6_T11_S5_li, .Lfunc_end143-_ZL29rocblas_internal_gemmt_kernelIiLi16ELi32ELi8ELc67ELc67ELc76ELb1ELb1E19rocblas_complex_numIdES1_PKS1_PS1_EviT_T9_T10_S5_lS7_S5_lS6_T11_S5_li
                                        ; -- End function
	.set _ZL29rocblas_internal_gemmt_kernelIiLi16ELi32ELi8ELc67ELc67ELc76ELb1ELb1E19rocblas_complex_numIdES1_PKS1_PS1_EviT_T9_T10_S5_lS7_S5_lS6_T11_S5_li.num_vgpr, 128
	.set _ZL29rocblas_internal_gemmt_kernelIiLi16ELi32ELi8ELc67ELc67ELc76ELb1ELb1E19rocblas_complex_numIdES1_PKS1_PS1_EviT_T9_T10_S5_lS7_S5_lS6_T11_S5_li.num_agpr, 0
	.set _ZL29rocblas_internal_gemmt_kernelIiLi16ELi32ELi8ELc67ELc67ELc76ELb1ELb1E19rocblas_complex_numIdES1_PKS1_PS1_EviT_T9_T10_S5_lS7_S5_lS6_T11_S5_li.numbered_sgpr, 41
	.set _ZL29rocblas_internal_gemmt_kernelIiLi16ELi32ELi8ELc67ELc67ELc76ELb1ELb1E19rocblas_complex_numIdES1_PKS1_PS1_EviT_T9_T10_S5_lS7_S5_lS6_T11_S5_li.num_named_barrier, 0
	.set _ZL29rocblas_internal_gemmt_kernelIiLi16ELi32ELi8ELc67ELc67ELc76ELb1ELb1E19rocblas_complex_numIdES1_PKS1_PS1_EviT_T9_T10_S5_lS7_S5_lS6_T11_S5_li.private_seg_size, 0
	.set _ZL29rocblas_internal_gemmt_kernelIiLi16ELi32ELi8ELc67ELc67ELc76ELb1ELb1E19rocblas_complex_numIdES1_PKS1_PS1_EviT_T9_T10_S5_lS7_S5_lS6_T11_S5_li.uses_vcc, 1
	.set _ZL29rocblas_internal_gemmt_kernelIiLi16ELi32ELi8ELc67ELc67ELc76ELb1ELb1E19rocblas_complex_numIdES1_PKS1_PS1_EviT_T9_T10_S5_lS7_S5_lS6_T11_S5_li.uses_flat_scratch, 0
	.set _ZL29rocblas_internal_gemmt_kernelIiLi16ELi32ELi8ELc67ELc67ELc76ELb1ELb1E19rocblas_complex_numIdES1_PKS1_PS1_EviT_T9_T10_S5_lS7_S5_lS6_T11_S5_li.has_dyn_sized_stack, 0
	.set _ZL29rocblas_internal_gemmt_kernelIiLi16ELi32ELi8ELc67ELc67ELc76ELb1ELb1E19rocblas_complex_numIdES1_PKS1_PS1_EviT_T9_T10_S5_lS7_S5_lS6_T11_S5_li.has_recursion, 0
	.set _ZL29rocblas_internal_gemmt_kernelIiLi16ELi32ELi8ELc67ELc67ELc76ELb1ELb1E19rocblas_complex_numIdES1_PKS1_PS1_EviT_T9_T10_S5_lS7_S5_lS6_T11_S5_li.has_indirect_call, 0
	.section	.AMDGPU.csdata,"",@progbits
; Kernel info:
; codeLenInByte = 2916
; TotalNumSgprs: 43
; NumVgprs: 128
; ScratchSize: 0
; MemoryBound: 1
; FloatMode: 240
; IeeeMode: 1
; LDSByteSize: 8192 bytes/workgroup (compile time only)
; SGPRBlocks: 0
; VGPRBlocks: 7
; NumSGPRsForWavesPerEU: 43
; NumVGPRsForWavesPerEU: 128
; NamedBarCnt: 0
; Occupancy: 8
; WaveLimiterHint : 0
; COMPUTE_PGM_RSRC2:SCRATCH_EN: 0
; COMPUTE_PGM_RSRC2:USER_SGPR: 2
; COMPUTE_PGM_RSRC2:TRAP_HANDLER: 0
; COMPUTE_PGM_RSRC2:TGID_X_EN: 1
; COMPUTE_PGM_RSRC2:TGID_Y_EN: 1
; COMPUTE_PGM_RSRC2:TGID_Z_EN: 1
; COMPUTE_PGM_RSRC2:TIDIG_COMP_CNT: 1
	.section	.text._ZL29rocblas_internal_gemmt_kernelIlLi16ELi32ELi8ELc78ELc78ELc85ELb0ELb0EfPKfS1_PfEviT_T9_T10_S3_lS5_S3_lS4_T11_S3_li,"axG",@progbits,_ZL29rocblas_internal_gemmt_kernelIlLi16ELi32ELi8ELc78ELc78ELc85ELb0ELb0EfPKfS1_PfEviT_T9_T10_S3_lS5_S3_lS4_T11_S3_li,comdat
	.globl	_ZL29rocblas_internal_gemmt_kernelIlLi16ELi32ELi8ELc78ELc78ELc85ELb0ELb0EfPKfS1_PfEviT_T9_T10_S3_lS5_S3_lS4_T11_S3_li ; -- Begin function _ZL29rocblas_internal_gemmt_kernelIlLi16ELi32ELi8ELc78ELc78ELc85ELb0ELb0EfPKfS1_PfEviT_T9_T10_S3_lS5_S3_lS4_T11_S3_li
	.p2align	8
	.type	_ZL29rocblas_internal_gemmt_kernelIlLi16ELi32ELi8ELc78ELc78ELc85ELb0ELb0EfPKfS1_PfEviT_T9_T10_S3_lS5_S3_lS4_T11_S3_li,@function
_ZL29rocblas_internal_gemmt_kernelIlLi16ELi32ELi8ELc78ELc78ELc85ELb0ELb0EfPKfS1_PfEviT_T9_T10_S3_lS5_S3_lS4_T11_S3_li: ; @_ZL29rocblas_internal_gemmt_kernelIlLi16ELi32ELi8ELc78ELc78ELc85ELb0ELb0EfPKfS1_PfEviT_T9_T10_S3_lS5_S3_lS4_T11_S3_li
; %bb.0:
	s_clause 0x1
	s_load_b256 s[24:31], s[0:1], 0x48
	s_load_b512 s[8:23], s[0:1], 0x8
	s_wait_kmcnt 0x0
	s_load_b32 s33, s[24:25], 0x0
	s_load_b32 s34, s[10:11], 0x0
	s_wait_kmcnt 0x0
	s_cmp_neq_f32 s33, 1.0
	s_cselect_b32 s2, -1, 0
	s_delay_alu instid0(SALU_CYCLE_1)
	s_and_b32 vcc_lo, exec_lo, s2
	s_cbranch_vccnz .LBB144_2
; %bb.1:
	s_cmp_lg_u64 s[8:9], 0
	s_cselect_b32 s2, -1, 0
	s_cmp_neq_f32 s34, 0
	s_cselect_b32 s3, -1, 0
	s_delay_alu instid0(SALU_CYCLE_1)
	s_and_b32 s2, s2, s3
.LBB144_2:
	s_delay_alu instid0(SALU_CYCLE_1)
	s_and_not1_b32 vcc_lo, exec_lo, s2
	s_cbranch_vccnz .LBB144_35
; %bb.3:
	s_load_b32 s10, s[0:1], 0x68
	s_bfe_u32 s2, ttmp6, 0x40014
	s_lshr_b32 s3, ttmp7, 16
	s_add_co_i32 s2, s2, 1
	s_bfe_u32 s5, ttmp6, 0x40008
	s_mul_i32 s4, s3, s2
	s_getreg_b32 s2, hwreg(HW_REG_IB_STS2, 6, 4)
	s_add_co_i32 s5, s5, s4
	s_cmp_eq_u32 s2, 0
	s_mov_b32 s7, 0
	s_cselect_b32 s6, s3, s5
	s_wait_kmcnt 0x0
	s_cmp_ge_u32 s6, s10
	s_cbranch_scc1 .LBB144_35
; %bb.4:
	s_bfe_u32 s3, ttmp6, 0x4000c
	s_bfe_u32 s5, ttmp6, 0x40010
	v_and_b32_e32 v8, 0x3ff, v0
	v_bfe_u32 v2, v0, 10, 10
	s_add_co_i32 s3, s3, 1
	s_and_b32 s11, ttmp7, 0xffff
	s_add_co_i32 s5, s5, 1
	s_and_b32 s4, ttmp6, 15
	s_mul_i32 s3, ttmp9, s3
	s_mul_i32 s5, s11, s5
	s_bfe_u32 s24, ttmp6, 0x40004
	v_lshl_add_u32 v4, v2, 4, v8
	s_add_co_i32 s4, s4, s3
	s_add_co_i32 s24, s24, s5
	s_cmp_eq_u32 s2, 0
	v_lshl_add_u32 v3, v2, 5, 0x400
	s_cselect_b32 s2, s11, s24
	s_cselect_b32 s3, ttmp9, s4
	s_lshl_b32 s2, s2, 5
	s_delay_alu instid0(SALU_CYCLE_1) | instskip(SKIP_3) | instid1(VALU_DEP_3)
	v_dual_lshrrev_b32 v9, 3, v4 :: v_dual_add_nc_u32 v14, s2, v2
	v_and_b32_e32 v0, 7, v0
	s_load_b32 s4, s[0:1], 0x0
	v_dual_lshrrev_b32 v2, 5, v4 :: v_dual_bitop2_b32 v11, 31, v4 bitop3:0x40
	v_dual_add_nc_u32 v12, s2, v9 :: v_dual_add_nc_u32 v18, 16, v14
	s_delay_alu instid0(VALU_DEP_3) | instskip(SKIP_1) | instid1(VALU_DEP_3)
	v_dual_lshlrev_b32 v10, 2, v0 :: v_dual_ashrrev_i32 v15, 31, v14
	v_lshlrev_b32_e32 v1, 2, v8
	v_dual_ashrrev_i32 v13, 31, v12 :: v_dual_ashrrev_i32 v19, 31, v18
	s_wait_xcnt 0x0
	s_lshl_b32 s0, s3, 5
	v_mul_u64_e32 v[4:5], s[28:29], v[14:15]
	v_dual_add_nc_u32 v8, s0, v8 :: v_dual_bitop2_b32 v20, s0, v11 bitop3:0x54
	v_mul_u64_e32 v[16:17], s[20:21], v[12:13]
	v_mul_u64_e32 v[6:7], s[28:29], v[18:19]
	v_lshl_or_b32 v13, v9, 5, v10
	s_delay_alu instid0(VALU_DEP_4)
	v_add_nc_u32_e32 v10, 16, v8
	s_cmp_neq_f32 s34, 0
	v_dual_lshlrev_b32 v11, 2, v11 :: v_dual_ashrrev_i32 v9, 31, v8
	v_cmp_le_i32_e32 vcc_lo, v8, v14
	s_wait_kmcnt 0x0
	v_cmp_gt_i32_e64 s2, s4, v14
	v_cmp_le_i32_e64 s3, v10, v14
	s_cselect_b32 s20, -1, 0
	s_cmp_neq_f32 s33, 0
	v_cmp_gt_i64_e64 s24, s[8:9], 0
	v_cmp_gt_i32_e64 s0, s4, v20
	v_lshl_or_b32 v26, v2, 7, v11
	v_cmp_gt_i32_e64 s1, s4, v12
	v_add_nc_u32_e32 v27, 0x400, v13
	s_cselect_b32 s11, -1, 0
	v_lshl_add_u64 v[14:15], v[16:17], 2, s[18:19]
	v_dual_mov_b32 v17, 0 :: v_dual_ashrrev_i32 v21, 31, v20
	v_ashrrev_i32_e32 v11, 31, v10
	v_cmp_le_i32_e64 s5, v10, v18
	s_and_b32 s18, s2, s3
	v_lshl_add_u64 v[12:13], v[20:21], 2, s[12:13]
	s_and_b32 s12, s2, vcc_lo
	v_cmp_gt_i32_e32 vcc_lo, s4, v18
	v_cmp_le_i32_e64 s4, v8, v18
	s_and_b32 s13, s20, s24
	s_and_b32 s5, vcc_lo, s5
	s_and_b32 s4, vcc_lo, s4
	s_branch .LBB144_6
.LBB144_5:                              ;   in Loop: Header=BB144_6 Depth=1
	s_wait_xcnt 0x0
	s_or_b32 exec_lo, exec_lo, s2
	s_add_co_i32 s6, s6, 0x10000
	s_delay_alu instid0(SALU_CYCLE_1)
	s_cmp_lt_u32 s6, s10
	s_cbranch_scc0 .LBB144_35
.LBB144_6:                              ; =>This Loop Header: Depth=1
                                        ;     Child Loop BB144_9 Depth 2
	v_dual_mov_b32 v25, v17 :: v_dual_mov_b32 v24, v17
	v_dual_mov_b32 v19, v17 :: v_dual_mov_b32 v18, v17
	s_and_not1_b32 vcc_lo, exec_lo, s13
	s_cbranch_vccnz .LBB144_15
; %bb.7:                                ;   in Loop: Header=BB144_6 Depth=1
	v_mov_b32_e32 v18, 0
	s_mul_u64 s[2:3], s[16:17], s[6:7]
	s_mul_u64 s[20:21], s[22:23], s[6:7]
	v_lshl_add_u64 v[20:21], s[2:3], 2, v[12:13]
	v_lshl_add_u64 v[22:23], s[20:21], 2, v[14:15]
	v_dual_mov_b32 v19, v18 :: v_dual_mov_b32 v24, v18
	v_mov_b32_e32 v25, v18
	s_mov_b64 s[2:3], 0
	s_branch .LBB144_9
.LBB144_8:                              ;   in Loop: Header=BB144_9 Depth=2
	s_wait_xcnt 0x0
	s_or_b32 exec_lo, exec_lo, s19
	s_wait_loadcnt 0x0
	ds_store_b32 v27, v29
	s_wait_dscnt 0x0
	s_barrier_signal -1
	s_barrier_wait -1
	ds_load_b128 v[28:31], v3
	ds_load_2addr_b32 v[44:45], v1 offset1:16
	ds_load_b128 v[32:35], v3 offset:512
	ds_load_2addr_b32 v[46:47], v1 offset0:32 offset1:48
	ds_load_2addr_b32 v[48:49], v1 offset0:64 offset1:80
	;; [unrolled: 1-line block ×3, first 2 shown]
	ds_load_b128 v[36:39], v3 offset:16
	ds_load_2addr_b32 v[52:53], v1 offset0:128 offset1:144
	ds_load_b128 v[40:43], v3 offset:528
	s_add_nc_u64 s[2:3], s[2:3], 8
	s_delay_alu instid0(SALU_CYCLE_1)
	v_cmp_gt_i64_e64 s19, s[8:9], s[2:3]
	s_and_b32 vcc_lo, exec_lo, s19
	s_wait_dscnt 0x8
	v_mov_b32_e32 v16, v31
	s_wait_dscnt 0x7
	v_pk_fma_f32 v[24:25], v[44:45], v[28:29], v[24:25] op_sel_hi:[1,0,1]
	s_wait_dscnt 0x6
	v_pk_fma_f32 v[18:19], v[44:45], v[32:33], v[18:19] op_sel_hi:[1,0,1]
	ds_load_2addr_b32 v[44:45], v1 offset0:160 offset1:176
	s_wait_dscnt 0x6
	v_pk_fma_f32 v[24:25], v[46:47], v[28:29], v[24:25] op_sel:[0,1,0]
	v_pk_fma_f32 v[18:19], v[46:47], v[32:33], v[18:19] op_sel:[0,1,0]
	ds_load_2addr_b32 v[28:29], v1 offset0:192 offset1:208
	v_mov_b32_e32 v32, v35
	s_wait_dscnt 0x6
	v_pk_fma_f32 v[24:25], v[48:49], v[30:31], v[24:25] op_sel_hi:[1,0,1]
	v_pk_fma_f32 v[18:19], v[48:49], v[34:35], v[18:19] op_sel_hi:[1,0,1]
	ds_load_2addr_b32 v[30:31], v1 offset0:224 offset1:240
	s_wait_dscnt 0x0
	s_barrier_signal -1
	v_pk_fma_f32 v[24:25], v[50:51], v[16:17], v[24:25] op_sel_hi:[1,0,1]
	v_pk_fma_f32 v[18:19], v[50:51], v[32:33], v[18:19] op_sel_hi:[1,0,1]
	v_dual_mov_b32 v16, v39 :: v_dual_mov_b32 v32, v43
	s_barrier_wait -1
	s_delay_alu instid0(VALU_DEP_3) | instskip(NEXT) | instid1(VALU_DEP_3)
	v_pk_fma_f32 v[24:25], v[52:53], v[36:37], v[24:25] op_sel_hi:[1,0,1]
	v_pk_fma_f32 v[18:19], v[52:53], v[40:41], v[18:19] op_sel_hi:[1,0,1]
	s_delay_alu instid0(VALU_DEP_2) | instskip(NEXT) | instid1(VALU_DEP_2)
	v_pk_fma_f32 v[24:25], v[44:45], v[36:37], v[24:25] op_sel:[0,1,0]
	v_pk_fma_f32 v[18:19], v[44:45], v[40:41], v[18:19] op_sel:[0,1,0]
	s_delay_alu instid0(VALU_DEP_2) | instskip(NEXT) | instid1(VALU_DEP_2)
	v_pk_fma_f32 v[24:25], v[28:29], v[38:39], v[24:25] op_sel_hi:[1,0,1]
	v_pk_fma_f32 v[18:19], v[28:29], v[42:43], v[18:19] op_sel_hi:[1,0,1]
	s_delay_alu instid0(VALU_DEP_2) | instskip(NEXT) | instid1(VALU_DEP_2)
	v_pk_fma_f32 v[24:25], v[30:31], v[16:17], v[24:25] op_sel_hi:[1,0,1]
	v_pk_fma_f32 v[18:19], v[30:31], v[32:33], v[18:19] op_sel_hi:[1,0,1]
	s_cbranch_vccz .LBB144_15
.LBB144_9:                              ;   Parent Loop BB144_6 Depth=1
                                        ; =>  This Inner Loop Header: Depth=2
	v_mov_b32_e32 v28, 0
	s_and_saveexec_b32 s19, s0
	s_cbranch_execz .LBB144_13
; %bb.10:                               ;   in Loop: Header=BB144_9 Depth=2
	v_dual_add_nc_u32 v16, s2, v2 :: v_dual_mov_b32 v28, 0
	s_mov_b32 s20, exec_lo
	s_delay_alu instid0(VALU_DEP_1)
	v_cmpx_gt_u64_e64 s[8:9], v[16:17]
	s_cbranch_execz .LBB144_12
; %bb.11:                               ;   in Loop: Header=BB144_9 Depth=2
	v_mul_u64_e32 v[28:29], s[14:15], v[16:17]
	s_delay_alu instid0(VALU_DEP_1)
	v_lshl_add_u64 v[28:29], v[28:29], 2, v[20:21]
	global_load_b32 v28, v[28:29], off
.LBB144_12:                             ;   in Loop: Header=BB144_9 Depth=2
	s_wait_xcnt 0x0
	s_or_b32 exec_lo, exec_lo, s20
.LBB144_13:                             ;   in Loop: Header=BB144_9 Depth=2
	s_delay_alu instid0(SALU_CYCLE_1)
	s_or_b32 exec_lo, exec_lo, s19
	v_dual_mov_b32 v29, 0 :: v_dual_add_nc_u32 v16, s2, v0
	s_wait_loadcnt 0x0
	ds_store_b32 v26, v28
	v_cmp_gt_u64_e32 vcc_lo, s[8:9], v[16:17]
	s_and_b32 s20, vcc_lo, s1
	s_delay_alu instid0(SALU_CYCLE_1)
	s_and_saveexec_b32 s19, s20
	s_cbranch_execz .LBB144_8
; %bb.14:                               ;   in Loop: Header=BB144_9 Depth=2
	v_lshl_add_u64 v[28:29], v[16:17], 2, v[22:23]
	global_load_b32 v29, v[28:29], off
	s_branch .LBB144_8
.LBB144_15:                             ;   in Loop: Header=BB144_6 Depth=1
	s_mul_u64 s[2:3], s[30:31], s[6:7]
	s_delay_alu instid0(SALU_CYCLE_1) | instskip(NEXT) | instid1(SALU_CYCLE_1)
	s_lshl_b64 s[2:3], s[2:3], 2
	s_add_nc_u64 s[2:3], s[26:27], s[2:3]
	s_delay_alu instid0(SALU_CYCLE_1)
	v_lshl_add_u64 v[20:21], v[4:5], 2, s[2:3]
	s_and_saveexec_b32 s19, s12
	s_cbranch_execz .LBB144_19
; %bb.16:                               ;   in Loop: Header=BB144_6 Depth=1
	v_mul_f32_e32 v16, s34, v24
	s_delay_alu instid0(VALU_DEP_2)
	v_lshl_add_u64 v[22:23], v[8:9], 2, v[20:21]
	s_and_b32 vcc_lo, exec_lo, s11
	s_cbranch_vccz .LBB144_30
; %bb.17:                               ;   in Loop: Header=BB144_6 Depth=1
	global_load_b32 v24, v[22:23], off
	s_wait_loadcnt 0x0
	v_fma_f32 v24, s33, v24, v16
	global_store_b32 v[22:23], v24, off
	s_cbranch_execnz .LBB144_19
.LBB144_18:                             ;   in Loop: Header=BB144_6 Depth=1
	global_store_b32 v[22:23], v16, off
.LBB144_19:                             ;   in Loop: Header=BB144_6 Depth=1
	s_wait_xcnt 0x0
	s_or_b32 exec_lo, exec_lo, s19
	s_and_saveexec_b32 s19, s18
	s_cbranch_execz .LBB144_23
; %bb.20:                               ;   in Loop: Header=BB144_6 Depth=1
	v_mul_f32_e32 v16, s34, v25
	v_lshl_add_u64 v[20:21], v[10:11], 2, v[20:21]
	s_and_not1_b32 vcc_lo, exec_lo, s11
	s_cbranch_vccnz .LBB144_31
; %bb.21:                               ;   in Loop: Header=BB144_6 Depth=1
	global_load_b32 v22, v[20:21], off
	s_wait_loadcnt 0x0
	v_fma_f32 v22, s33, v22, v16
	global_store_b32 v[20:21], v22, off
	s_cbranch_execnz .LBB144_23
.LBB144_22:                             ;   in Loop: Header=BB144_6 Depth=1
	global_store_b32 v[20:21], v16, off
.LBB144_23:                             ;   in Loop: Header=BB144_6 Depth=1
	s_wait_xcnt 0x0
	s_or_b32 exec_lo, exec_lo, s19
	v_lshl_add_u64 v[20:21], v[6:7], 2, s[2:3]
	s_and_saveexec_b32 s2, s4
	s_cbranch_execz .LBB144_27
; %bb.24:                               ;   in Loop: Header=BB144_6 Depth=1
	v_mul_f32_e32 v16, s34, v18
	s_delay_alu instid0(VALU_DEP_2)
	v_lshl_add_u64 v[22:23], v[8:9], 2, v[20:21]
	s_and_not1_b32 vcc_lo, exec_lo, s11
	s_cbranch_vccnz .LBB144_32
; %bb.25:                               ;   in Loop: Header=BB144_6 Depth=1
	global_load_b32 v18, v[22:23], off
	s_wait_loadcnt 0x0
	v_fma_f32 v18, s33, v18, v16
	global_store_b32 v[22:23], v18, off
	s_cbranch_execnz .LBB144_27
.LBB144_26:                             ;   in Loop: Header=BB144_6 Depth=1
	global_store_b32 v[22:23], v16, off
.LBB144_27:                             ;   in Loop: Header=BB144_6 Depth=1
	s_wait_xcnt 0x0
	s_or_b32 exec_lo, exec_lo, s2
	s_and_saveexec_b32 s2, s5
	s_cbranch_execz .LBB144_5
; %bb.28:                               ;   in Loop: Header=BB144_6 Depth=1
	v_mul_f32_e32 v16, s34, v19
	v_lshl_add_u64 v[18:19], v[10:11], 2, v[20:21]
	s_and_not1_b32 vcc_lo, exec_lo, s11
	s_cbranch_vccnz .LBB144_33
; %bb.29:                               ;   in Loop: Header=BB144_6 Depth=1
	global_load_b32 v20, v[18:19], off
	s_wait_loadcnt 0x0
	v_fma_f32 v20, s33, v20, v16
	global_store_b32 v[18:19], v20, off
	s_cbranch_execnz .LBB144_5
	s_branch .LBB144_34
.LBB144_30:                             ;   in Loop: Header=BB144_6 Depth=1
	s_branch .LBB144_18
.LBB144_31:                             ;   in Loop: Header=BB144_6 Depth=1
	s_branch .LBB144_22
.LBB144_32:                             ;   in Loop: Header=BB144_6 Depth=1
	s_branch .LBB144_26
.LBB144_33:                             ;   in Loop: Header=BB144_6 Depth=1
.LBB144_34:                             ;   in Loop: Header=BB144_6 Depth=1
	global_store_b32 v[18:19], v16, off
	s_branch .LBB144_5
.LBB144_35:
	s_endpgm
	.section	.rodata,"a",@progbits
	.p2align	6, 0x0
	.amdhsa_kernel _ZL29rocblas_internal_gemmt_kernelIlLi16ELi32ELi8ELc78ELc78ELc85ELb0ELb0EfPKfS1_PfEviT_T9_T10_S3_lS5_S3_lS4_T11_S3_li
		.amdhsa_group_segment_fixed_size 2048
		.amdhsa_private_segment_fixed_size 0
		.amdhsa_kernarg_size 108
		.amdhsa_user_sgpr_count 2
		.amdhsa_user_sgpr_dispatch_ptr 0
		.amdhsa_user_sgpr_queue_ptr 0
		.amdhsa_user_sgpr_kernarg_segment_ptr 1
		.amdhsa_user_sgpr_dispatch_id 0
		.amdhsa_user_sgpr_kernarg_preload_length 0
		.amdhsa_user_sgpr_kernarg_preload_offset 0
		.amdhsa_user_sgpr_private_segment_size 0
		.amdhsa_wavefront_size32 1
		.amdhsa_uses_dynamic_stack 0
		.amdhsa_enable_private_segment 0
		.amdhsa_system_sgpr_workgroup_id_x 1
		.amdhsa_system_sgpr_workgroup_id_y 1
		.amdhsa_system_sgpr_workgroup_id_z 1
		.amdhsa_system_sgpr_workgroup_info 0
		.amdhsa_system_vgpr_workitem_id 1
		.amdhsa_next_free_vgpr 54
		.amdhsa_next_free_sgpr 35
		.amdhsa_named_barrier_count 0
		.amdhsa_reserve_vcc 1
		.amdhsa_float_round_mode_32 0
		.amdhsa_float_round_mode_16_64 0
		.amdhsa_float_denorm_mode_32 3
		.amdhsa_float_denorm_mode_16_64 3
		.amdhsa_fp16_overflow 0
		.amdhsa_memory_ordered 1
		.amdhsa_forward_progress 1
		.amdhsa_inst_pref_size 13
		.amdhsa_round_robin_scheduling 0
		.amdhsa_exception_fp_ieee_invalid_op 0
		.amdhsa_exception_fp_denorm_src 0
		.amdhsa_exception_fp_ieee_div_zero 0
		.amdhsa_exception_fp_ieee_overflow 0
		.amdhsa_exception_fp_ieee_underflow 0
		.amdhsa_exception_fp_ieee_inexact 0
		.amdhsa_exception_int_div_zero 0
	.end_amdhsa_kernel
	.section	.text._ZL29rocblas_internal_gemmt_kernelIlLi16ELi32ELi8ELc78ELc78ELc85ELb0ELb0EfPKfS1_PfEviT_T9_T10_S3_lS5_S3_lS4_T11_S3_li,"axG",@progbits,_ZL29rocblas_internal_gemmt_kernelIlLi16ELi32ELi8ELc78ELc78ELc85ELb0ELb0EfPKfS1_PfEviT_T9_T10_S3_lS5_S3_lS4_T11_S3_li,comdat
.Lfunc_end144:
	.size	_ZL29rocblas_internal_gemmt_kernelIlLi16ELi32ELi8ELc78ELc78ELc85ELb0ELb0EfPKfS1_PfEviT_T9_T10_S3_lS5_S3_lS4_T11_S3_li, .Lfunc_end144-_ZL29rocblas_internal_gemmt_kernelIlLi16ELi32ELi8ELc78ELc78ELc85ELb0ELb0EfPKfS1_PfEviT_T9_T10_S3_lS5_S3_lS4_T11_S3_li
                                        ; -- End function
	.set _ZL29rocblas_internal_gemmt_kernelIlLi16ELi32ELi8ELc78ELc78ELc85ELb0ELb0EfPKfS1_PfEviT_T9_T10_S3_lS5_S3_lS4_T11_S3_li.num_vgpr, 54
	.set _ZL29rocblas_internal_gemmt_kernelIlLi16ELi32ELi8ELc78ELc78ELc85ELb0ELb0EfPKfS1_PfEviT_T9_T10_S3_lS5_S3_lS4_T11_S3_li.num_agpr, 0
	.set _ZL29rocblas_internal_gemmt_kernelIlLi16ELi32ELi8ELc78ELc78ELc85ELb0ELb0EfPKfS1_PfEviT_T9_T10_S3_lS5_S3_lS4_T11_S3_li.numbered_sgpr, 35
	.set _ZL29rocblas_internal_gemmt_kernelIlLi16ELi32ELi8ELc78ELc78ELc85ELb0ELb0EfPKfS1_PfEviT_T9_T10_S3_lS5_S3_lS4_T11_S3_li.num_named_barrier, 0
	.set _ZL29rocblas_internal_gemmt_kernelIlLi16ELi32ELi8ELc78ELc78ELc85ELb0ELb0EfPKfS1_PfEviT_T9_T10_S3_lS5_S3_lS4_T11_S3_li.private_seg_size, 0
	.set _ZL29rocblas_internal_gemmt_kernelIlLi16ELi32ELi8ELc78ELc78ELc85ELb0ELb0EfPKfS1_PfEviT_T9_T10_S3_lS5_S3_lS4_T11_S3_li.uses_vcc, 1
	.set _ZL29rocblas_internal_gemmt_kernelIlLi16ELi32ELi8ELc78ELc78ELc85ELb0ELb0EfPKfS1_PfEviT_T9_T10_S3_lS5_S3_lS4_T11_S3_li.uses_flat_scratch, 0
	.set _ZL29rocblas_internal_gemmt_kernelIlLi16ELi32ELi8ELc78ELc78ELc85ELb0ELb0EfPKfS1_PfEviT_T9_T10_S3_lS5_S3_lS4_T11_S3_li.has_dyn_sized_stack, 0
	.set _ZL29rocblas_internal_gemmt_kernelIlLi16ELi32ELi8ELc78ELc78ELc85ELb0ELb0EfPKfS1_PfEviT_T9_T10_S3_lS5_S3_lS4_T11_S3_li.has_recursion, 0
	.set _ZL29rocblas_internal_gemmt_kernelIlLi16ELi32ELi8ELc78ELc78ELc85ELb0ELb0EfPKfS1_PfEviT_T9_T10_S3_lS5_S3_lS4_T11_S3_li.has_indirect_call, 0
	.section	.AMDGPU.csdata,"",@progbits
; Kernel info:
; codeLenInByte = 1592
; TotalNumSgprs: 37
; NumVgprs: 54
; ScratchSize: 0
; MemoryBound: 0
; FloatMode: 240
; IeeeMode: 1
; LDSByteSize: 2048 bytes/workgroup (compile time only)
; SGPRBlocks: 0
; VGPRBlocks: 3
; NumSGPRsForWavesPerEU: 37
; NumVGPRsForWavesPerEU: 54
; NamedBarCnt: 0
; Occupancy: 16
; WaveLimiterHint : 0
; COMPUTE_PGM_RSRC2:SCRATCH_EN: 0
; COMPUTE_PGM_RSRC2:USER_SGPR: 2
; COMPUTE_PGM_RSRC2:TRAP_HANDLER: 0
; COMPUTE_PGM_RSRC2:TGID_X_EN: 1
; COMPUTE_PGM_RSRC2:TGID_Y_EN: 1
; COMPUTE_PGM_RSRC2:TGID_Z_EN: 1
; COMPUTE_PGM_RSRC2:TIDIG_COMP_CNT: 1
	.section	.text._ZL29rocblas_internal_gemmt_kernelIlLi16ELi32ELi8ELc78ELc84ELc85ELb0ELb0EfPKfS1_PfEviT_T9_T10_S3_lS5_S3_lS4_T11_S3_li,"axG",@progbits,_ZL29rocblas_internal_gemmt_kernelIlLi16ELi32ELi8ELc78ELc84ELc85ELb0ELb0EfPKfS1_PfEviT_T9_T10_S3_lS5_S3_lS4_T11_S3_li,comdat
	.globl	_ZL29rocblas_internal_gemmt_kernelIlLi16ELi32ELi8ELc78ELc84ELc85ELb0ELb0EfPKfS1_PfEviT_T9_T10_S3_lS5_S3_lS4_T11_S3_li ; -- Begin function _ZL29rocblas_internal_gemmt_kernelIlLi16ELi32ELi8ELc78ELc84ELc85ELb0ELb0EfPKfS1_PfEviT_T9_T10_S3_lS5_S3_lS4_T11_S3_li
	.p2align	8
	.type	_ZL29rocblas_internal_gemmt_kernelIlLi16ELi32ELi8ELc78ELc84ELc85ELb0ELb0EfPKfS1_PfEviT_T9_T10_S3_lS5_S3_lS4_T11_S3_li,@function
_ZL29rocblas_internal_gemmt_kernelIlLi16ELi32ELi8ELc78ELc84ELc85ELb0ELb0EfPKfS1_PfEviT_T9_T10_S3_lS5_S3_lS4_T11_S3_li: ; @_ZL29rocblas_internal_gemmt_kernelIlLi16ELi32ELi8ELc78ELc84ELc85ELb0ELb0EfPKfS1_PfEviT_T9_T10_S3_lS5_S3_lS4_T11_S3_li
; %bb.0:
	s_clause 0x1
	s_load_b256 s[24:31], s[0:1], 0x48
	s_load_b512 s[8:23], s[0:1], 0x8
	s_wait_kmcnt 0x0
	s_load_b32 s33, s[24:25], 0x0
	s_load_b32 s34, s[10:11], 0x0
	s_wait_kmcnt 0x0
	s_cmp_neq_f32 s33, 1.0
	s_cselect_b32 s2, -1, 0
	s_delay_alu instid0(SALU_CYCLE_1)
	s_and_b32 vcc_lo, exec_lo, s2
	s_cbranch_vccnz .LBB145_2
; %bb.1:
	s_cmp_lg_u64 s[8:9], 0
	s_cselect_b32 s2, -1, 0
	s_cmp_neq_f32 s34, 0
	s_cselect_b32 s3, -1, 0
	s_delay_alu instid0(SALU_CYCLE_1)
	s_and_b32 s2, s2, s3
.LBB145_2:
	s_delay_alu instid0(SALU_CYCLE_1)
	s_and_not1_b32 vcc_lo, exec_lo, s2
	s_cbranch_vccnz .LBB145_35
; %bb.3:
	s_load_b32 s10, s[0:1], 0x68
	s_bfe_u32 s2, ttmp6, 0x40014
	s_lshr_b32 s3, ttmp7, 16
	s_add_co_i32 s2, s2, 1
	s_bfe_u32 s5, ttmp6, 0x40008
	s_mul_i32 s4, s3, s2
	s_getreg_b32 s2, hwreg(HW_REG_IB_STS2, 6, 4)
	s_add_co_i32 s5, s5, s4
	s_cmp_eq_u32 s2, 0
	s_mov_b32 s7, 0
	s_cselect_b32 s6, s3, s5
	s_wait_kmcnt 0x0
	s_cmp_ge_u32 s6, s10
	s_cbranch_scc1 .LBB145_35
; %bb.4:
	s_bfe_u32 s4, ttmp6, 0x4000c
	s_bfe_u32 s11, ttmp6, 0x40010
	s_and_b32 s5, ttmp7, 0xffff
	s_add_co_i32 s4, s4, 1
	s_add_co_i32 s11, s11, 1
	s_and_b32 s3, ttmp6, 15
	s_mul_i32 s4, ttmp9, s4
	s_mul_i32 s11, s5, s11
	s_bfe_u32 s24, ttmp6, 0x40004
	s_add_co_i32 s3, s3, s4
	s_add_co_i32 s24, s24, s11
	s_cmp_eq_u32 s2, 0
	v_and_b32_e32 v11, 0x3ff, v0
	v_bfe_u32 v15, v0, 10, 10
	s_load_b32 s4, s[0:1], 0x0
	s_wait_xcnt 0x0
	s_cselect_b32 s0, s5, s24
	s_cselect_b32 s1, ttmp9, s3
	s_lshl_b32 s0, s0, 5
	v_lshl_add_u32 v1, v15, 4, v11
	v_dual_add_nc_u32 v16, s0, v15 :: v_dual_bitop2_b32 v0, 7, v0 bitop3:0x40
	s_lshl_b32 s2, s1, 5
	s_cmp_neq_f32 s34, 0
	s_delay_alu instid0(VALU_DEP_2) | instskip(NEXT) | instid1(VALU_DEP_2)
	v_dual_lshrrev_b32 v10, 3, v1 :: v_dual_bitop2_b32 v3, 31, v1 bitop3:0x40
	v_dual_add_nc_u32 v18, 16, v16 :: v_dual_ashrrev_i32 v17, 31, v16
	s_delay_alu instid0(VALU_DEP_2) | instskip(NEXT) | instid1(VALU_DEP_3)
	v_dual_lshrrev_b32 v2, 5, v1 :: v_dual_bitop2_b32 v8, s2, v3 bitop3:0x54
	v_add_nc_u32_e32 v12, s0, v10
	s_delay_alu instid0(VALU_DEP_3) | instskip(NEXT) | instid1(VALU_DEP_4)
	v_ashrrev_i32_e32 v19, 31, v18
	v_mul_u64_e32 v[4:5], s[28:29], v[16:17]
	v_dual_lshlrev_b32 v1, 2, v3 :: v_dual_lshlrev_b32 v3, 2, v0
	v_ashrrev_i32_e32 v9, 31, v8
	s_delay_alu instid0(VALU_DEP_4)
	v_mul_u64_e32 v[6:7], s[28:29], v[18:19]
	s_wait_kmcnt 0x0
	v_cmp_gt_i32_e32 vcc_lo, s4, v16
	s_cselect_b32 s24, -1, 0
	v_lshl_or_b32 v3, v10, 5, v3
	v_add_nc_u32_e32 v10, s2, v11
	s_cmp_neq_f32 s33, 0
	v_dual_ashrrev_i32 v13, 31, v12 :: v_dual_lshlrev_b32 v26, 2, v11
	v_cmp_gt_i64_e64 s25, s[8:9], 0
	s_delay_alu instid0(VALU_DEP_3)
	v_cmp_le_i32_e64 s2, v10, v16
	v_dual_add_nc_u32 v14, 16, v10 :: v_dual_ashrrev_i32 v11, 31, v10
	v_cmp_gt_i32_e64 s0, s4, v8
	v_lshl_add_u64 v[8:9], v[8:9], 2, s[12:13]
	v_cmp_gt_i32_e64 s1, s4, v12
	s_cselect_b32 s11, -1, 0
	s_and_b32 s12, vcc_lo, s2
	v_cmp_le_i32_e64 s2, v14, v16
	v_cmp_gt_i32_e64 s3, s4, v18
	v_cmp_le_i32_e64 s4, v10, v18
	v_cmp_le_i32_e64 s5, v14, v18
	v_lshl_or_b32 v1, v2, 7, v1
	v_add_nc_u32_e32 v3, 0x400, v3
	v_lshl_add_u64 v[12:13], v[12:13], 2, s[18:19]
	v_lshl_add_u32 v27, v15, 5, 0x400
	v_dual_ashrrev_i32 v15, 31, v14 :: v_dual_mov_b32 v17, 0
	s_and_b32 s13, s24, s25
	s_and_b32 s18, vcc_lo, s2
	s_and_b32 s4, s3, s4
	s_and_b32 s5, s3, s5
	s_branch .LBB145_6
.LBB145_5:                              ;   in Loop: Header=BB145_6 Depth=1
	s_wait_xcnt 0x0
	s_or_b32 exec_lo, exec_lo, s2
	s_add_co_i32 s6, s6, 0x10000
	s_delay_alu instid0(SALU_CYCLE_1)
	s_cmp_lt_u32 s6, s10
	s_cbranch_scc0 .LBB145_35
.LBB145_6:                              ; =>This Loop Header: Depth=1
                                        ;     Child Loop BB145_9 Depth 2
	v_dual_mov_b32 v25, v17 :: v_dual_mov_b32 v24, v17
	v_dual_mov_b32 v19, v17 :: v_dual_mov_b32 v18, v17
	s_and_not1_b32 vcc_lo, exec_lo, s13
	s_cbranch_vccnz .LBB145_15
; %bb.7:                                ;   in Loop: Header=BB145_6 Depth=1
	v_mov_b32_e32 v18, 0
	s_mul_u64 s[2:3], s[16:17], s[6:7]
	s_mul_u64 s[24:25], s[22:23], s[6:7]
	v_lshl_add_u64 v[20:21], s[2:3], 2, v[8:9]
	v_lshl_add_u64 v[22:23], s[24:25], 2, v[12:13]
	v_dual_mov_b32 v19, v18 :: v_dual_mov_b32 v24, v18
	v_mov_b32_e32 v25, v18
	s_mov_b64 s[2:3], 0
	s_branch .LBB145_9
.LBB145_8:                              ;   in Loop: Header=BB145_9 Depth=2
	s_wait_xcnt 0x0
	s_or_b32 exec_lo, exec_lo, s19
	s_wait_loadcnt 0x0
	ds_store_b32 v3, v29
	s_wait_dscnt 0x0
	s_barrier_signal -1
	s_barrier_wait -1
	ds_load_b128 v[28:31], v27
	ds_load_2addr_b32 v[44:45], v26 offset1:16
	ds_load_b128 v[32:35], v27 offset:512
	ds_load_2addr_b32 v[46:47], v26 offset0:32 offset1:48
	ds_load_2addr_b32 v[48:49], v26 offset0:64 offset1:80
	;; [unrolled: 1-line block ×3, first 2 shown]
	ds_load_b128 v[36:39], v27 offset:16
	ds_load_2addr_b32 v[52:53], v26 offset0:128 offset1:144
	ds_load_b128 v[40:43], v27 offset:528
	s_add_nc_u64 s[2:3], s[2:3], 8
	s_delay_alu instid0(SALU_CYCLE_1)
	v_cmp_gt_i64_e64 s19, s[8:9], s[2:3]
	s_and_b32 vcc_lo, exec_lo, s19
	s_wait_dscnt 0x8
	v_mov_b32_e32 v16, v31
	s_wait_dscnt 0x7
	v_pk_fma_f32 v[24:25], v[44:45], v[28:29], v[24:25] op_sel_hi:[1,0,1]
	s_wait_dscnt 0x6
	v_pk_fma_f32 v[18:19], v[44:45], v[32:33], v[18:19] op_sel_hi:[1,0,1]
	ds_load_2addr_b32 v[44:45], v26 offset0:160 offset1:176
	s_wait_dscnt 0x6
	v_pk_fma_f32 v[24:25], v[46:47], v[28:29], v[24:25] op_sel:[0,1,0]
	v_pk_fma_f32 v[18:19], v[46:47], v[32:33], v[18:19] op_sel:[0,1,0]
	ds_load_2addr_b32 v[28:29], v26 offset0:192 offset1:208
	v_mov_b32_e32 v32, v35
	s_wait_dscnt 0x6
	v_pk_fma_f32 v[24:25], v[48:49], v[30:31], v[24:25] op_sel_hi:[1,0,1]
	v_pk_fma_f32 v[18:19], v[48:49], v[34:35], v[18:19] op_sel_hi:[1,0,1]
	ds_load_2addr_b32 v[30:31], v26 offset0:224 offset1:240
	s_wait_dscnt 0x0
	s_barrier_signal -1
	v_pk_fma_f32 v[24:25], v[50:51], v[16:17], v[24:25] op_sel_hi:[1,0,1]
	v_pk_fma_f32 v[18:19], v[50:51], v[32:33], v[18:19] op_sel_hi:[1,0,1]
	v_dual_mov_b32 v16, v39 :: v_dual_mov_b32 v32, v43
	s_barrier_wait -1
	s_delay_alu instid0(VALU_DEP_3) | instskip(NEXT) | instid1(VALU_DEP_3)
	v_pk_fma_f32 v[24:25], v[52:53], v[36:37], v[24:25] op_sel_hi:[1,0,1]
	v_pk_fma_f32 v[18:19], v[52:53], v[40:41], v[18:19] op_sel_hi:[1,0,1]
	s_delay_alu instid0(VALU_DEP_2) | instskip(NEXT) | instid1(VALU_DEP_2)
	v_pk_fma_f32 v[24:25], v[44:45], v[36:37], v[24:25] op_sel:[0,1,0]
	v_pk_fma_f32 v[18:19], v[44:45], v[40:41], v[18:19] op_sel:[0,1,0]
	s_delay_alu instid0(VALU_DEP_2) | instskip(NEXT) | instid1(VALU_DEP_2)
	v_pk_fma_f32 v[24:25], v[28:29], v[38:39], v[24:25] op_sel_hi:[1,0,1]
	v_pk_fma_f32 v[18:19], v[28:29], v[42:43], v[18:19] op_sel_hi:[1,0,1]
	s_delay_alu instid0(VALU_DEP_2) | instskip(NEXT) | instid1(VALU_DEP_2)
	v_pk_fma_f32 v[24:25], v[30:31], v[16:17], v[24:25] op_sel_hi:[1,0,1]
	v_pk_fma_f32 v[18:19], v[30:31], v[32:33], v[18:19] op_sel_hi:[1,0,1]
	s_cbranch_vccz .LBB145_15
.LBB145_9:                              ;   Parent Loop BB145_6 Depth=1
                                        ; =>  This Inner Loop Header: Depth=2
	v_mov_b32_e32 v28, 0
	s_and_saveexec_b32 s19, s0
	s_cbranch_execz .LBB145_13
; %bb.10:                               ;   in Loop: Header=BB145_9 Depth=2
	v_dual_add_nc_u32 v16, s2, v2 :: v_dual_mov_b32 v28, 0
	s_mov_b32 s24, exec_lo
	s_delay_alu instid0(VALU_DEP_1)
	v_cmpx_gt_u64_e64 s[8:9], v[16:17]
	s_cbranch_execz .LBB145_12
; %bb.11:                               ;   in Loop: Header=BB145_9 Depth=2
	v_mul_u64_e32 v[28:29], s[14:15], v[16:17]
	s_delay_alu instid0(VALU_DEP_1)
	v_lshl_add_u64 v[28:29], v[28:29], 2, v[20:21]
	global_load_b32 v28, v[28:29], off
.LBB145_12:                             ;   in Loop: Header=BB145_9 Depth=2
	s_wait_xcnt 0x0
	s_or_b32 exec_lo, exec_lo, s24
.LBB145_13:                             ;   in Loop: Header=BB145_9 Depth=2
	s_delay_alu instid0(SALU_CYCLE_1)
	s_or_b32 exec_lo, exec_lo, s19
	v_dual_mov_b32 v29, 0 :: v_dual_add_nc_u32 v16, s2, v0
	s_wait_loadcnt 0x0
	ds_store_b32 v1, v28
	v_cmp_gt_u64_e32 vcc_lo, s[8:9], v[16:17]
	s_and_b32 s24, vcc_lo, s1
	s_delay_alu instid0(SALU_CYCLE_1)
	s_and_saveexec_b32 s19, s24
	s_cbranch_execz .LBB145_8
; %bb.14:                               ;   in Loop: Header=BB145_9 Depth=2
	v_mul_u64_e32 v[28:29], s[20:21], v[16:17]
	s_delay_alu instid0(VALU_DEP_1)
	v_lshl_add_u64 v[28:29], v[28:29], 2, v[22:23]
	global_load_b32 v29, v[28:29], off
	s_branch .LBB145_8
.LBB145_15:                             ;   in Loop: Header=BB145_6 Depth=1
	s_mul_u64 s[2:3], s[30:31], s[6:7]
	s_delay_alu instid0(SALU_CYCLE_1) | instskip(NEXT) | instid1(SALU_CYCLE_1)
	s_lshl_b64 s[2:3], s[2:3], 2
	s_add_nc_u64 s[2:3], s[26:27], s[2:3]
	s_delay_alu instid0(SALU_CYCLE_1)
	v_lshl_add_u64 v[20:21], v[4:5], 2, s[2:3]
	s_and_saveexec_b32 s19, s12
	s_cbranch_execz .LBB145_19
; %bb.16:                               ;   in Loop: Header=BB145_6 Depth=1
	v_mul_f32_e32 v16, s34, v24
	s_delay_alu instid0(VALU_DEP_2)
	v_lshl_add_u64 v[22:23], v[10:11], 2, v[20:21]
	s_and_b32 vcc_lo, exec_lo, s11
	s_cbranch_vccz .LBB145_30
; %bb.17:                               ;   in Loop: Header=BB145_6 Depth=1
	global_load_b32 v24, v[22:23], off
	s_wait_loadcnt 0x0
	v_fma_f32 v24, s33, v24, v16
	global_store_b32 v[22:23], v24, off
	s_cbranch_execnz .LBB145_19
.LBB145_18:                             ;   in Loop: Header=BB145_6 Depth=1
	global_store_b32 v[22:23], v16, off
.LBB145_19:                             ;   in Loop: Header=BB145_6 Depth=1
	s_wait_xcnt 0x0
	s_or_b32 exec_lo, exec_lo, s19
	s_and_saveexec_b32 s19, s18
	s_cbranch_execz .LBB145_23
; %bb.20:                               ;   in Loop: Header=BB145_6 Depth=1
	v_mul_f32_e32 v16, s34, v25
	v_lshl_add_u64 v[20:21], v[14:15], 2, v[20:21]
	s_and_not1_b32 vcc_lo, exec_lo, s11
	s_cbranch_vccnz .LBB145_31
; %bb.21:                               ;   in Loop: Header=BB145_6 Depth=1
	global_load_b32 v22, v[20:21], off
	s_wait_loadcnt 0x0
	v_fma_f32 v22, s33, v22, v16
	global_store_b32 v[20:21], v22, off
	s_cbranch_execnz .LBB145_23
.LBB145_22:                             ;   in Loop: Header=BB145_6 Depth=1
	global_store_b32 v[20:21], v16, off
.LBB145_23:                             ;   in Loop: Header=BB145_6 Depth=1
	s_wait_xcnt 0x0
	s_or_b32 exec_lo, exec_lo, s19
	v_lshl_add_u64 v[20:21], v[6:7], 2, s[2:3]
	s_and_saveexec_b32 s2, s4
	s_cbranch_execz .LBB145_27
; %bb.24:                               ;   in Loop: Header=BB145_6 Depth=1
	v_mul_f32_e32 v16, s34, v18
	s_delay_alu instid0(VALU_DEP_2)
	v_lshl_add_u64 v[22:23], v[10:11], 2, v[20:21]
	s_and_not1_b32 vcc_lo, exec_lo, s11
	s_cbranch_vccnz .LBB145_32
; %bb.25:                               ;   in Loop: Header=BB145_6 Depth=1
	global_load_b32 v18, v[22:23], off
	s_wait_loadcnt 0x0
	v_fma_f32 v18, s33, v18, v16
	global_store_b32 v[22:23], v18, off
	s_cbranch_execnz .LBB145_27
.LBB145_26:                             ;   in Loop: Header=BB145_6 Depth=1
	global_store_b32 v[22:23], v16, off
.LBB145_27:                             ;   in Loop: Header=BB145_6 Depth=1
	s_wait_xcnt 0x0
	s_or_b32 exec_lo, exec_lo, s2
	s_and_saveexec_b32 s2, s5
	s_cbranch_execz .LBB145_5
; %bb.28:                               ;   in Loop: Header=BB145_6 Depth=1
	v_mul_f32_e32 v16, s34, v19
	v_lshl_add_u64 v[18:19], v[14:15], 2, v[20:21]
	s_and_not1_b32 vcc_lo, exec_lo, s11
	s_cbranch_vccnz .LBB145_33
; %bb.29:                               ;   in Loop: Header=BB145_6 Depth=1
	global_load_b32 v20, v[18:19], off
	s_wait_loadcnt 0x0
	v_fma_f32 v20, s33, v20, v16
	global_store_b32 v[18:19], v20, off
	s_cbranch_execnz .LBB145_5
	s_branch .LBB145_34
.LBB145_30:                             ;   in Loop: Header=BB145_6 Depth=1
	s_branch .LBB145_18
.LBB145_31:                             ;   in Loop: Header=BB145_6 Depth=1
	s_branch .LBB145_22
.LBB145_32:                             ;   in Loop: Header=BB145_6 Depth=1
	s_branch .LBB145_26
.LBB145_33:                             ;   in Loop: Header=BB145_6 Depth=1
.LBB145_34:                             ;   in Loop: Header=BB145_6 Depth=1
	global_store_b32 v[18:19], v16, off
	s_branch .LBB145_5
.LBB145_35:
	s_endpgm
	.section	.rodata,"a",@progbits
	.p2align	6, 0x0
	.amdhsa_kernel _ZL29rocblas_internal_gemmt_kernelIlLi16ELi32ELi8ELc78ELc84ELc85ELb0ELb0EfPKfS1_PfEviT_T9_T10_S3_lS5_S3_lS4_T11_S3_li
		.amdhsa_group_segment_fixed_size 2048
		.amdhsa_private_segment_fixed_size 0
		.amdhsa_kernarg_size 108
		.amdhsa_user_sgpr_count 2
		.amdhsa_user_sgpr_dispatch_ptr 0
		.amdhsa_user_sgpr_queue_ptr 0
		.amdhsa_user_sgpr_kernarg_segment_ptr 1
		.amdhsa_user_sgpr_dispatch_id 0
		.amdhsa_user_sgpr_kernarg_preload_length 0
		.amdhsa_user_sgpr_kernarg_preload_offset 0
		.amdhsa_user_sgpr_private_segment_size 0
		.amdhsa_wavefront_size32 1
		.amdhsa_uses_dynamic_stack 0
		.amdhsa_enable_private_segment 0
		.amdhsa_system_sgpr_workgroup_id_x 1
		.amdhsa_system_sgpr_workgroup_id_y 1
		.amdhsa_system_sgpr_workgroup_id_z 1
		.amdhsa_system_sgpr_workgroup_info 0
		.amdhsa_system_vgpr_workitem_id 1
		.amdhsa_next_free_vgpr 54
		.amdhsa_next_free_sgpr 35
		.amdhsa_named_barrier_count 0
		.amdhsa_reserve_vcc 1
		.amdhsa_float_round_mode_32 0
		.amdhsa_float_round_mode_16_64 0
		.amdhsa_float_denorm_mode_32 3
		.amdhsa_float_denorm_mode_16_64 3
		.amdhsa_fp16_overflow 0
		.amdhsa_memory_ordered 1
		.amdhsa_forward_progress 1
		.amdhsa_inst_pref_size 13
		.amdhsa_round_robin_scheduling 0
		.amdhsa_exception_fp_ieee_invalid_op 0
		.amdhsa_exception_fp_denorm_src 0
		.amdhsa_exception_fp_ieee_div_zero 0
		.amdhsa_exception_fp_ieee_overflow 0
		.amdhsa_exception_fp_ieee_underflow 0
		.amdhsa_exception_fp_ieee_inexact 0
		.amdhsa_exception_int_div_zero 0
	.end_amdhsa_kernel
	.section	.text._ZL29rocblas_internal_gemmt_kernelIlLi16ELi32ELi8ELc78ELc84ELc85ELb0ELb0EfPKfS1_PfEviT_T9_T10_S3_lS5_S3_lS4_T11_S3_li,"axG",@progbits,_ZL29rocblas_internal_gemmt_kernelIlLi16ELi32ELi8ELc78ELc84ELc85ELb0ELb0EfPKfS1_PfEviT_T9_T10_S3_lS5_S3_lS4_T11_S3_li,comdat
.Lfunc_end145:
	.size	_ZL29rocblas_internal_gemmt_kernelIlLi16ELi32ELi8ELc78ELc84ELc85ELb0ELb0EfPKfS1_PfEviT_T9_T10_S3_lS5_S3_lS4_T11_S3_li, .Lfunc_end145-_ZL29rocblas_internal_gemmt_kernelIlLi16ELi32ELi8ELc78ELc84ELc85ELb0ELb0EfPKfS1_PfEviT_T9_T10_S3_lS5_S3_lS4_T11_S3_li
                                        ; -- End function
	.set _ZL29rocblas_internal_gemmt_kernelIlLi16ELi32ELi8ELc78ELc84ELc85ELb0ELb0EfPKfS1_PfEviT_T9_T10_S3_lS5_S3_lS4_T11_S3_li.num_vgpr, 54
	.set _ZL29rocblas_internal_gemmt_kernelIlLi16ELi32ELi8ELc78ELc84ELc85ELb0ELb0EfPKfS1_PfEviT_T9_T10_S3_lS5_S3_lS4_T11_S3_li.num_agpr, 0
	.set _ZL29rocblas_internal_gemmt_kernelIlLi16ELi32ELi8ELc78ELc84ELc85ELb0ELb0EfPKfS1_PfEviT_T9_T10_S3_lS5_S3_lS4_T11_S3_li.numbered_sgpr, 35
	.set _ZL29rocblas_internal_gemmt_kernelIlLi16ELi32ELi8ELc78ELc84ELc85ELb0ELb0EfPKfS1_PfEviT_T9_T10_S3_lS5_S3_lS4_T11_S3_li.num_named_barrier, 0
	.set _ZL29rocblas_internal_gemmt_kernelIlLi16ELi32ELi8ELc78ELc84ELc85ELb0ELb0EfPKfS1_PfEviT_T9_T10_S3_lS5_S3_lS4_T11_S3_li.private_seg_size, 0
	.set _ZL29rocblas_internal_gemmt_kernelIlLi16ELi32ELi8ELc78ELc84ELc85ELb0ELb0EfPKfS1_PfEviT_T9_T10_S3_lS5_S3_lS4_T11_S3_li.uses_vcc, 1
	.set _ZL29rocblas_internal_gemmt_kernelIlLi16ELi32ELi8ELc78ELc84ELc85ELb0ELb0EfPKfS1_PfEviT_T9_T10_S3_lS5_S3_lS4_T11_S3_li.uses_flat_scratch, 0
	.set _ZL29rocblas_internal_gemmt_kernelIlLi16ELi32ELi8ELc78ELc84ELc85ELb0ELb0EfPKfS1_PfEviT_T9_T10_S3_lS5_S3_lS4_T11_S3_li.has_dyn_sized_stack, 0
	.set _ZL29rocblas_internal_gemmt_kernelIlLi16ELi32ELi8ELc78ELc84ELc85ELb0ELb0EfPKfS1_PfEviT_T9_T10_S3_lS5_S3_lS4_T11_S3_li.has_recursion, 0
	.set _ZL29rocblas_internal_gemmt_kernelIlLi16ELi32ELi8ELc78ELc84ELc85ELb0ELb0EfPKfS1_PfEviT_T9_T10_S3_lS5_S3_lS4_T11_S3_li.has_indirect_call, 0
	.section	.AMDGPU.csdata,"",@progbits
; Kernel info:
; codeLenInByte = 1608
; TotalNumSgprs: 37
; NumVgprs: 54
; ScratchSize: 0
; MemoryBound: 0
; FloatMode: 240
; IeeeMode: 1
; LDSByteSize: 2048 bytes/workgroup (compile time only)
; SGPRBlocks: 0
; VGPRBlocks: 3
; NumSGPRsForWavesPerEU: 37
; NumVGPRsForWavesPerEU: 54
; NamedBarCnt: 0
; Occupancy: 16
; WaveLimiterHint : 0
; COMPUTE_PGM_RSRC2:SCRATCH_EN: 0
; COMPUTE_PGM_RSRC2:USER_SGPR: 2
; COMPUTE_PGM_RSRC2:TRAP_HANDLER: 0
; COMPUTE_PGM_RSRC2:TGID_X_EN: 1
; COMPUTE_PGM_RSRC2:TGID_Y_EN: 1
; COMPUTE_PGM_RSRC2:TGID_Z_EN: 1
; COMPUTE_PGM_RSRC2:TIDIG_COMP_CNT: 1
	.section	.text._ZL29rocblas_internal_gemmt_kernelIlLi16ELi32ELi8ELc78ELc67ELc85ELb0ELb0EfPKfS1_PfEviT_T9_T10_S3_lS5_S3_lS4_T11_S3_li,"axG",@progbits,_ZL29rocblas_internal_gemmt_kernelIlLi16ELi32ELi8ELc78ELc67ELc85ELb0ELb0EfPKfS1_PfEviT_T9_T10_S3_lS5_S3_lS4_T11_S3_li,comdat
	.globl	_ZL29rocblas_internal_gemmt_kernelIlLi16ELi32ELi8ELc78ELc67ELc85ELb0ELb0EfPKfS1_PfEviT_T9_T10_S3_lS5_S3_lS4_T11_S3_li ; -- Begin function _ZL29rocblas_internal_gemmt_kernelIlLi16ELi32ELi8ELc78ELc67ELc85ELb0ELb0EfPKfS1_PfEviT_T9_T10_S3_lS5_S3_lS4_T11_S3_li
	.p2align	8
	.type	_ZL29rocblas_internal_gemmt_kernelIlLi16ELi32ELi8ELc78ELc67ELc85ELb0ELb0EfPKfS1_PfEviT_T9_T10_S3_lS5_S3_lS4_T11_S3_li,@function
_ZL29rocblas_internal_gemmt_kernelIlLi16ELi32ELi8ELc78ELc67ELc85ELb0ELb0EfPKfS1_PfEviT_T9_T10_S3_lS5_S3_lS4_T11_S3_li: ; @_ZL29rocblas_internal_gemmt_kernelIlLi16ELi32ELi8ELc78ELc67ELc85ELb0ELb0EfPKfS1_PfEviT_T9_T10_S3_lS5_S3_lS4_T11_S3_li
; %bb.0:
	s_clause 0x1
	s_load_b256 s[24:31], s[0:1], 0x48
	s_load_b512 s[8:23], s[0:1], 0x8
	s_wait_kmcnt 0x0
	s_load_b32 s33, s[24:25], 0x0
	s_load_b32 s34, s[10:11], 0x0
	s_wait_kmcnt 0x0
	s_cmp_neq_f32 s33, 1.0
	s_cselect_b32 s2, -1, 0
	s_delay_alu instid0(SALU_CYCLE_1)
	s_and_b32 vcc_lo, exec_lo, s2
	s_cbranch_vccnz .LBB146_2
; %bb.1:
	s_cmp_lg_u64 s[8:9], 0
	s_cselect_b32 s2, -1, 0
	s_cmp_neq_f32 s34, 0
	s_cselect_b32 s3, -1, 0
	s_delay_alu instid0(SALU_CYCLE_1)
	s_and_b32 s2, s2, s3
.LBB146_2:
	s_delay_alu instid0(SALU_CYCLE_1)
	s_and_not1_b32 vcc_lo, exec_lo, s2
	s_cbranch_vccnz .LBB146_35
; %bb.3:
	s_load_b32 s10, s[0:1], 0x68
	s_bfe_u32 s2, ttmp6, 0x40014
	s_lshr_b32 s3, ttmp7, 16
	s_add_co_i32 s2, s2, 1
	s_bfe_u32 s5, ttmp6, 0x40008
	s_mul_i32 s4, s3, s2
	s_getreg_b32 s2, hwreg(HW_REG_IB_STS2, 6, 4)
	s_add_co_i32 s5, s5, s4
	s_cmp_eq_u32 s2, 0
	s_mov_b32 s7, 0
	s_cselect_b32 s6, s3, s5
	s_wait_kmcnt 0x0
	s_cmp_ge_u32 s6, s10
	s_cbranch_scc1 .LBB146_35
; %bb.4:
	s_bfe_u32 s4, ttmp6, 0x4000c
	s_bfe_u32 s11, ttmp6, 0x40010
	s_and_b32 s5, ttmp7, 0xffff
	s_add_co_i32 s4, s4, 1
	s_add_co_i32 s11, s11, 1
	s_and_b32 s3, ttmp6, 15
	s_mul_i32 s4, ttmp9, s4
	s_mul_i32 s11, s5, s11
	s_bfe_u32 s24, ttmp6, 0x40004
	s_add_co_i32 s3, s3, s4
	s_add_co_i32 s24, s24, s11
	s_cmp_eq_u32 s2, 0
	v_and_b32_e32 v11, 0x3ff, v0
	v_bfe_u32 v15, v0, 10, 10
	s_load_b32 s4, s[0:1], 0x0
	s_wait_xcnt 0x0
	s_cselect_b32 s0, s5, s24
	s_cselect_b32 s1, ttmp9, s3
	s_lshl_b32 s0, s0, 5
	v_lshl_add_u32 v1, v15, 4, v11
	v_dual_add_nc_u32 v16, s0, v15 :: v_dual_bitop2_b32 v0, 7, v0 bitop3:0x40
	s_lshl_b32 s2, s1, 5
	s_cmp_neq_f32 s34, 0
	s_delay_alu instid0(VALU_DEP_2) | instskip(NEXT) | instid1(VALU_DEP_2)
	v_dual_lshrrev_b32 v10, 3, v1 :: v_dual_bitop2_b32 v3, 31, v1 bitop3:0x40
	v_dual_add_nc_u32 v18, 16, v16 :: v_dual_ashrrev_i32 v17, 31, v16
	s_delay_alu instid0(VALU_DEP_2) | instskip(NEXT) | instid1(VALU_DEP_3)
	v_dual_lshrrev_b32 v2, 5, v1 :: v_dual_bitop2_b32 v8, s2, v3 bitop3:0x54
	v_add_nc_u32_e32 v12, s0, v10
	s_delay_alu instid0(VALU_DEP_3) | instskip(NEXT) | instid1(VALU_DEP_4)
	v_ashrrev_i32_e32 v19, 31, v18
	v_mul_u64_e32 v[4:5], s[28:29], v[16:17]
	v_dual_lshlrev_b32 v1, 2, v3 :: v_dual_lshlrev_b32 v3, 2, v0
	v_ashrrev_i32_e32 v9, 31, v8
	s_delay_alu instid0(VALU_DEP_4)
	v_mul_u64_e32 v[6:7], s[28:29], v[18:19]
	s_wait_kmcnt 0x0
	v_cmp_gt_i32_e32 vcc_lo, s4, v16
	s_cselect_b32 s24, -1, 0
	v_lshl_or_b32 v3, v10, 5, v3
	v_add_nc_u32_e32 v10, s2, v11
	s_cmp_neq_f32 s33, 0
	v_dual_ashrrev_i32 v13, 31, v12 :: v_dual_lshlrev_b32 v26, 2, v11
	v_cmp_gt_i64_e64 s25, s[8:9], 0
	s_delay_alu instid0(VALU_DEP_3)
	v_cmp_le_i32_e64 s2, v10, v16
	v_dual_add_nc_u32 v14, 16, v10 :: v_dual_ashrrev_i32 v11, 31, v10
	v_cmp_gt_i32_e64 s0, s4, v8
	v_lshl_add_u64 v[8:9], v[8:9], 2, s[12:13]
	v_cmp_gt_i32_e64 s1, s4, v12
	s_cselect_b32 s11, -1, 0
	s_and_b32 s12, vcc_lo, s2
	v_cmp_le_i32_e64 s2, v14, v16
	v_cmp_gt_i32_e64 s3, s4, v18
	v_cmp_le_i32_e64 s4, v10, v18
	v_cmp_le_i32_e64 s5, v14, v18
	v_lshl_or_b32 v1, v2, 7, v1
	v_add_nc_u32_e32 v3, 0x400, v3
	v_lshl_add_u64 v[12:13], v[12:13], 2, s[18:19]
	v_lshl_add_u32 v27, v15, 5, 0x400
	v_dual_ashrrev_i32 v15, 31, v14 :: v_dual_mov_b32 v17, 0
	s_and_b32 s13, s24, s25
	s_and_b32 s18, vcc_lo, s2
	s_and_b32 s4, s3, s4
	s_and_b32 s5, s3, s5
	s_branch .LBB146_6
.LBB146_5:                              ;   in Loop: Header=BB146_6 Depth=1
	s_wait_xcnt 0x0
	s_or_b32 exec_lo, exec_lo, s2
	s_add_co_i32 s6, s6, 0x10000
	s_delay_alu instid0(SALU_CYCLE_1)
	s_cmp_lt_u32 s6, s10
	s_cbranch_scc0 .LBB146_35
.LBB146_6:                              ; =>This Loop Header: Depth=1
                                        ;     Child Loop BB146_9 Depth 2
	v_dual_mov_b32 v25, v17 :: v_dual_mov_b32 v24, v17
	v_dual_mov_b32 v19, v17 :: v_dual_mov_b32 v18, v17
	s_and_not1_b32 vcc_lo, exec_lo, s13
	s_cbranch_vccnz .LBB146_15
; %bb.7:                                ;   in Loop: Header=BB146_6 Depth=1
	v_mov_b32_e32 v18, 0
	s_mul_u64 s[2:3], s[16:17], s[6:7]
	s_mul_u64 s[24:25], s[22:23], s[6:7]
	v_lshl_add_u64 v[20:21], s[2:3], 2, v[8:9]
	v_lshl_add_u64 v[22:23], s[24:25], 2, v[12:13]
	v_dual_mov_b32 v19, v18 :: v_dual_mov_b32 v24, v18
	v_mov_b32_e32 v25, v18
	s_mov_b64 s[2:3], 0
	s_branch .LBB146_9
.LBB146_8:                              ;   in Loop: Header=BB146_9 Depth=2
	s_wait_xcnt 0x0
	s_or_b32 exec_lo, exec_lo, s19
	s_wait_loadcnt 0x0
	ds_store_b32 v3, v29
	s_wait_dscnt 0x0
	s_barrier_signal -1
	s_barrier_wait -1
	ds_load_b128 v[28:31], v27
	ds_load_2addr_b32 v[44:45], v26 offset1:16
	ds_load_b128 v[32:35], v27 offset:512
	ds_load_2addr_b32 v[46:47], v26 offset0:32 offset1:48
	ds_load_2addr_b32 v[48:49], v26 offset0:64 offset1:80
	;; [unrolled: 1-line block ×3, first 2 shown]
	ds_load_b128 v[36:39], v27 offset:16
	ds_load_2addr_b32 v[52:53], v26 offset0:128 offset1:144
	ds_load_b128 v[40:43], v27 offset:528
	s_add_nc_u64 s[2:3], s[2:3], 8
	s_delay_alu instid0(SALU_CYCLE_1)
	v_cmp_gt_i64_e64 s19, s[8:9], s[2:3]
	s_and_b32 vcc_lo, exec_lo, s19
	s_wait_dscnt 0x8
	v_mov_b32_e32 v16, v31
	s_wait_dscnt 0x7
	v_pk_fma_f32 v[24:25], v[44:45], v[28:29], v[24:25] op_sel_hi:[1,0,1]
	s_wait_dscnt 0x6
	v_pk_fma_f32 v[18:19], v[44:45], v[32:33], v[18:19] op_sel_hi:[1,0,1]
	ds_load_2addr_b32 v[44:45], v26 offset0:160 offset1:176
	s_wait_dscnt 0x6
	v_pk_fma_f32 v[24:25], v[46:47], v[28:29], v[24:25] op_sel:[0,1,0]
	v_pk_fma_f32 v[18:19], v[46:47], v[32:33], v[18:19] op_sel:[0,1,0]
	ds_load_2addr_b32 v[28:29], v26 offset0:192 offset1:208
	v_mov_b32_e32 v32, v35
	s_wait_dscnt 0x6
	v_pk_fma_f32 v[24:25], v[48:49], v[30:31], v[24:25] op_sel_hi:[1,0,1]
	v_pk_fma_f32 v[18:19], v[48:49], v[34:35], v[18:19] op_sel_hi:[1,0,1]
	ds_load_2addr_b32 v[30:31], v26 offset0:224 offset1:240
	s_wait_dscnt 0x0
	s_barrier_signal -1
	v_pk_fma_f32 v[24:25], v[50:51], v[16:17], v[24:25] op_sel_hi:[1,0,1]
	v_pk_fma_f32 v[18:19], v[50:51], v[32:33], v[18:19] op_sel_hi:[1,0,1]
	v_dual_mov_b32 v16, v39 :: v_dual_mov_b32 v32, v43
	s_barrier_wait -1
	s_delay_alu instid0(VALU_DEP_3) | instskip(NEXT) | instid1(VALU_DEP_3)
	v_pk_fma_f32 v[24:25], v[52:53], v[36:37], v[24:25] op_sel_hi:[1,0,1]
	v_pk_fma_f32 v[18:19], v[52:53], v[40:41], v[18:19] op_sel_hi:[1,0,1]
	s_delay_alu instid0(VALU_DEP_2) | instskip(NEXT) | instid1(VALU_DEP_2)
	v_pk_fma_f32 v[24:25], v[44:45], v[36:37], v[24:25] op_sel:[0,1,0]
	v_pk_fma_f32 v[18:19], v[44:45], v[40:41], v[18:19] op_sel:[0,1,0]
	s_delay_alu instid0(VALU_DEP_2) | instskip(NEXT) | instid1(VALU_DEP_2)
	v_pk_fma_f32 v[24:25], v[28:29], v[38:39], v[24:25] op_sel_hi:[1,0,1]
	v_pk_fma_f32 v[18:19], v[28:29], v[42:43], v[18:19] op_sel_hi:[1,0,1]
	s_delay_alu instid0(VALU_DEP_2) | instskip(NEXT) | instid1(VALU_DEP_2)
	v_pk_fma_f32 v[24:25], v[30:31], v[16:17], v[24:25] op_sel_hi:[1,0,1]
	v_pk_fma_f32 v[18:19], v[30:31], v[32:33], v[18:19] op_sel_hi:[1,0,1]
	s_cbranch_vccz .LBB146_15
.LBB146_9:                              ;   Parent Loop BB146_6 Depth=1
                                        ; =>  This Inner Loop Header: Depth=2
	v_mov_b32_e32 v28, 0
	s_and_saveexec_b32 s19, s0
	s_cbranch_execz .LBB146_13
; %bb.10:                               ;   in Loop: Header=BB146_9 Depth=2
	v_dual_add_nc_u32 v16, s2, v2 :: v_dual_mov_b32 v28, 0
	s_mov_b32 s24, exec_lo
	s_delay_alu instid0(VALU_DEP_1)
	v_cmpx_gt_u64_e64 s[8:9], v[16:17]
	s_cbranch_execz .LBB146_12
; %bb.11:                               ;   in Loop: Header=BB146_9 Depth=2
	v_mul_u64_e32 v[28:29], s[14:15], v[16:17]
	s_delay_alu instid0(VALU_DEP_1)
	v_lshl_add_u64 v[28:29], v[28:29], 2, v[20:21]
	global_load_b32 v28, v[28:29], off
.LBB146_12:                             ;   in Loop: Header=BB146_9 Depth=2
	s_wait_xcnt 0x0
	s_or_b32 exec_lo, exec_lo, s24
.LBB146_13:                             ;   in Loop: Header=BB146_9 Depth=2
	s_delay_alu instid0(SALU_CYCLE_1)
	s_or_b32 exec_lo, exec_lo, s19
	v_dual_mov_b32 v29, 0 :: v_dual_add_nc_u32 v16, s2, v0
	s_wait_loadcnt 0x0
	ds_store_b32 v1, v28
	v_cmp_gt_u64_e32 vcc_lo, s[8:9], v[16:17]
	s_and_b32 s24, vcc_lo, s1
	s_delay_alu instid0(SALU_CYCLE_1)
	s_and_saveexec_b32 s19, s24
	s_cbranch_execz .LBB146_8
; %bb.14:                               ;   in Loop: Header=BB146_9 Depth=2
	v_mul_u64_e32 v[28:29], s[20:21], v[16:17]
	s_delay_alu instid0(VALU_DEP_1)
	v_lshl_add_u64 v[28:29], v[28:29], 2, v[22:23]
	global_load_b32 v29, v[28:29], off
	s_branch .LBB146_8
.LBB146_15:                             ;   in Loop: Header=BB146_6 Depth=1
	s_mul_u64 s[2:3], s[30:31], s[6:7]
	s_delay_alu instid0(SALU_CYCLE_1) | instskip(NEXT) | instid1(SALU_CYCLE_1)
	s_lshl_b64 s[2:3], s[2:3], 2
	s_add_nc_u64 s[2:3], s[26:27], s[2:3]
	s_delay_alu instid0(SALU_CYCLE_1)
	v_lshl_add_u64 v[20:21], v[4:5], 2, s[2:3]
	s_and_saveexec_b32 s19, s12
	s_cbranch_execz .LBB146_19
; %bb.16:                               ;   in Loop: Header=BB146_6 Depth=1
	v_mul_f32_e32 v16, s34, v24
	s_delay_alu instid0(VALU_DEP_2)
	v_lshl_add_u64 v[22:23], v[10:11], 2, v[20:21]
	s_and_b32 vcc_lo, exec_lo, s11
	s_cbranch_vccz .LBB146_30
; %bb.17:                               ;   in Loop: Header=BB146_6 Depth=1
	global_load_b32 v24, v[22:23], off
	s_wait_loadcnt 0x0
	v_fma_f32 v24, s33, v24, v16
	global_store_b32 v[22:23], v24, off
	s_cbranch_execnz .LBB146_19
.LBB146_18:                             ;   in Loop: Header=BB146_6 Depth=1
	global_store_b32 v[22:23], v16, off
.LBB146_19:                             ;   in Loop: Header=BB146_6 Depth=1
	s_wait_xcnt 0x0
	s_or_b32 exec_lo, exec_lo, s19
	s_and_saveexec_b32 s19, s18
	s_cbranch_execz .LBB146_23
; %bb.20:                               ;   in Loop: Header=BB146_6 Depth=1
	v_mul_f32_e32 v16, s34, v25
	v_lshl_add_u64 v[20:21], v[14:15], 2, v[20:21]
	s_and_not1_b32 vcc_lo, exec_lo, s11
	s_cbranch_vccnz .LBB146_31
; %bb.21:                               ;   in Loop: Header=BB146_6 Depth=1
	global_load_b32 v22, v[20:21], off
	s_wait_loadcnt 0x0
	v_fma_f32 v22, s33, v22, v16
	global_store_b32 v[20:21], v22, off
	s_cbranch_execnz .LBB146_23
.LBB146_22:                             ;   in Loop: Header=BB146_6 Depth=1
	global_store_b32 v[20:21], v16, off
.LBB146_23:                             ;   in Loop: Header=BB146_6 Depth=1
	s_wait_xcnt 0x0
	s_or_b32 exec_lo, exec_lo, s19
	v_lshl_add_u64 v[20:21], v[6:7], 2, s[2:3]
	s_and_saveexec_b32 s2, s4
	s_cbranch_execz .LBB146_27
; %bb.24:                               ;   in Loop: Header=BB146_6 Depth=1
	v_mul_f32_e32 v16, s34, v18
	s_delay_alu instid0(VALU_DEP_2)
	v_lshl_add_u64 v[22:23], v[10:11], 2, v[20:21]
	s_and_not1_b32 vcc_lo, exec_lo, s11
	s_cbranch_vccnz .LBB146_32
; %bb.25:                               ;   in Loop: Header=BB146_6 Depth=1
	global_load_b32 v18, v[22:23], off
	s_wait_loadcnt 0x0
	v_fma_f32 v18, s33, v18, v16
	global_store_b32 v[22:23], v18, off
	s_cbranch_execnz .LBB146_27
.LBB146_26:                             ;   in Loop: Header=BB146_6 Depth=1
	global_store_b32 v[22:23], v16, off
.LBB146_27:                             ;   in Loop: Header=BB146_6 Depth=1
	s_wait_xcnt 0x0
	s_or_b32 exec_lo, exec_lo, s2
	s_and_saveexec_b32 s2, s5
	s_cbranch_execz .LBB146_5
; %bb.28:                               ;   in Loop: Header=BB146_6 Depth=1
	v_mul_f32_e32 v16, s34, v19
	v_lshl_add_u64 v[18:19], v[14:15], 2, v[20:21]
	s_and_not1_b32 vcc_lo, exec_lo, s11
	s_cbranch_vccnz .LBB146_33
; %bb.29:                               ;   in Loop: Header=BB146_6 Depth=1
	global_load_b32 v20, v[18:19], off
	s_wait_loadcnt 0x0
	v_fma_f32 v20, s33, v20, v16
	global_store_b32 v[18:19], v20, off
	s_cbranch_execnz .LBB146_5
	s_branch .LBB146_34
.LBB146_30:                             ;   in Loop: Header=BB146_6 Depth=1
	s_branch .LBB146_18
.LBB146_31:                             ;   in Loop: Header=BB146_6 Depth=1
	s_branch .LBB146_22
.LBB146_32:                             ;   in Loop: Header=BB146_6 Depth=1
	s_branch .LBB146_26
.LBB146_33:                             ;   in Loop: Header=BB146_6 Depth=1
.LBB146_34:                             ;   in Loop: Header=BB146_6 Depth=1
	global_store_b32 v[18:19], v16, off
	s_branch .LBB146_5
.LBB146_35:
	s_endpgm
	.section	.rodata,"a",@progbits
	.p2align	6, 0x0
	.amdhsa_kernel _ZL29rocblas_internal_gemmt_kernelIlLi16ELi32ELi8ELc78ELc67ELc85ELb0ELb0EfPKfS1_PfEviT_T9_T10_S3_lS5_S3_lS4_T11_S3_li
		.amdhsa_group_segment_fixed_size 2048
		.amdhsa_private_segment_fixed_size 0
		.amdhsa_kernarg_size 108
		.amdhsa_user_sgpr_count 2
		.amdhsa_user_sgpr_dispatch_ptr 0
		.amdhsa_user_sgpr_queue_ptr 0
		.amdhsa_user_sgpr_kernarg_segment_ptr 1
		.amdhsa_user_sgpr_dispatch_id 0
		.amdhsa_user_sgpr_kernarg_preload_length 0
		.amdhsa_user_sgpr_kernarg_preload_offset 0
		.amdhsa_user_sgpr_private_segment_size 0
		.amdhsa_wavefront_size32 1
		.amdhsa_uses_dynamic_stack 0
		.amdhsa_enable_private_segment 0
		.amdhsa_system_sgpr_workgroup_id_x 1
		.amdhsa_system_sgpr_workgroup_id_y 1
		.amdhsa_system_sgpr_workgroup_id_z 1
		.amdhsa_system_sgpr_workgroup_info 0
		.amdhsa_system_vgpr_workitem_id 1
		.amdhsa_next_free_vgpr 54
		.amdhsa_next_free_sgpr 35
		.amdhsa_named_barrier_count 0
		.amdhsa_reserve_vcc 1
		.amdhsa_float_round_mode_32 0
		.amdhsa_float_round_mode_16_64 0
		.amdhsa_float_denorm_mode_32 3
		.amdhsa_float_denorm_mode_16_64 3
		.amdhsa_fp16_overflow 0
		.amdhsa_memory_ordered 1
		.amdhsa_forward_progress 1
		.amdhsa_inst_pref_size 13
		.amdhsa_round_robin_scheduling 0
		.amdhsa_exception_fp_ieee_invalid_op 0
		.amdhsa_exception_fp_denorm_src 0
		.amdhsa_exception_fp_ieee_div_zero 0
		.amdhsa_exception_fp_ieee_overflow 0
		.amdhsa_exception_fp_ieee_underflow 0
		.amdhsa_exception_fp_ieee_inexact 0
		.amdhsa_exception_int_div_zero 0
	.end_amdhsa_kernel
	.section	.text._ZL29rocblas_internal_gemmt_kernelIlLi16ELi32ELi8ELc78ELc67ELc85ELb0ELb0EfPKfS1_PfEviT_T9_T10_S3_lS5_S3_lS4_T11_S3_li,"axG",@progbits,_ZL29rocblas_internal_gemmt_kernelIlLi16ELi32ELi8ELc78ELc67ELc85ELb0ELb0EfPKfS1_PfEviT_T9_T10_S3_lS5_S3_lS4_T11_S3_li,comdat
.Lfunc_end146:
	.size	_ZL29rocblas_internal_gemmt_kernelIlLi16ELi32ELi8ELc78ELc67ELc85ELb0ELb0EfPKfS1_PfEviT_T9_T10_S3_lS5_S3_lS4_T11_S3_li, .Lfunc_end146-_ZL29rocblas_internal_gemmt_kernelIlLi16ELi32ELi8ELc78ELc67ELc85ELb0ELb0EfPKfS1_PfEviT_T9_T10_S3_lS5_S3_lS4_T11_S3_li
                                        ; -- End function
	.set _ZL29rocblas_internal_gemmt_kernelIlLi16ELi32ELi8ELc78ELc67ELc85ELb0ELb0EfPKfS1_PfEviT_T9_T10_S3_lS5_S3_lS4_T11_S3_li.num_vgpr, 54
	.set _ZL29rocblas_internal_gemmt_kernelIlLi16ELi32ELi8ELc78ELc67ELc85ELb0ELb0EfPKfS1_PfEviT_T9_T10_S3_lS5_S3_lS4_T11_S3_li.num_agpr, 0
	.set _ZL29rocblas_internal_gemmt_kernelIlLi16ELi32ELi8ELc78ELc67ELc85ELb0ELb0EfPKfS1_PfEviT_T9_T10_S3_lS5_S3_lS4_T11_S3_li.numbered_sgpr, 35
	.set _ZL29rocblas_internal_gemmt_kernelIlLi16ELi32ELi8ELc78ELc67ELc85ELb0ELb0EfPKfS1_PfEviT_T9_T10_S3_lS5_S3_lS4_T11_S3_li.num_named_barrier, 0
	.set _ZL29rocblas_internal_gemmt_kernelIlLi16ELi32ELi8ELc78ELc67ELc85ELb0ELb0EfPKfS1_PfEviT_T9_T10_S3_lS5_S3_lS4_T11_S3_li.private_seg_size, 0
	.set _ZL29rocblas_internal_gemmt_kernelIlLi16ELi32ELi8ELc78ELc67ELc85ELb0ELb0EfPKfS1_PfEviT_T9_T10_S3_lS5_S3_lS4_T11_S3_li.uses_vcc, 1
	.set _ZL29rocblas_internal_gemmt_kernelIlLi16ELi32ELi8ELc78ELc67ELc85ELb0ELb0EfPKfS1_PfEviT_T9_T10_S3_lS5_S3_lS4_T11_S3_li.uses_flat_scratch, 0
	.set _ZL29rocblas_internal_gemmt_kernelIlLi16ELi32ELi8ELc78ELc67ELc85ELb0ELb0EfPKfS1_PfEviT_T9_T10_S3_lS5_S3_lS4_T11_S3_li.has_dyn_sized_stack, 0
	.set _ZL29rocblas_internal_gemmt_kernelIlLi16ELi32ELi8ELc78ELc67ELc85ELb0ELb0EfPKfS1_PfEviT_T9_T10_S3_lS5_S3_lS4_T11_S3_li.has_recursion, 0
	.set _ZL29rocblas_internal_gemmt_kernelIlLi16ELi32ELi8ELc78ELc67ELc85ELb0ELb0EfPKfS1_PfEviT_T9_T10_S3_lS5_S3_lS4_T11_S3_li.has_indirect_call, 0
	.section	.AMDGPU.csdata,"",@progbits
; Kernel info:
; codeLenInByte = 1608
; TotalNumSgprs: 37
; NumVgprs: 54
; ScratchSize: 0
; MemoryBound: 0
; FloatMode: 240
; IeeeMode: 1
; LDSByteSize: 2048 bytes/workgroup (compile time only)
; SGPRBlocks: 0
; VGPRBlocks: 3
; NumSGPRsForWavesPerEU: 37
; NumVGPRsForWavesPerEU: 54
; NamedBarCnt: 0
; Occupancy: 16
; WaveLimiterHint : 0
; COMPUTE_PGM_RSRC2:SCRATCH_EN: 0
; COMPUTE_PGM_RSRC2:USER_SGPR: 2
; COMPUTE_PGM_RSRC2:TRAP_HANDLER: 0
; COMPUTE_PGM_RSRC2:TGID_X_EN: 1
; COMPUTE_PGM_RSRC2:TGID_Y_EN: 1
; COMPUTE_PGM_RSRC2:TGID_Z_EN: 1
; COMPUTE_PGM_RSRC2:TIDIG_COMP_CNT: 1
	.section	.text._ZL29rocblas_internal_gemmt_kernelIlLi16ELi32ELi8ELc84ELc78ELc85ELb0ELb0EfPKfS1_PfEviT_T9_T10_S3_lS5_S3_lS4_T11_S3_li,"axG",@progbits,_ZL29rocblas_internal_gemmt_kernelIlLi16ELi32ELi8ELc84ELc78ELc85ELb0ELb0EfPKfS1_PfEviT_T9_T10_S3_lS5_S3_lS4_T11_S3_li,comdat
	.globl	_ZL29rocblas_internal_gemmt_kernelIlLi16ELi32ELi8ELc84ELc78ELc85ELb0ELb0EfPKfS1_PfEviT_T9_T10_S3_lS5_S3_lS4_T11_S3_li ; -- Begin function _ZL29rocblas_internal_gemmt_kernelIlLi16ELi32ELi8ELc84ELc78ELc85ELb0ELb0EfPKfS1_PfEviT_T9_T10_S3_lS5_S3_lS4_T11_S3_li
	.p2align	8
	.type	_ZL29rocblas_internal_gemmt_kernelIlLi16ELi32ELi8ELc84ELc78ELc85ELb0ELb0EfPKfS1_PfEviT_T9_T10_S3_lS5_S3_lS4_T11_S3_li,@function
_ZL29rocblas_internal_gemmt_kernelIlLi16ELi32ELi8ELc84ELc78ELc85ELb0ELb0EfPKfS1_PfEviT_T9_T10_S3_lS5_S3_lS4_T11_S3_li: ; @_ZL29rocblas_internal_gemmt_kernelIlLi16ELi32ELi8ELc84ELc78ELc85ELb0ELb0EfPKfS1_PfEviT_T9_T10_S3_lS5_S3_lS4_T11_S3_li
; %bb.0:
	s_clause 0x1
	s_load_b256 s[24:31], s[0:1], 0x48
	s_load_b512 s[8:23], s[0:1], 0x8
	s_wait_kmcnt 0x0
	s_load_b32 s33, s[24:25], 0x0
	s_load_b32 s34, s[10:11], 0x0
	s_wait_kmcnt 0x0
	s_cmp_neq_f32 s33, 1.0
	s_cselect_b32 s2, -1, 0
	s_delay_alu instid0(SALU_CYCLE_1)
	s_and_b32 vcc_lo, exec_lo, s2
	s_cbranch_vccnz .LBB147_2
; %bb.1:
	s_cmp_lg_u64 s[8:9], 0
	s_cselect_b32 s2, -1, 0
	s_cmp_neq_f32 s34, 0
	s_cselect_b32 s3, -1, 0
	s_delay_alu instid0(SALU_CYCLE_1)
	s_and_b32 s2, s2, s3
.LBB147_2:
	s_delay_alu instid0(SALU_CYCLE_1)
	s_and_not1_b32 vcc_lo, exec_lo, s2
	s_cbranch_vccnz .LBB147_35
; %bb.3:
	s_load_b32 s10, s[0:1], 0x68
	s_bfe_u32 s2, ttmp6, 0x40014
	s_lshr_b32 s3, ttmp7, 16
	s_add_co_i32 s2, s2, 1
	s_bfe_u32 s5, ttmp6, 0x40008
	s_mul_i32 s4, s3, s2
	s_getreg_b32 s2, hwreg(HW_REG_IB_STS2, 6, 4)
	s_add_co_i32 s5, s5, s4
	s_cmp_eq_u32 s2, 0
	s_mov_b32 s7, 0
	s_cselect_b32 s6, s3, s5
	s_wait_kmcnt 0x0
	s_cmp_ge_u32 s6, s10
	s_cbranch_scc1 .LBB147_35
; %bb.4:
	v_and_b32_e32 v8, 0x3ff, v0
	v_bfe_u32 v2, v0, 10, 10
	s_bfe_u32 s4, ttmp6, 0x4000c
	s_bfe_u32 s11, ttmp6, 0x40010
	s_and_b32 s5, ttmp7, 0xffff
	s_add_co_i32 s4, s4, 1
	s_add_co_i32 s11, s11, 1
	v_lshl_add_u32 v6, v2, 4, v8
	s_and_b32 s3, ttmp6, 15
	s_mul_i32 s4, ttmp9, s4
	s_mul_i32 s11, s5, s11
	s_bfe_u32 s24, ttmp6, 0x40004
	s_add_co_i32 s3, s3, s4
	s_add_co_i32 s24, s24, s11
	s_cmp_eq_u32 s2, 0
	v_dual_lshrrev_b32 v9, 3, v6 :: v_dual_bitop2_b32 v10, 31, v6 bitop3:0x40
	s_cselect_b32 s2, ttmp9, s3
	s_cselect_b32 s3, s5, s24
	s_lshl_b32 s2, s2, 5
	s_lshl_b32 s3, s3, 5
	s_delay_alu instid0(SALU_CYCLE_1) | instskip(SKIP_2) | instid1(VALU_DEP_2)
	v_dual_add_nc_u32 v14, s3, v9 :: v_dual_bitop2_b32 v12, s2, v10 bitop3:0x54
	v_dual_add_nc_u32 v16, s3, v2 :: v_dual_bitop2_b32 v0, 7, v0 bitop3:0x40
	s_load_b32 s3, s[0:1], 0x0
	v_dual_ashrrev_i32 v13, 31, v12 :: v_dual_ashrrev_i32 v15, 31, v14
	s_delay_alu instid0(VALU_DEP_2) | instskip(NEXT) | instid1(VALU_DEP_3)
	v_dual_add_nc_u32 v22, 16, v16 :: v_dual_ashrrev_i32 v17, 31, v16
	v_lshlrev_b32_e32 v11, 2, v0
	s_delay_alu instid0(VALU_DEP_3) | instskip(NEXT) | instid1(VALU_DEP_4)
	v_mul_u64_e32 v[18:19], s[14:15], v[12:13]
	v_mul_u64_e32 v[20:21], s[20:21], v[14:15]
	s_delay_alu instid0(VALU_DEP_4) | instskip(SKIP_3) | instid1(VALU_DEP_4)
	v_ashrrev_i32_e32 v23, 31, v22
	v_lshl_add_u32 v7, v2, 5, 0x400
	v_mul_u64_e32 v[2:3], s[28:29], v[16:17]
	v_dual_lshlrev_b32 v1, 2, v8 :: v_dual_lshrrev_b32 v6, 5, v6
	v_mul_u64_e32 v[4:5], s[28:29], v[22:23]
	v_dual_add_nc_u32 v8, s2, v8 :: v_dual_lshlrev_b32 v13, 2, v10
	s_cmp_neq_f32 s34, 0
	v_lshl_or_b32 v11, v9, 5, v11
	v_cmp_gt_i64_e64 s15, s[8:9], 0
	s_delay_alu instid0(VALU_DEP_3)
	v_cmp_le_i32_e32 vcc_lo, v8, v16
	v_dual_ashrrev_i32 v9, 31, v8 :: v_dual_add_nc_u32 v10, 16, v8
	s_wait_kmcnt 0x0
	v_cmp_gt_i32_e64 s2, s3, v16
	s_cselect_b32 s20, -1, 0
	s_cmp_neq_f32 s33, 0
	v_cmp_gt_i32_e64 s0, s3, v12
	v_cmp_gt_i32_e64 s1, s3, v14
	;; [unrolled: 1-line block ×3, first 2 shown]
	s_cselect_b32 s11, -1, 0
	s_and_b32 s14, s2, vcc_lo
	v_cmp_le_i32_e32 vcc_lo, v10, v16
	v_cmp_le_i32_e64 s4, v8, v22
	v_cmp_le_i32_e64 s5, v10, v22
	v_lshl_or_b32 v26, v6, 7, v13
	v_add_nc_u32_e32 v27, 0x400, v11
	v_dual_ashrrev_i32 v11, 31, v10 :: v_dual_mov_b32 v17, 0
	s_and_b32 s4, s3, s4
	v_lshl_add_u64 v[12:13], v[18:19], 2, s[12:13]
	v_lshl_add_u64 v[14:15], v[20:21], 2, s[18:19]
	s_and_b32 s12, s20, s15
	s_and_b32 s13, s2, vcc_lo
	s_and_b32 s5, s3, s5
	s_branch .LBB147_6
.LBB147_5:                              ;   in Loop: Header=BB147_6 Depth=1
	s_wait_xcnt 0x0
	s_or_b32 exec_lo, exec_lo, s2
	s_add_co_i32 s6, s6, 0x10000
	s_delay_alu instid0(SALU_CYCLE_1)
	s_cmp_lt_u32 s6, s10
	s_cbranch_scc0 .LBB147_35
.LBB147_6:                              ; =>This Loop Header: Depth=1
                                        ;     Child Loop BB147_9 Depth 2
	v_dual_mov_b32 v25, v17 :: v_dual_mov_b32 v24, v17
	v_dual_mov_b32 v19, v17 :: v_dual_mov_b32 v18, v17
	s_and_not1_b32 vcc_lo, exec_lo, s12
	s_cbranch_vccnz .LBB147_15
; %bb.7:                                ;   in Loop: Header=BB147_6 Depth=1
	v_mov_b32_e32 v18, 0
	s_mul_u64 s[2:3], s[16:17], s[6:7]
	s_mul_u64 s[18:19], s[22:23], s[6:7]
	v_lshl_add_u64 v[20:21], s[2:3], 2, v[12:13]
	v_lshl_add_u64 v[22:23], s[18:19], 2, v[14:15]
	v_dual_mov_b32 v19, v18 :: v_dual_mov_b32 v24, v18
	v_mov_b32_e32 v25, v18
	s_mov_b64 s[2:3], 0
	s_branch .LBB147_9
.LBB147_8:                              ;   in Loop: Header=BB147_9 Depth=2
	s_wait_xcnt 0x0
	s_or_b32 exec_lo, exec_lo, s15
	s_wait_loadcnt 0x0
	ds_store_b32 v27, v29
	s_wait_dscnt 0x0
	s_barrier_signal -1
	s_barrier_wait -1
	ds_load_b128 v[28:31], v7
	ds_load_2addr_b32 v[44:45], v1 offset1:16
	ds_load_b128 v[32:35], v7 offset:512
	ds_load_2addr_b32 v[46:47], v1 offset0:32 offset1:48
	ds_load_2addr_b32 v[48:49], v1 offset0:64 offset1:80
	;; [unrolled: 1-line block ×3, first 2 shown]
	ds_load_b128 v[36:39], v7 offset:16
	ds_load_2addr_b32 v[52:53], v1 offset0:128 offset1:144
	ds_load_b128 v[40:43], v7 offset:528
	s_add_nc_u64 s[2:3], s[2:3], 8
	s_delay_alu instid0(SALU_CYCLE_1)
	v_cmp_gt_i64_e64 s15, s[8:9], s[2:3]
	s_and_b32 vcc_lo, exec_lo, s15
	s_wait_dscnt 0x8
	v_mov_b32_e32 v16, v31
	s_wait_dscnt 0x7
	v_pk_fma_f32 v[24:25], v[44:45], v[28:29], v[24:25] op_sel_hi:[1,0,1]
	s_wait_dscnt 0x6
	v_pk_fma_f32 v[18:19], v[44:45], v[32:33], v[18:19] op_sel_hi:[1,0,1]
	ds_load_2addr_b32 v[44:45], v1 offset0:160 offset1:176
	s_wait_dscnt 0x6
	v_pk_fma_f32 v[24:25], v[46:47], v[28:29], v[24:25] op_sel:[0,1,0]
	v_pk_fma_f32 v[18:19], v[46:47], v[32:33], v[18:19] op_sel:[0,1,0]
	ds_load_2addr_b32 v[28:29], v1 offset0:192 offset1:208
	v_mov_b32_e32 v32, v35
	s_wait_dscnt 0x6
	v_pk_fma_f32 v[24:25], v[48:49], v[30:31], v[24:25] op_sel_hi:[1,0,1]
	v_pk_fma_f32 v[18:19], v[48:49], v[34:35], v[18:19] op_sel_hi:[1,0,1]
	ds_load_2addr_b32 v[30:31], v1 offset0:224 offset1:240
	s_wait_dscnt 0x0
	s_barrier_signal -1
	v_pk_fma_f32 v[24:25], v[50:51], v[16:17], v[24:25] op_sel_hi:[1,0,1]
	v_pk_fma_f32 v[18:19], v[50:51], v[32:33], v[18:19] op_sel_hi:[1,0,1]
	v_dual_mov_b32 v16, v39 :: v_dual_mov_b32 v32, v43
	s_barrier_wait -1
	s_delay_alu instid0(VALU_DEP_3) | instskip(NEXT) | instid1(VALU_DEP_3)
	v_pk_fma_f32 v[24:25], v[52:53], v[36:37], v[24:25] op_sel_hi:[1,0,1]
	v_pk_fma_f32 v[18:19], v[52:53], v[40:41], v[18:19] op_sel_hi:[1,0,1]
	s_delay_alu instid0(VALU_DEP_2) | instskip(NEXT) | instid1(VALU_DEP_2)
	v_pk_fma_f32 v[24:25], v[44:45], v[36:37], v[24:25] op_sel:[0,1,0]
	v_pk_fma_f32 v[18:19], v[44:45], v[40:41], v[18:19] op_sel:[0,1,0]
	s_delay_alu instid0(VALU_DEP_2) | instskip(NEXT) | instid1(VALU_DEP_2)
	v_pk_fma_f32 v[24:25], v[28:29], v[38:39], v[24:25] op_sel_hi:[1,0,1]
	v_pk_fma_f32 v[18:19], v[28:29], v[42:43], v[18:19] op_sel_hi:[1,0,1]
	s_delay_alu instid0(VALU_DEP_2) | instskip(NEXT) | instid1(VALU_DEP_2)
	v_pk_fma_f32 v[24:25], v[30:31], v[16:17], v[24:25] op_sel_hi:[1,0,1]
	v_pk_fma_f32 v[18:19], v[30:31], v[32:33], v[18:19] op_sel_hi:[1,0,1]
	s_cbranch_vccz .LBB147_15
.LBB147_9:                              ;   Parent Loop BB147_6 Depth=1
                                        ; =>  This Inner Loop Header: Depth=2
	v_mov_b32_e32 v28, 0
	s_and_saveexec_b32 s15, s0
	s_cbranch_execz .LBB147_13
; %bb.10:                               ;   in Loop: Header=BB147_9 Depth=2
	v_dual_add_nc_u32 v16, s2, v6 :: v_dual_mov_b32 v28, 0
	s_mov_b32 s18, exec_lo
	s_delay_alu instid0(VALU_DEP_1)
	v_cmpx_gt_u64_e64 s[8:9], v[16:17]
	s_cbranch_execz .LBB147_12
; %bb.11:                               ;   in Loop: Header=BB147_9 Depth=2
	v_lshl_add_u64 v[28:29], v[16:17], 2, v[20:21]
	global_load_b32 v28, v[28:29], off
.LBB147_12:                             ;   in Loop: Header=BB147_9 Depth=2
	s_wait_xcnt 0x0
	s_or_b32 exec_lo, exec_lo, s18
.LBB147_13:                             ;   in Loop: Header=BB147_9 Depth=2
	s_delay_alu instid0(SALU_CYCLE_1)
	s_or_b32 exec_lo, exec_lo, s15
	v_dual_mov_b32 v29, 0 :: v_dual_add_nc_u32 v16, s2, v0
	s_wait_loadcnt 0x0
	ds_store_b32 v26, v28
	v_cmp_gt_u64_e32 vcc_lo, s[8:9], v[16:17]
	s_and_b32 s18, vcc_lo, s1
	s_delay_alu instid0(SALU_CYCLE_1)
	s_and_saveexec_b32 s15, s18
	s_cbranch_execz .LBB147_8
; %bb.14:                               ;   in Loop: Header=BB147_9 Depth=2
	v_lshl_add_u64 v[28:29], v[16:17], 2, v[22:23]
	global_load_b32 v29, v[28:29], off
	s_branch .LBB147_8
.LBB147_15:                             ;   in Loop: Header=BB147_6 Depth=1
	s_mul_u64 s[2:3], s[30:31], s[6:7]
	s_delay_alu instid0(SALU_CYCLE_1) | instskip(NEXT) | instid1(SALU_CYCLE_1)
	s_lshl_b64 s[2:3], s[2:3], 2
	s_add_nc_u64 s[2:3], s[26:27], s[2:3]
	s_delay_alu instid0(SALU_CYCLE_1)
	v_lshl_add_u64 v[20:21], v[2:3], 2, s[2:3]
	s_and_saveexec_b32 s15, s14
	s_cbranch_execz .LBB147_19
; %bb.16:                               ;   in Loop: Header=BB147_6 Depth=1
	v_mul_f32_e32 v16, s34, v24
	s_delay_alu instid0(VALU_DEP_2)
	v_lshl_add_u64 v[22:23], v[8:9], 2, v[20:21]
	s_and_b32 vcc_lo, exec_lo, s11
	s_cbranch_vccz .LBB147_30
; %bb.17:                               ;   in Loop: Header=BB147_6 Depth=1
	global_load_b32 v24, v[22:23], off
	s_wait_loadcnt 0x0
	v_fma_f32 v24, s33, v24, v16
	global_store_b32 v[22:23], v24, off
	s_cbranch_execnz .LBB147_19
.LBB147_18:                             ;   in Loop: Header=BB147_6 Depth=1
	global_store_b32 v[22:23], v16, off
.LBB147_19:                             ;   in Loop: Header=BB147_6 Depth=1
	s_wait_xcnt 0x0
	s_or_b32 exec_lo, exec_lo, s15
	s_and_saveexec_b32 s15, s13
	s_cbranch_execz .LBB147_23
; %bb.20:                               ;   in Loop: Header=BB147_6 Depth=1
	v_mul_f32_e32 v16, s34, v25
	v_lshl_add_u64 v[20:21], v[10:11], 2, v[20:21]
	s_and_not1_b32 vcc_lo, exec_lo, s11
	s_cbranch_vccnz .LBB147_31
; %bb.21:                               ;   in Loop: Header=BB147_6 Depth=1
	global_load_b32 v22, v[20:21], off
	s_wait_loadcnt 0x0
	v_fma_f32 v22, s33, v22, v16
	global_store_b32 v[20:21], v22, off
	s_cbranch_execnz .LBB147_23
.LBB147_22:                             ;   in Loop: Header=BB147_6 Depth=1
	global_store_b32 v[20:21], v16, off
.LBB147_23:                             ;   in Loop: Header=BB147_6 Depth=1
	s_wait_xcnt 0x0
	s_or_b32 exec_lo, exec_lo, s15
	v_lshl_add_u64 v[20:21], v[4:5], 2, s[2:3]
	s_and_saveexec_b32 s2, s4
	s_cbranch_execz .LBB147_27
; %bb.24:                               ;   in Loop: Header=BB147_6 Depth=1
	v_mul_f32_e32 v16, s34, v18
	s_delay_alu instid0(VALU_DEP_2)
	v_lshl_add_u64 v[22:23], v[8:9], 2, v[20:21]
	s_and_not1_b32 vcc_lo, exec_lo, s11
	s_cbranch_vccnz .LBB147_32
; %bb.25:                               ;   in Loop: Header=BB147_6 Depth=1
	global_load_b32 v18, v[22:23], off
	s_wait_loadcnt 0x0
	v_fma_f32 v18, s33, v18, v16
	global_store_b32 v[22:23], v18, off
	s_cbranch_execnz .LBB147_27
.LBB147_26:                             ;   in Loop: Header=BB147_6 Depth=1
	global_store_b32 v[22:23], v16, off
.LBB147_27:                             ;   in Loop: Header=BB147_6 Depth=1
	s_wait_xcnt 0x0
	s_or_b32 exec_lo, exec_lo, s2
	s_and_saveexec_b32 s2, s5
	s_cbranch_execz .LBB147_5
; %bb.28:                               ;   in Loop: Header=BB147_6 Depth=1
	v_mul_f32_e32 v16, s34, v19
	v_lshl_add_u64 v[18:19], v[10:11], 2, v[20:21]
	s_and_not1_b32 vcc_lo, exec_lo, s11
	s_cbranch_vccnz .LBB147_33
; %bb.29:                               ;   in Loop: Header=BB147_6 Depth=1
	global_load_b32 v20, v[18:19], off
	s_wait_loadcnt 0x0
	v_fma_f32 v20, s33, v20, v16
	global_store_b32 v[18:19], v20, off
	s_cbranch_execnz .LBB147_5
	s_branch .LBB147_34
.LBB147_30:                             ;   in Loop: Header=BB147_6 Depth=1
	s_branch .LBB147_18
.LBB147_31:                             ;   in Loop: Header=BB147_6 Depth=1
	s_branch .LBB147_22
.LBB147_32:                             ;   in Loop: Header=BB147_6 Depth=1
	s_branch .LBB147_26
.LBB147_33:                             ;   in Loop: Header=BB147_6 Depth=1
.LBB147_34:                             ;   in Loop: Header=BB147_6 Depth=1
	global_store_b32 v[18:19], v16, off
	s_branch .LBB147_5
.LBB147_35:
	s_endpgm
	.section	.rodata,"a",@progbits
	.p2align	6, 0x0
	.amdhsa_kernel _ZL29rocblas_internal_gemmt_kernelIlLi16ELi32ELi8ELc84ELc78ELc85ELb0ELb0EfPKfS1_PfEviT_T9_T10_S3_lS5_S3_lS4_T11_S3_li
		.amdhsa_group_segment_fixed_size 2048
		.amdhsa_private_segment_fixed_size 0
		.amdhsa_kernarg_size 108
		.amdhsa_user_sgpr_count 2
		.amdhsa_user_sgpr_dispatch_ptr 0
		.amdhsa_user_sgpr_queue_ptr 0
		.amdhsa_user_sgpr_kernarg_segment_ptr 1
		.amdhsa_user_sgpr_dispatch_id 0
		.amdhsa_user_sgpr_kernarg_preload_length 0
		.amdhsa_user_sgpr_kernarg_preload_offset 0
		.amdhsa_user_sgpr_private_segment_size 0
		.amdhsa_wavefront_size32 1
		.amdhsa_uses_dynamic_stack 0
		.amdhsa_enable_private_segment 0
		.amdhsa_system_sgpr_workgroup_id_x 1
		.amdhsa_system_sgpr_workgroup_id_y 1
		.amdhsa_system_sgpr_workgroup_id_z 1
		.amdhsa_system_sgpr_workgroup_info 0
		.amdhsa_system_vgpr_workitem_id 1
		.amdhsa_next_free_vgpr 54
		.amdhsa_next_free_sgpr 35
		.amdhsa_named_barrier_count 0
		.amdhsa_reserve_vcc 1
		.amdhsa_float_round_mode_32 0
		.amdhsa_float_round_mode_16_64 0
		.amdhsa_float_denorm_mode_32 3
		.amdhsa_float_denorm_mode_16_64 3
		.amdhsa_fp16_overflow 0
		.amdhsa_memory_ordered 1
		.amdhsa_forward_progress 1
		.amdhsa_inst_pref_size 13
		.amdhsa_round_robin_scheduling 0
		.amdhsa_exception_fp_ieee_invalid_op 0
		.amdhsa_exception_fp_denorm_src 0
		.amdhsa_exception_fp_ieee_div_zero 0
		.amdhsa_exception_fp_ieee_overflow 0
		.amdhsa_exception_fp_ieee_underflow 0
		.amdhsa_exception_fp_ieee_inexact 0
		.amdhsa_exception_int_div_zero 0
	.end_amdhsa_kernel
	.section	.text._ZL29rocblas_internal_gemmt_kernelIlLi16ELi32ELi8ELc84ELc78ELc85ELb0ELb0EfPKfS1_PfEviT_T9_T10_S3_lS5_S3_lS4_T11_S3_li,"axG",@progbits,_ZL29rocblas_internal_gemmt_kernelIlLi16ELi32ELi8ELc84ELc78ELc85ELb0ELb0EfPKfS1_PfEviT_T9_T10_S3_lS5_S3_lS4_T11_S3_li,comdat
.Lfunc_end147:
	.size	_ZL29rocblas_internal_gemmt_kernelIlLi16ELi32ELi8ELc84ELc78ELc85ELb0ELb0EfPKfS1_PfEviT_T9_T10_S3_lS5_S3_lS4_T11_S3_li, .Lfunc_end147-_ZL29rocblas_internal_gemmt_kernelIlLi16ELi32ELi8ELc84ELc78ELc85ELb0ELb0EfPKfS1_PfEviT_T9_T10_S3_lS5_S3_lS4_T11_S3_li
                                        ; -- End function
	.set _ZL29rocblas_internal_gemmt_kernelIlLi16ELi32ELi8ELc84ELc78ELc85ELb0ELb0EfPKfS1_PfEviT_T9_T10_S3_lS5_S3_lS4_T11_S3_li.num_vgpr, 54
	.set _ZL29rocblas_internal_gemmt_kernelIlLi16ELi32ELi8ELc84ELc78ELc85ELb0ELb0EfPKfS1_PfEviT_T9_T10_S3_lS5_S3_lS4_T11_S3_li.num_agpr, 0
	.set _ZL29rocblas_internal_gemmt_kernelIlLi16ELi32ELi8ELc84ELc78ELc85ELb0ELb0EfPKfS1_PfEviT_T9_T10_S3_lS5_S3_lS4_T11_S3_li.numbered_sgpr, 35
	.set _ZL29rocblas_internal_gemmt_kernelIlLi16ELi32ELi8ELc84ELc78ELc85ELb0ELb0EfPKfS1_PfEviT_T9_T10_S3_lS5_S3_lS4_T11_S3_li.num_named_barrier, 0
	.set _ZL29rocblas_internal_gemmt_kernelIlLi16ELi32ELi8ELc84ELc78ELc85ELb0ELb0EfPKfS1_PfEviT_T9_T10_S3_lS5_S3_lS4_T11_S3_li.private_seg_size, 0
	.set _ZL29rocblas_internal_gemmt_kernelIlLi16ELi32ELi8ELc84ELc78ELc85ELb0ELb0EfPKfS1_PfEviT_T9_T10_S3_lS5_S3_lS4_T11_S3_li.uses_vcc, 1
	.set _ZL29rocblas_internal_gemmt_kernelIlLi16ELi32ELi8ELc84ELc78ELc85ELb0ELb0EfPKfS1_PfEviT_T9_T10_S3_lS5_S3_lS4_T11_S3_li.uses_flat_scratch, 0
	.set _ZL29rocblas_internal_gemmt_kernelIlLi16ELi32ELi8ELc84ELc78ELc85ELb0ELb0EfPKfS1_PfEviT_T9_T10_S3_lS5_S3_lS4_T11_S3_li.has_dyn_sized_stack, 0
	.set _ZL29rocblas_internal_gemmt_kernelIlLi16ELi32ELi8ELc84ELc78ELc85ELb0ELb0EfPKfS1_PfEviT_T9_T10_S3_lS5_S3_lS4_T11_S3_li.has_recursion, 0
	.set _ZL29rocblas_internal_gemmt_kernelIlLi16ELi32ELi8ELc84ELc78ELc85ELb0ELb0EfPKfS1_PfEviT_T9_T10_S3_lS5_S3_lS4_T11_S3_li.has_indirect_call, 0
	.section	.AMDGPU.csdata,"",@progbits
; Kernel info:
; codeLenInByte = 1596
; TotalNumSgprs: 37
; NumVgprs: 54
; ScratchSize: 0
; MemoryBound: 0
; FloatMode: 240
; IeeeMode: 1
; LDSByteSize: 2048 bytes/workgroup (compile time only)
; SGPRBlocks: 0
; VGPRBlocks: 3
; NumSGPRsForWavesPerEU: 37
; NumVGPRsForWavesPerEU: 54
; NamedBarCnt: 0
; Occupancy: 16
; WaveLimiterHint : 0
; COMPUTE_PGM_RSRC2:SCRATCH_EN: 0
; COMPUTE_PGM_RSRC2:USER_SGPR: 2
; COMPUTE_PGM_RSRC2:TRAP_HANDLER: 0
; COMPUTE_PGM_RSRC2:TGID_X_EN: 1
; COMPUTE_PGM_RSRC2:TGID_Y_EN: 1
; COMPUTE_PGM_RSRC2:TGID_Z_EN: 1
; COMPUTE_PGM_RSRC2:TIDIG_COMP_CNT: 1
	.section	.text._ZL29rocblas_internal_gemmt_kernelIlLi16ELi32ELi8ELc84ELc84ELc85ELb0ELb0EfPKfS1_PfEviT_T9_T10_S3_lS5_S3_lS4_T11_S3_li,"axG",@progbits,_ZL29rocblas_internal_gemmt_kernelIlLi16ELi32ELi8ELc84ELc84ELc85ELb0ELb0EfPKfS1_PfEviT_T9_T10_S3_lS5_S3_lS4_T11_S3_li,comdat
	.globl	_ZL29rocblas_internal_gemmt_kernelIlLi16ELi32ELi8ELc84ELc84ELc85ELb0ELb0EfPKfS1_PfEviT_T9_T10_S3_lS5_S3_lS4_T11_S3_li ; -- Begin function _ZL29rocblas_internal_gemmt_kernelIlLi16ELi32ELi8ELc84ELc84ELc85ELb0ELb0EfPKfS1_PfEviT_T9_T10_S3_lS5_S3_lS4_T11_S3_li
	.p2align	8
	.type	_ZL29rocblas_internal_gemmt_kernelIlLi16ELi32ELi8ELc84ELc84ELc85ELb0ELb0EfPKfS1_PfEviT_T9_T10_S3_lS5_S3_lS4_T11_S3_li,@function
_ZL29rocblas_internal_gemmt_kernelIlLi16ELi32ELi8ELc84ELc84ELc85ELb0ELb0EfPKfS1_PfEviT_T9_T10_S3_lS5_S3_lS4_T11_S3_li: ; @_ZL29rocblas_internal_gemmt_kernelIlLi16ELi32ELi8ELc84ELc84ELc85ELb0ELb0EfPKfS1_PfEviT_T9_T10_S3_lS5_S3_lS4_T11_S3_li
; %bb.0:
	s_clause 0x1
	s_load_b256 s[24:31], s[0:1], 0x48
	s_load_b512 s[8:23], s[0:1], 0x8
	s_wait_kmcnt 0x0
	s_load_b32 s33, s[24:25], 0x0
	s_load_b32 s34, s[10:11], 0x0
	s_wait_kmcnt 0x0
	s_cmp_neq_f32 s33, 1.0
	s_cselect_b32 s2, -1, 0
	s_delay_alu instid0(SALU_CYCLE_1)
	s_and_b32 vcc_lo, exec_lo, s2
	s_cbranch_vccnz .LBB148_2
; %bb.1:
	s_cmp_lg_u64 s[8:9], 0
	s_cselect_b32 s2, -1, 0
	s_cmp_neq_f32 s34, 0
	s_cselect_b32 s3, -1, 0
	s_delay_alu instid0(SALU_CYCLE_1)
	s_and_b32 s2, s2, s3
.LBB148_2:
	s_delay_alu instid0(SALU_CYCLE_1)
	s_and_not1_b32 vcc_lo, exec_lo, s2
	s_cbranch_vccnz .LBB148_35
; %bb.3:
	s_load_b32 s10, s[0:1], 0x68
	s_bfe_u32 s2, ttmp6, 0x40014
	s_lshr_b32 s3, ttmp7, 16
	s_add_co_i32 s2, s2, 1
	s_bfe_u32 s5, ttmp6, 0x40008
	s_mul_i32 s4, s3, s2
	s_getreg_b32 s2, hwreg(HW_REG_IB_STS2, 6, 4)
	s_add_co_i32 s5, s5, s4
	s_cmp_eq_u32 s2, 0
	s_mov_b32 s7, 0
	s_cselect_b32 s6, s3, s5
	s_wait_kmcnt 0x0
	s_cmp_ge_u32 s6, s10
	s_cbranch_scc1 .LBB148_35
; %bb.4:
	s_bfe_u32 s3, ttmp6, 0x4000c
	s_bfe_u32 s5, ttmp6, 0x40010
	v_and_b32_e32 v8, 0x3ff, v0
	v_bfe_u32 v2, v0, 10, 10
	s_add_co_i32 s3, s3, 1
	s_and_b32 s11, ttmp7, 0xffff
	s_add_co_i32 s5, s5, 1
	s_and_b32 s4, ttmp6, 15
	s_mul_i32 s3, ttmp9, s3
	s_mul_i32 s5, s11, s5
	s_bfe_u32 s24, ttmp6, 0x40004
	v_lshl_add_u32 v4, v2, 4, v8
	s_add_co_i32 s4, s4, s3
	s_add_co_i32 s24, s24, s5
	s_cmp_eq_u32 s2, 0
	v_lshl_add_u32 v3, v2, 5, 0x400
	s_cselect_b32 s3, s11, s24
	s_cselect_b32 s2, ttmp9, s4
	s_lshl_b32 s3, s3, 5
	s_delay_alu instid0(SALU_CYCLE_1) | instskip(SKIP_3) | instid1(VALU_DEP_2)
	v_dual_add_nc_u32 v14, s3, v2 :: v_dual_bitop2_b32 v9, 31, v4 bitop3:0x40
	s_lshl_b32 s2, s2, 5
	s_load_b32 s4, s[0:1], 0x0
	v_dual_lshrrev_b32 v2, 5, v4 :: v_dual_lshrrev_b32 v11, 3, v4
	v_dual_add_nc_u32 v18, 16, v14 :: v_dual_bitop2_b32 v12, s2, v9 bitop3:0x54
	v_dual_ashrrev_i32 v15, 31, v14 :: v_dual_bitop2_b32 v0, 7, v0 bitop3:0x40
	v_dual_lshlrev_b32 v1, 2, v8 :: v_dual_add_nc_u32 v8, s2, v8
	s_delay_alu instid0(VALU_DEP_3) | instskip(NEXT) | instid1(VALU_DEP_3)
	v_dual_ashrrev_i32 v13, 31, v12 :: v_dual_ashrrev_i32 v19, 31, v18
	v_mul_u64_e32 v[4:5], s[28:29], v[14:15]
	s_delay_alu instid0(VALU_DEP_4) | instskip(NEXT) | instid1(VALU_DEP_3)
	v_dual_lshlrev_b32 v10, 2, v0 :: v_dual_add_nc_u32 v20, s3, v11
	v_mul_u64_e32 v[16:17], s[14:15], v[12:13]
	s_delay_alu instid0(VALU_DEP_4) | instskip(SKIP_1) | instid1(VALU_DEP_3)
	v_mul_u64_e32 v[6:7], s[28:29], v[18:19]
	s_cmp_neq_f32 s34, 0
	v_lshl_or_b32 v11, v11, 5, v10
	v_add_nc_u32_e32 v10, 16, v8
	v_cmp_le_i32_e32 vcc_lo, v8, v14
	s_wait_kmcnt 0x0
	v_cmp_gt_i32_e64 s2, s4, v14
	s_cselect_b32 s24, -1, 0
	s_cmp_neq_f32 s33, 0
	v_dual_lshlrev_b32 v13, 2, v9 :: v_dual_ashrrev_i32 v9, 31, v8
	v_cmp_le_i32_e64 s3, v10, v14
	v_cmp_gt_i64_e64 s15, s[8:9], 0
	v_cmp_gt_i32_e64 s0, s4, v12
	v_cmp_gt_i32_e64 s1, s4, v20
	s_cselect_b32 s11, -1, 0
	s_and_b32 s14, s2, vcc_lo
	v_cmp_gt_i32_e32 vcc_lo, s4, v18
	v_cmp_le_i32_e64 s4, v8, v18
	v_lshl_or_b32 v26, v2, 7, v13
	v_add_nc_u32_e32 v27, 0x400, v11
	s_and_b32 s4, vcc_lo, s4
	v_lshl_add_u64 v[14:15], v[16:17], 2, s[12:13]
	v_dual_mov_b32 v17, 0 :: v_dual_ashrrev_i32 v21, 31, v20
	v_ashrrev_i32_e32 v11, 31, v10
	v_cmp_le_i32_e64 s5, v10, v18
	s_and_b32 s12, s24, s15
	s_and_b32 s13, s2, s3
	v_lshl_add_u64 v[12:13], v[20:21], 2, s[18:19]
	s_and_b32 s5, vcc_lo, s5
	s_branch .LBB148_6
.LBB148_5:                              ;   in Loop: Header=BB148_6 Depth=1
	s_wait_xcnt 0x0
	s_or_b32 exec_lo, exec_lo, s2
	s_add_co_i32 s6, s6, 0x10000
	s_delay_alu instid0(SALU_CYCLE_1)
	s_cmp_lt_u32 s6, s10
	s_cbranch_scc0 .LBB148_35
.LBB148_6:                              ; =>This Loop Header: Depth=1
                                        ;     Child Loop BB148_9 Depth 2
	v_dual_mov_b32 v25, v17 :: v_dual_mov_b32 v24, v17
	v_dual_mov_b32 v19, v17 :: v_dual_mov_b32 v18, v17
	s_and_not1_b32 vcc_lo, exec_lo, s12
	s_cbranch_vccnz .LBB148_15
; %bb.7:                                ;   in Loop: Header=BB148_6 Depth=1
	v_mov_b32_e32 v18, 0
	s_mul_u64 s[2:3], s[16:17], s[6:7]
	s_mul_u64 s[18:19], s[22:23], s[6:7]
	v_lshl_add_u64 v[20:21], s[2:3], 2, v[14:15]
	v_lshl_add_u64 v[22:23], s[18:19], 2, v[12:13]
	v_dual_mov_b32 v19, v18 :: v_dual_mov_b32 v24, v18
	v_mov_b32_e32 v25, v18
	s_mov_b64 s[2:3], 0
	s_branch .LBB148_9
.LBB148_8:                              ;   in Loop: Header=BB148_9 Depth=2
	s_wait_xcnt 0x0
	s_or_b32 exec_lo, exec_lo, s15
	s_wait_loadcnt 0x0
	ds_store_b32 v27, v29
	s_wait_dscnt 0x0
	s_barrier_signal -1
	s_barrier_wait -1
	ds_load_b128 v[28:31], v3
	ds_load_2addr_b32 v[44:45], v1 offset1:16
	ds_load_b128 v[32:35], v3 offset:512
	ds_load_2addr_b32 v[46:47], v1 offset0:32 offset1:48
	ds_load_2addr_b32 v[48:49], v1 offset0:64 offset1:80
	;; [unrolled: 1-line block ×3, first 2 shown]
	ds_load_b128 v[36:39], v3 offset:16
	ds_load_2addr_b32 v[52:53], v1 offset0:128 offset1:144
	ds_load_b128 v[40:43], v3 offset:528
	s_add_nc_u64 s[2:3], s[2:3], 8
	s_delay_alu instid0(SALU_CYCLE_1)
	v_cmp_gt_i64_e64 s15, s[8:9], s[2:3]
	s_and_b32 vcc_lo, exec_lo, s15
	s_wait_dscnt 0x8
	v_mov_b32_e32 v16, v31
	s_wait_dscnt 0x7
	v_pk_fma_f32 v[24:25], v[44:45], v[28:29], v[24:25] op_sel_hi:[1,0,1]
	s_wait_dscnt 0x6
	v_pk_fma_f32 v[18:19], v[44:45], v[32:33], v[18:19] op_sel_hi:[1,0,1]
	ds_load_2addr_b32 v[44:45], v1 offset0:160 offset1:176
	s_wait_dscnt 0x6
	v_pk_fma_f32 v[24:25], v[46:47], v[28:29], v[24:25] op_sel:[0,1,0]
	v_pk_fma_f32 v[18:19], v[46:47], v[32:33], v[18:19] op_sel:[0,1,0]
	ds_load_2addr_b32 v[28:29], v1 offset0:192 offset1:208
	v_mov_b32_e32 v32, v35
	s_wait_dscnt 0x6
	v_pk_fma_f32 v[24:25], v[48:49], v[30:31], v[24:25] op_sel_hi:[1,0,1]
	v_pk_fma_f32 v[18:19], v[48:49], v[34:35], v[18:19] op_sel_hi:[1,0,1]
	ds_load_2addr_b32 v[30:31], v1 offset0:224 offset1:240
	s_wait_dscnt 0x0
	s_barrier_signal -1
	v_pk_fma_f32 v[24:25], v[50:51], v[16:17], v[24:25] op_sel_hi:[1,0,1]
	v_pk_fma_f32 v[18:19], v[50:51], v[32:33], v[18:19] op_sel_hi:[1,0,1]
	v_dual_mov_b32 v16, v39 :: v_dual_mov_b32 v32, v43
	s_barrier_wait -1
	s_delay_alu instid0(VALU_DEP_3) | instskip(NEXT) | instid1(VALU_DEP_3)
	v_pk_fma_f32 v[24:25], v[52:53], v[36:37], v[24:25] op_sel_hi:[1,0,1]
	v_pk_fma_f32 v[18:19], v[52:53], v[40:41], v[18:19] op_sel_hi:[1,0,1]
	s_delay_alu instid0(VALU_DEP_2) | instskip(NEXT) | instid1(VALU_DEP_2)
	v_pk_fma_f32 v[24:25], v[44:45], v[36:37], v[24:25] op_sel:[0,1,0]
	v_pk_fma_f32 v[18:19], v[44:45], v[40:41], v[18:19] op_sel:[0,1,0]
	s_delay_alu instid0(VALU_DEP_2) | instskip(NEXT) | instid1(VALU_DEP_2)
	v_pk_fma_f32 v[24:25], v[28:29], v[38:39], v[24:25] op_sel_hi:[1,0,1]
	v_pk_fma_f32 v[18:19], v[28:29], v[42:43], v[18:19] op_sel_hi:[1,0,1]
	s_delay_alu instid0(VALU_DEP_2) | instskip(NEXT) | instid1(VALU_DEP_2)
	v_pk_fma_f32 v[24:25], v[30:31], v[16:17], v[24:25] op_sel_hi:[1,0,1]
	v_pk_fma_f32 v[18:19], v[30:31], v[32:33], v[18:19] op_sel_hi:[1,0,1]
	s_cbranch_vccz .LBB148_15
.LBB148_9:                              ;   Parent Loop BB148_6 Depth=1
                                        ; =>  This Inner Loop Header: Depth=2
	v_mov_b32_e32 v28, 0
	s_and_saveexec_b32 s15, s0
	s_cbranch_execz .LBB148_13
; %bb.10:                               ;   in Loop: Header=BB148_9 Depth=2
	v_dual_add_nc_u32 v16, s2, v2 :: v_dual_mov_b32 v28, 0
	s_mov_b32 s18, exec_lo
	s_delay_alu instid0(VALU_DEP_1)
	v_cmpx_gt_u64_e64 s[8:9], v[16:17]
	s_cbranch_execz .LBB148_12
; %bb.11:                               ;   in Loop: Header=BB148_9 Depth=2
	v_lshl_add_u64 v[28:29], v[16:17], 2, v[20:21]
	global_load_b32 v28, v[28:29], off
.LBB148_12:                             ;   in Loop: Header=BB148_9 Depth=2
	s_wait_xcnt 0x0
	s_or_b32 exec_lo, exec_lo, s18
.LBB148_13:                             ;   in Loop: Header=BB148_9 Depth=2
	s_delay_alu instid0(SALU_CYCLE_1)
	s_or_b32 exec_lo, exec_lo, s15
	v_dual_mov_b32 v29, 0 :: v_dual_add_nc_u32 v16, s2, v0
	s_wait_loadcnt 0x0
	ds_store_b32 v26, v28
	v_cmp_gt_u64_e32 vcc_lo, s[8:9], v[16:17]
	s_and_b32 s18, vcc_lo, s1
	s_delay_alu instid0(SALU_CYCLE_1)
	s_and_saveexec_b32 s15, s18
	s_cbranch_execz .LBB148_8
; %bb.14:                               ;   in Loop: Header=BB148_9 Depth=2
	v_mul_u64_e32 v[28:29], s[20:21], v[16:17]
	s_delay_alu instid0(VALU_DEP_1)
	v_lshl_add_u64 v[28:29], v[28:29], 2, v[22:23]
	global_load_b32 v29, v[28:29], off
	s_branch .LBB148_8
.LBB148_15:                             ;   in Loop: Header=BB148_6 Depth=1
	s_mul_u64 s[2:3], s[30:31], s[6:7]
	s_delay_alu instid0(SALU_CYCLE_1) | instskip(NEXT) | instid1(SALU_CYCLE_1)
	s_lshl_b64 s[2:3], s[2:3], 2
	s_add_nc_u64 s[2:3], s[26:27], s[2:3]
	s_delay_alu instid0(SALU_CYCLE_1)
	v_lshl_add_u64 v[20:21], v[4:5], 2, s[2:3]
	s_and_saveexec_b32 s15, s14
	s_cbranch_execz .LBB148_19
; %bb.16:                               ;   in Loop: Header=BB148_6 Depth=1
	v_mul_f32_e32 v16, s34, v24
	s_delay_alu instid0(VALU_DEP_2)
	v_lshl_add_u64 v[22:23], v[8:9], 2, v[20:21]
	s_and_b32 vcc_lo, exec_lo, s11
	s_cbranch_vccz .LBB148_30
; %bb.17:                               ;   in Loop: Header=BB148_6 Depth=1
	global_load_b32 v24, v[22:23], off
	s_wait_loadcnt 0x0
	v_fma_f32 v24, s33, v24, v16
	global_store_b32 v[22:23], v24, off
	s_cbranch_execnz .LBB148_19
.LBB148_18:                             ;   in Loop: Header=BB148_6 Depth=1
	global_store_b32 v[22:23], v16, off
.LBB148_19:                             ;   in Loop: Header=BB148_6 Depth=1
	s_wait_xcnt 0x0
	s_or_b32 exec_lo, exec_lo, s15
	s_and_saveexec_b32 s15, s13
	s_cbranch_execz .LBB148_23
; %bb.20:                               ;   in Loop: Header=BB148_6 Depth=1
	v_mul_f32_e32 v16, s34, v25
	v_lshl_add_u64 v[20:21], v[10:11], 2, v[20:21]
	s_and_not1_b32 vcc_lo, exec_lo, s11
	s_cbranch_vccnz .LBB148_31
; %bb.21:                               ;   in Loop: Header=BB148_6 Depth=1
	global_load_b32 v22, v[20:21], off
	s_wait_loadcnt 0x0
	v_fma_f32 v22, s33, v22, v16
	global_store_b32 v[20:21], v22, off
	s_cbranch_execnz .LBB148_23
.LBB148_22:                             ;   in Loop: Header=BB148_6 Depth=1
	global_store_b32 v[20:21], v16, off
.LBB148_23:                             ;   in Loop: Header=BB148_6 Depth=1
	s_wait_xcnt 0x0
	s_or_b32 exec_lo, exec_lo, s15
	v_lshl_add_u64 v[20:21], v[6:7], 2, s[2:3]
	s_and_saveexec_b32 s2, s4
	s_cbranch_execz .LBB148_27
; %bb.24:                               ;   in Loop: Header=BB148_6 Depth=1
	v_mul_f32_e32 v16, s34, v18
	s_delay_alu instid0(VALU_DEP_2)
	v_lshl_add_u64 v[22:23], v[8:9], 2, v[20:21]
	s_and_not1_b32 vcc_lo, exec_lo, s11
	s_cbranch_vccnz .LBB148_32
; %bb.25:                               ;   in Loop: Header=BB148_6 Depth=1
	global_load_b32 v18, v[22:23], off
	s_wait_loadcnt 0x0
	v_fma_f32 v18, s33, v18, v16
	global_store_b32 v[22:23], v18, off
	s_cbranch_execnz .LBB148_27
.LBB148_26:                             ;   in Loop: Header=BB148_6 Depth=1
	global_store_b32 v[22:23], v16, off
.LBB148_27:                             ;   in Loop: Header=BB148_6 Depth=1
	s_wait_xcnt 0x0
	s_or_b32 exec_lo, exec_lo, s2
	s_and_saveexec_b32 s2, s5
	s_cbranch_execz .LBB148_5
; %bb.28:                               ;   in Loop: Header=BB148_6 Depth=1
	v_mul_f32_e32 v16, s34, v19
	v_lshl_add_u64 v[18:19], v[10:11], 2, v[20:21]
	s_and_not1_b32 vcc_lo, exec_lo, s11
	s_cbranch_vccnz .LBB148_33
; %bb.29:                               ;   in Loop: Header=BB148_6 Depth=1
	global_load_b32 v20, v[18:19], off
	s_wait_loadcnt 0x0
	v_fma_f32 v20, s33, v20, v16
	global_store_b32 v[18:19], v20, off
	s_cbranch_execnz .LBB148_5
	s_branch .LBB148_34
.LBB148_30:                             ;   in Loop: Header=BB148_6 Depth=1
	s_branch .LBB148_18
.LBB148_31:                             ;   in Loop: Header=BB148_6 Depth=1
	s_branch .LBB148_22
.LBB148_32:                             ;   in Loop: Header=BB148_6 Depth=1
	s_branch .LBB148_26
.LBB148_33:                             ;   in Loop: Header=BB148_6 Depth=1
.LBB148_34:                             ;   in Loop: Header=BB148_6 Depth=1
	global_store_b32 v[18:19], v16, off
	s_branch .LBB148_5
.LBB148_35:
	s_endpgm
	.section	.rodata,"a",@progbits
	.p2align	6, 0x0
	.amdhsa_kernel _ZL29rocblas_internal_gemmt_kernelIlLi16ELi32ELi8ELc84ELc84ELc85ELb0ELb0EfPKfS1_PfEviT_T9_T10_S3_lS5_S3_lS4_T11_S3_li
		.amdhsa_group_segment_fixed_size 2048
		.amdhsa_private_segment_fixed_size 0
		.amdhsa_kernarg_size 108
		.amdhsa_user_sgpr_count 2
		.amdhsa_user_sgpr_dispatch_ptr 0
		.amdhsa_user_sgpr_queue_ptr 0
		.amdhsa_user_sgpr_kernarg_segment_ptr 1
		.amdhsa_user_sgpr_dispatch_id 0
		.amdhsa_user_sgpr_kernarg_preload_length 0
		.amdhsa_user_sgpr_kernarg_preload_offset 0
		.amdhsa_user_sgpr_private_segment_size 0
		.amdhsa_wavefront_size32 1
		.amdhsa_uses_dynamic_stack 0
		.amdhsa_enable_private_segment 0
		.amdhsa_system_sgpr_workgroup_id_x 1
		.amdhsa_system_sgpr_workgroup_id_y 1
		.amdhsa_system_sgpr_workgroup_id_z 1
		.amdhsa_system_sgpr_workgroup_info 0
		.amdhsa_system_vgpr_workitem_id 1
		.amdhsa_next_free_vgpr 54
		.amdhsa_next_free_sgpr 35
		.amdhsa_named_barrier_count 0
		.amdhsa_reserve_vcc 1
		.amdhsa_float_round_mode_32 0
		.amdhsa_float_round_mode_16_64 0
		.amdhsa_float_denorm_mode_32 3
		.amdhsa_float_denorm_mode_16_64 3
		.amdhsa_fp16_overflow 0
		.amdhsa_memory_ordered 1
		.amdhsa_forward_progress 1
		.amdhsa_inst_pref_size 13
		.amdhsa_round_robin_scheduling 0
		.amdhsa_exception_fp_ieee_invalid_op 0
		.amdhsa_exception_fp_denorm_src 0
		.amdhsa_exception_fp_ieee_div_zero 0
		.amdhsa_exception_fp_ieee_overflow 0
		.amdhsa_exception_fp_ieee_underflow 0
		.amdhsa_exception_fp_ieee_inexact 0
		.amdhsa_exception_int_div_zero 0
	.end_amdhsa_kernel
	.section	.text._ZL29rocblas_internal_gemmt_kernelIlLi16ELi32ELi8ELc84ELc84ELc85ELb0ELb0EfPKfS1_PfEviT_T9_T10_S3_lS5_S3_lS4_T11_S3_li,"axG",@progbits,_ZL29rocblas_internal_gemmt_kernelIlLi16ELi32ELi8ELc84ELc84ELc85ELb0ELb0EfPKfS1_PfEviT_T9_T10_S3_lS5_S3_lS4_T11_S3_li,comdat
.Lfunc_end148:
	.size	_ZL29rocblas_internal_gemmt_kernelIlLi16ELi32ELi8ELc84ELc84ELc85ELb0ELb0EfPKfS1_PfEviT_T9_T10_S3_lS5_S3_lS4_T11_S3_li, .Lfunc_end148-_ZL29rocblas_internal_gemmt_kernelIlLi16ELi32ELi8ELc84ELc84ELc85ELb0ELb0EfPKfS1_PfEviT_T9_T10_S3_lS5_S3_lS4_T11_S3_li
                                        ; -- End function
	.set _ZL29rocblas_internal_gemmt_kernelIlLi16ELi32ELi8ELc84ELc84ELc85ELb0ELb0EfPKfS1_PfEviT_T9_T10_S3_lS5_S3_lS4_T11_S3_li.num_vgpr, 54
	.set _ZL29rocblas_internal_gemmt_kernelIlLi16ELi32ELi8ELc84ELc84ELc85ELb0ELb0EfPKfS1_PfEviT_T9_T10_S3_lS5_S3_lS4_T11_S3_li.num_agpr, 0
	.set _ZL29rocblas_internal_gemmt_kernelIlLi16ELi32ELi8ELc84ELc84ELc85ELb0ELb0EfPKfS1_PfEviT_T9_T10_S3_lS5_S3_lS4_T11_S3_li.numbered_sgpr, 35
	.set _ZL29rocblas_internal_gemmt_kernelIlLi16ELi32ELi8ELc84ELc84ELc85ELb0ELb0EfPKfS1_PfEviT_T9_T10_S3_lS5_S3_lS4_T11_S3_li.num_named_barrier, 0
	.set _ZL29rocblas_internal_gemmt_kernelIlLi16ELi32ELi8ELc84ELc84ELc85ELb0ELb0EfPKfS1_PfEviT_T9_T10_S3_lS5_S3_lS4_T11_S3_li.private_seg_size, 0
	.set _ZL29rocblas_internal_gemmt_kernelIlLi16ELi32ELi8ELc84ELc84ELc85ELb0ELb0EfPKfS1_PfEviT_T9_T10_S3_lS5_S3_lS4_T11_S3_li.uses_vcc, 1
	.set _ZL29rocblas_internal_gemmt_kernelIlLi16ELi32ELi8ELc84ELc84ELc85ELb0ELb0EfPKfS1_PfEviT_T9_T10_S3_lS5_S3_lS4_T11_S3_li.uses_flat_scratch, 0
	.set _ZL29rocblas_internal_gemmt_kernelIlLi16ELi32ELi8ELc84ELc84ELc85ELb0ELb0EfPKfS1_PfEviT_T9_T10_S3_lS5_S3_lS4_T11_S3_li.has_dyn_sized_stack, 0
	.set _ZL29rocblas_internal_gemmt_kernelIlLi16ELi32ELi8ELc84ELc84ELc85ELb0ELb0EfPKfS1_PfEviT_T9_T10_S3_lS5_S3_lS4_T11_S3_li.has_recursion, 0
	.set _ZL29rocblas_internal_gemmt_kernelIlLi16ELi32ELi8ELc84ELc84ELc85ELb0ELb0EfPKfS1_PfEviT_T9_T10_S3_lS5_S3_lS4_T11_S3_li.has_indirect_call, 0
	.section	.AMDGPU.csdata,"",@progbits
; Kernel info:
; codeLenInByte = 1596
; TotalNumSgprs: 37
; NumVgprs: 54
; ScratchSize: 0
; MemoryBound: 0
; FloatMode: 240
; IeeeMode: 1
; LDSByteSize: 2048 bytes/workgroup (compile time only)
; SGPRBlocks: 0
; VGPRBlocks: 3
; NumSGPRsForWavesPerEU: 37
; NumVGPRsForWavesPerEU: 54
; NamedBarCnt: 0
; Occupancy: 16
; WaveLimiterHint : 0
; COMPUTE_PGM_RSRC2:SCRATCH_EN: 0
; COMPUTE_PGM_RSRC2:USER_SGPR: 2
; COMPUTE_PGM_RSRC2:TRAP_HANDLER: 0
; COMPUTE_PGM_RSRC2:TGID_X_EN: 1
; COMPUTE_PGM_RSRC2:TGID_Y_EN: 1
; COMPUTE_PGM_RSRC2:TGID_Z_EN: 1
; COMPUTE_PGM_RSRC2:TIDIG_COMP_CNT: 1
	.section	.text._ZL29rocblas_internal_gemmt_kernelIlLi16ELi32ELi8ELc84ELc67ELc85ELb0ELb0EfPKfS1_PfEviT_T9_T10_S3_lS5_S3_lS4_T11_S3_li,"axG",@progbits,_ZL29rocblas_internal_gemmt_kernelIlLi16ELi32ELi8ELc84ELc67ELc85ELb0ELb0EfPKfS1_PfEviT_T9_T10_S3_lS5_S3_lS4_T11_S3_li,comdat
	.globl	_ZL29rocblas_internal_gemmt_kernelIlLi16ELi32ELi8ELc84ELc67ELc85ELb0ELb0EfPKfS1_PfEviT_T9_T10_S3_lS5_S3_lS4_T11_S3_li ; -- Begin function _ZL29rocblas_internal_gemmt_kernelIlLi16ELi32ELi8ELc84ELc67ELc85ELb0ELb0EfPKfS1_PfEviT_T9_T10_S3_lS5_S3_lS4_T11_S3_li
	.p2align	8
	.type	_ZL29rocblas_internal_gemmt_kernelIlLi16ELi32ELi8ELc84ELc67ELc85ELb0ELb0EfPKfS1_PfEviT_T9_T10_S3_lS5_S3_lS4_T11_S3_li,@function
_ZL29rocblas_internal_gemmt_kernelIlLi16ELi32ELi8ELc84ELc67ELc85ELb0ELb0EfPKfS1_PfEviT_T9_T10_S3_lS5_S3_lS4_T11_S3_li: ; @_ZL29rocblas_internal_gemmt_kernelIlLi16ELi32ELi8ELc84ELc67ELc85ELb0ELb0EfPKfS1_PfEviT_T9_T10_S3_lS5_S3_lS4_T11_S3_li
; %bb.0:
	s_clause 0x1
	s_load_b256 s[24:31], s[0:1], 0x48
	s_load_b512 s[8:23], s[0:1], 0x8
	s_wait_kmcnt 0x0
	s_load_b32 s33, s[24:25], 0x0
	s_load_b32 s34, s[10:11], 0x0
	s_wait_kmcnt 0x0
	s_cmp_neq_f32 s33, 1.0
	s_cselect_b32 s2, -1, 0
	s_delay_alu instid0(SALU_CYCLE_1)
	s_and_b32 vcc_lo, exec_lo, s2
	s_cbranch_vccnz .LBB149_2
; %bb.1:
	s_cmp_lg_u64 s[8:9], 0
	s_cselect_b32 s2, -1, 0
	s_cmp_neq_f32 s34, 0
	s_cselect_b32 s3, -1, 0
	s_delay_alu instid0(SALU_CYCLE_1)
	s_and_b32 s2, s2, s3
.LBB149_2:
	s_delay_alu instid0(SALU_CYCLE_1)
	s_and_not1_b32 vcc_lo, exec_lo, s2
	s_cbranch_vccnz .LBB149_35
; %bb.3:
	s_load_b32 s10, s[0:1], 0x68
	s_bfe_u32 s2, ttmp6, 0x40014
	s_lshr_b32 s3, ttmp7, 16
	s_add_co_i32 s2, s2, 1
	s_bfe_u32 s5, ttmp6, 0x40008
	s_mul_i32 s4, s3, s2
	s_getreg_b32 s2, hwreg(HW_REG_IB_STS2, 6, 4)
	s_add_co_i32 s5, s5, s4
	s_cmp_eq_u32 s2, 0
	s_mov_b32 s7, 0
	s_cselect_b32 s6, s3, s5
	s_wait_kmcnt 0x0
	s_cmp_ge_u32 s6, s10
	s_cbranch_scc1 .LBB149_35
; %bb.4:
	s_bfe_u32 s3, ttmp6, 0x4000c
	s_bfe_u32 s5, ttmp6, 0x40010
	v_and_b32_e32 v8, 0x3ff, v0
	v_bfe_u32 v2, v0, 10, 10
	s_add_co_i32 s3, s3, 1
	s_and_b32 s11, ttmp7, 0xffff
	s_add_co_i32 s5, s5, 1
	s_and_b32 s4, ttmp6, 15
	s_mul_i32 s3, ttmp9, s3
	s_mul_i32 s5, s11, s5
	s_bfe_u32 s24, ttmp6, 0x40004
	v_lshl_add_u32 v4, v2, 4, v8
	s_add_co_i32 s4, s4, s3
	s_add_co_i32 s24, s24, s5
	s_cmp_eq_u32 s2, 0
	v_lshl_add_u32 v3, v2, 5, 0x400
	s_cselect_b32 s3, s11, s24
	s_cselect_b32 s2, ttmp9, s4
	s_lshl_b32 s3, s3, 5
	s_delay_alu instid0(SALU_CYCLE_1) | instskip(SKIP_3) | instid1(VALU_DEP_2)
	v_dual_add_nc_u32 v14, s3, v2 :: v_dual_bitop2_b32 v9, 31, v4 bitop3:0x40
	s_lshl_b32 s2, s2, 5
	s_load_b32 s4, s[0:1], 0x0
	v_dual_lshrrev_b32 v2, 5, v4 :: v_dual_lshrrev_b32 v11, 3, v4
	v_dual_add_nc_u32 v18, 16, v14 :: v_dual_bitop2_b32 v12, s2, v9 bitop3:0x54
	v_dual_ashrrev_i32 v15, 31, v14 :: v_dual_bitop2_b32 v0, 7, v0 bitop3:0x40
	v_dual_lshlrev_b32 v1, 2, v8 :: v_dual_add_nc_u32 v8, s2, v8
	s_delay_alu instid0(VALU_DEP_3) | instskip(NEXT) | instid1(VALU_DEP_3)
	v_dual_ashrrev_i32 v13, 31, v12 :: v_dual_ashrrev_i32 v19, 31, v18
	v_mul_u64_e32 v[4:5], s[28:29], v[14:15]
	s_delay_alu instid0(VALU_DEP_4) | instskip(NEXT) | instid1(VALU_DEP_3)
	v_dual_lshlrev_b32 v10, 2, v0 :: v_dual_add_nc_u32 v20, s3, v11
	v_mul_u64_e32 v[16:17], s[14:15], v[12:13]
	s_delay_alu instid0(VALU_DEP_4) | instskip(SKIP_1) | instid1(VALU_DEP_3)
	v_mul_u64_e32 v[6:7], s[28:29], v[18:19]
	s_cmp_neq_f32 s34, 0
	v_lshl_or_b32 v11, v11, 5, v10
	v_add_nc_u32_e32 v10, 16, v8
	v_cmp_le_i32_e32 vcc_lo, v8, v14
	s_wait_kmcnt 0x0
	v_cmp_gt_i32_e64 s2, s4, v14
	s_cselect_b32 s24, -1, 0
	s_cmp_neq_f32 s33, 0
	v_dual_lshlrev_b32 v13, 2, v9 :: v_dual_ashrrev_i32 v9, 31, v8
	v_cmp_le_i32_e64 s3, v10, v14
	v_cmp_gt_i64_e64 s15, s[8:9], 0
	v_cmp_gt_i32_e64 s0, s4, v12
	v_cmp_gt_i32_e64 s1, s4, v20
	s_cselect_b32 s11, -1, 0
	s_and_b32 s14, s2, vcc_lo
	v_cmp_gt_i32_e32 vcc_lo, s4, v18
	v_cmp_le_i32_e64 s4, v8, v18
	v_lshl_or_b32 v26, v2, 7, v13
	v_add_nc_u32_e32 v27, 0x400, v11
	s_and_b32 s4, vcc_lo, s4
	v_lshl_add_u64 v[14:15], v[16:17], 2, s[12:13]
	v_dual_mov_b32 v17, 0 :: v_dual_ashrrev_i32 v21, 31, v20
	v_ashrrev_i32_e32 v11, 31, v10
	v_cmp_le_i32_e64 s5, v10, v18
	s_and_b32 s12, s24, s15
	s_and_b32 s13, s2, s3
	v_lshl_add_u64 v[12:13], v[20:21], 2, s[18:19]
	s_and_b32 s5, vcc_lo, s5
	s_branch .LBB149_6
.LBB149_5:                              ;   in Loop: Header=BB149_6 Depth=1
	s_wait_xcnt 0x0
	s_or_b32 exec_lo, exec_lo, s2
	s_add_co_i32 s6, s6, 0x10000
	s_delay_alu instid0(SALU_CYCLE_1)
	s_cmp_lt_u32 s6, s10
	s_cbranch_scc0 .LBB149_35
.LBB149_6:                              ; =>This Loop Header: Depth=1
                                        ;     Child Loop BB149_9 Depth 2
	v_dual_mov_b32 v25, v17 :: v_dual_mov_b32 v24, v17
	v_dual_mov_b32 v19, v17 :: v_dual_mov_b32 v18, v17
	s_and_not1_b32 vcc_lo, exec_lo, s12
	s_cbranch_vccnz .LBB149_15
; %bb.7:                                ;   in Loop: Header=BB149_6 Depth=1
	v_mov_b32_e32 v18, 0
	s_mul_u64 s[2:3], s[16:17], s[6:7]
	s_mul_u64 s[18:19], s[22:23], s[6:7]
	v_lshl_add_u64 v[20:21], s[2:3], 2, v[14:15]
	v_lshl_add_u64 v[22:23], s[18:19], 2, v[12:13]
	v_dual_mov_b32 v19, v18 :: v_dual_mov_b32 v24, v18
	v_mov_b32_e32 v25, v18
	s_mov_b64 s[2:3], 0
	s_branch .LBB149_9
.LBB149_8:                              ;   in Loop: Header=BB149_9 Depth=2
	s_wait_xcnt 0x0
	s_or_b32 exec_lo, exec_lo, s15
	s_wait_loadcnt 0x0
	ds_store_b32 v27, v29
	s_wait_dscnt 0x0
	s_barrier_signal -1
	s_barrier_wait -1
	ds_load_b128 v[28:31], v3
	ds_load_2addr_b32 v[44:45], v1 offset1:16
	ds_load_b128 v[32:35], v3 offset:512
	ds_load_2addr_b32 v[46:47], v1 offset0:32 offset1:48
	ds_load_2addr_b32 v[48:49], v1 offset0:64 offset1:80
	;; [unrolled: 1-line block ×3, first 2 shown]
	ds_load_b128 v[36:39], v3 offset:16
	ds_load_2addr_b32 v[52:53], v1 offset0:128 offset1:144
	ds_load_b128 v[40:43], v3 offset:528
	s_add_nc_u64 s[2:3], s[2:3], 8
	s_delay_alu instid0(SALU_CYCLE_1)
	v_cmp_gt_i64_e64 s15, s[8:9], s[2:3]
	s_and_b32 vcc_lo, exec_lo, s15
	s_wait_dscnt 0x8
	v_mov_b32_e32 v16, v31
	s_wait_dscnt 0x7
	v_pk_fma_f32 v[24:25], v[44:45], v[28:29], v[24:25] op_sel_hi:[1,0,1]
	s_wait_dscnt 0x6
	v_pk_fma_f32 v[18:19], v[44:45], v[32:33], v[18:19] op_sel_hi:[1,0,1]
	ds_load_2addr_b32 v[44:45], v1 offset0:160 offset1:176
	s_wait_dscnt 0x6
	v_pk_fma_f32 v[24:25], v[46:47], v[28:29], v[24:25] op_sel:[0,1,0]
	v_pk_fma_f32 v[18:19], v[46:47], v[32:33], v[18:19] op_sel:[0,1,0]
	ds_load_2addr_b32 v[28:29], v1 offset0:192 offset1:208
	v_mov_b32_e32 v32, v35
	s_wait_dscnt 0x6
	v_pk_fma_f32 v[24:25], v[48:49], v[30:31], v[24:25] op_sel_hi:[1,0,1]
	v_pk_fma_f32 v[18:19], v[48:49], v[34:35], v[18:19] op_sel_hi:[1,0,1]
	ds_load_2addr_b32 v[30:31], v1 offset0:224 offset1:240
	s_wait_dscnt 0x0
	s_barrier_signal -1
	v_pk_fma_f32 v[24:25], v[50:51], v[16:17], v[24:25] op_sel_hi:[1,0,1]
	v_pk_fma_f32 v[18:19], v[50:51], v[32:33], v[18:19] op_sel_hi:[1,0,1]
	v_dual_mov_b32 v16, v39 :: v_dual_mov_b32 v32, v43
	s_barrier_wait -1
	s_delay_alu instid0(VALU_DEP_3) | instskip(NEXT) | instid1(VALU_DEP_3)
	v_pk_fma_f32 v[24:25], v[52:53], v[36:37], v[24:25] op_sel_hi:[1,0,1]
	v_pk_fma_f32 v[18:19], v[52:53], v[40:41], v[18:19] op_sel_hi:[1,0,1]
	s_delay_alu instid0(VALU_DEP_2) | instskip(NEXT) | instid1(VALU_DEP_2)
	v_pk_fma_f32 v[24:25], v[44:45], v[36:37], v[24:25] op_sel:[0,1,0]
	v_pk_fma_f32 v[18:19], v[44:45], v[40:41], v[18:19] op_sel:[0,1,0]
	s_delay_alu instid0(VALU_DEP_2) | instskip(NEXT) | instid1(VALU_DEP_2)
	v_pk_fma_f32 v[24:25], v[28:29], v[38:39], v[24:25] op_sel_hi:[1,0,1]
	v_pk_fma_f32 v[18:19], v[28:29], v[42:43], v[18:19] op_sel_hi:[1,0,1]
	s_delay_alu instid0(VALU_DEP_2) | instskip(NEXT) | instid1(VALU_DEP_2)
	v_pk_fma_f32 v[24:25], v[30:31], v[16:17], v[24:25] op_sel_hi:[1,0,1]
	v_pk_fma_f32 v[18:19], v[30:31], v[32:33], v[18:19] op_sel_hi:[1,0,1]
	s_cbranch_vccz .LBB149_15
.LBB149_9:                              ;   Parent Loop BB149_6 Depth=1
                                        ; =>  This Inner Loop Header: Depth=2
	v_mov_b32_e32 v28, 0
	s_and_saveexec_b32 s15, s0
	s_cbranch_execz .LBB149_13
; %bb.10:                               ;   in Loop: Header=BB149_9 Depth=2
	v_dual_add_nc_u32 v16, s2, v2 :: v_dual_mov_b32 v28, 0
	s_mov_b32 s18, exec_lo
	s_delay_alu instid0(VALU_DEP_1)
	v_cmpx_gt_u64_e64 s[8:9], v[16:17]
	s_cbranch_execz .LBB149_12
; %bb.11:                               ;   in Loop: Header=BB149_9 Depth=2
	v_lshl_add_u64 v[28:29], v[16:17], 2, v[20:21]
	global_load_b32 v28, v[28:29], off
.LBB149_12:                             ;   in Loop: Header=BB149_9 Depth=2
	s_wait_xcnt 0x0
	s_or_b32 exec_lo, exec_lo, s18
.LBB149_13:                             ;   in Loop: Header=BB149_9 Depth=2
	s_delay_alu instid0(SALU_CYCLE_1)
	s_or_b32 exec_lo, exec_lo, s15
	v_dual_mov_b32 v29, 0 :: v_dual_add_nc_u32 v16, s2, v0
	s_wait_loadcnt 0x0
	ds_store_b32 v26, v28
	v_cmp_gt_u64_e32 vcc_lo, s[8:9], v[16:17]
	s_and_b32 s18, vcc_lo, s1
	s_delay_alu instid0(SALU_CYCLE_1)
	s_and_saveexec_b32 s15, s18
	s_cbranch_execz .LBB149_8
; %bb.14:                               ;   in Loop: Header=BB149_9 Depth=2
	v_mul_u64_e32 v[28:29], s[20:21], v[16:17]
	s_delay_alu instid0(VALU_DEP_1)
	v_lshl_add_u64 v[28:29], v[28:29], 2, v[22:23]
	global_load_b32 v29, v[28:29], off
	s_branch .LBB149_8
.LBB149_15:                             ;   in Loop: Header=BB149_6 Depth=1
	s_mul_u64 s[2:3], s[30:31], s[6:7]
	s_delay_alu instid0(SALU_CYCLE_1) | instskip(NEXT) | instid1(SALU_CYCLE_1)
	s_lshl_b64 s[2:3], s[2:3], 2
	s_add_nc_u64 s[2:3], s[26:27], s[2:3]
	s_delay_alu instid0(SALU_CYCLE_1)
	v_lshl_add_u64 v[20:21], v[4:5], 2, s[2:3]
	s_and_saveexec_b32 s15, s14
	s_cbranch_execz .LBB149_19
; %bb.16:                               ;   in Loop: Header=BB149_6 Depth=1
	v_mul_f32_e32 v16, s34, v24
	s_delay_alu instid0(VALU_DEP_2)
	v_lshl_add_u64 v[22:23], v[8:9], 2, v[20:21]
	s_and_b32 vcc_lo, exec_lo, s11
	s_cbranch_vccz .LBB149_30
; %bb.17:                               ;   in Loop: Header=BB149_6 Depth=1
	global_load_b32 v24, v[22:23], off
	s_wait_loadcnt 0x0
	v_fma_f32 v24, s33, v24, v16
	global_store_b32 v[22:23], v24, off
	s_cbranch_execnz .LBB149_19
.LBB149_18:                             ;   in Loop: Header=BB149_6 Depth=1
	global_store_b32 v[22:23], v16, off
.LBB149_19:                             ;   in Loop: Header=BB149_6 Depth=1
	s_wait_xcnt 0x0
	s_or_b32 exec_lo, exec_lo, s15
	s_and_saveexec_b32 s15, s13
	s_cbranch_execz .LBB149_23
; %bb.20:                               ;   in Loop: Header=BB149_6 Depth=1
	v_mul_f32_e32 v16, s34, v25
	v_lshl_add_u64 v[20:21], v[10:11], 2, v[20:21]
	s_and_not1_b32 vcc_lo, exec_lo, s11
	s_cbranch_vccnz .LBB149_31
; %bb.21:                               ;   in Loop: Header=BB149_6 Depth=1
	global_load_b32 v22, v[20:21], off
	s_wait_loadcnt 0x0
	v_fma_f32 v22, s33, v22, v16
	global_store_b32 v[20:21], v22, off
	s_cbranch_execnz .LBB149_23
.LBB149_22:                             ;   in Loop: Header=BB149_6 Depth=1
	global_store_b32 v[20:21], v16, off
.LBB149_23:                             ;   in Loop: Header=BB149_6 Depth=1
	s_wait_xcnt 0x0
	s_or_b32 exec_lo, exec_lo, s15
	v_lshl_add_u64 v[20:21], v[6:7], 2, s[2:3]
	s_and_saveexec_b32 s2, s4
	s_cbranch_execz .LBB149_27
; %bb.24:                               ;   in Loop: Header=BB149_6 Depth=1
	v_mul_f32_e32 v16, s34, v18
	s_delay_alu instid0(VALU_DEP_2)
	v_lshl_add_u64 v[22:23], v[8:9], 2, v[20:21]
	s_and_not1_b32 vcc_lo, exec_lo, s11
	s_cbranch_vccnz .LBB149_32
; %bb.25:                               ;   in Loop: Header=BB149_6 Depth=1
	global_load_b32 v18, v[22:23], off
	s_wait_loadcnt 0x0
	v_fma_f32 v18, s33, v18, v16
	global_store_b32 v[22:23], v18, off
	s_cbranch_execnz .LBB149_27
.LBB149_26:                             ;   in Loop: Header=BB149_6 Depth=1
	global_store_b32 v[22:23], v16, off
.LBB149_27:                             ;   in Loop: Header=BB149_6 Depth=1
	s_wait_xcnt 0x0
	s_or_b32 exec_lo, exec_lo, s2
	s_and_saveexec_b32 s2, s5
	s_cbranch_execz .LBB149_5
; %bb.28:                               ;   in Loop: Header=BB149_6 Depth=1
	v_mul_f32_e32 v16, s34, v19
	v_lshl_add_u64 v[18:19], v[10:11], 2, v[20:21]
	s_and_not1_b32 vcc_lo, exec_lo, s11
	s_cbranch_vccnz .LBB149_33
; %bb.29:                               ;   in Loop: Header=BB149_6 Depth=1
	global_load_b32 v20, v[18:19], off
	s_wait_loadcnt 0x0
	v_fma_f32 v20, s33, v20, v16
	global_store_b32 v[18:19], v20, off
	s_cbranch_execnz .LBB149_5
	s_branch .LBB149_34
.LBB149_30:                             ;   in Loop: Header=BB149_6 Depth=1
	s_branch .LBB149_18
.LBB149_31:                             ;   in Loop: Header=BB149_6 Depth=1
	s_branch .LBB149_22
.LBB149_32:                             ;   in Loop: Header=BB149_6 Depth=1
	s_branch .LBB149_26
.LBB149_33:                             ;   in Loop: Header=BB149_6 Depth=1
.LBB149_34:                             ;   in Loop: Header=BB149_6 Depth=1
	global_store_b32 v[18:19], v16, off
	s_branch .LBB149_5
.LBB149_35:
	s_endpgm
	.section	.rodata,"a",@progbits
	.p2align	6, 0x0
	.amdhsa_kernel _ZL29rocblas_internal_gemmt_kernelIlLi16ELi32ELi8ELc84ELc67ELc85ELb0ELb0EfPKfS1_PfEviT_T9_T10_S3_lS5_S3_lS4_T11_S3_li
		.amdhsa_group_segment_fixed_size 2048
		.amdhsa_private_segment_fixed_size 0
		.amdhsa_kernarg_size 108
		.amdhsa_user_sgpr_count 2
		.amdhsa_user_sgpr_dispatch_ptr 0
		.amdhsa_user_sgpr_queue_ptr 0
		.amdhsa_user_sgpr_kernarg_segment_ptr 1
		.amdhsa_user_sgpr_dispatch_id 0
		.amdhsa_user_sgpr_kernarg_preload_length 0
		.amdhsa_user_sgpr_kernarg_preload_offset 0
		.amdhsa_user_sgpr_private_segment_size 0
		.amdhsa_wavefront_size32 1
		.amdhsa_uses_dynamic_stack 0
		.amdhsa_enable_private_segment 0
		.amdhsa_system_sgpr_workgroup_id_x 1
		.amdhsa_system_sgpr_workgroup_id_y 1
		.amdhsa_system_sgpr_workgroup_id_z 1
		.amdhsa_system_sgpr_workgroup_info 0
		.amdhsa_system_vgpr_workitem_id 1
		.amdhsa_next_free_vgpr 54
		.amdhsa_next_free_sgpr 35
		.amdhsa_named_barrier_count 0
		.amdhsa_reserve_vcc 1
		.amdhsa_float_round_mode_32 0
		.amdhsa_float_round_mode_16_64 0
		.amdhsa_float_denorm_mode_32 3
		.amdhsa_float_denorm_mode_16_64 3
		.amdhsa_fp16_overflow 0
		.amdhsa_memory_ordered 1
		.amdhsa_forward_progress 1
		.amdhsa_inst_pref_size 13
		.amdhsa_round_robin_scheduling 0
		.amdhsa_exception_fp_ieee_invalid_op 0
		.amdhsa_exception_fp_denorm_src 0
		.amdhsa_exception_fp_ieee_div_zero 0
		.amdhsa_exception_fp_ieee_overflow 0
		.amdhsa_exception_fp_ieee_underflow 0
		.amdhsa_exception_fp_ieee_inexact 0
		.amdhsa_exception_int_div_zero 0
	.end_amdhsa_kernel
	.section	.text._ZL29rocblas_internal_gemmt_kernelIlLi16ELi32ELi8ELc84ELc67ELc85ELb0ELb0EfPKfS1_PfEviT_T9_T10_S3_lS5_S3_lS4_T11_S3_li,"axG",@progbits,_ZL29rocblas_internal_gemmt_kernelIlLi16ELi32ELi8ELc84ELc67ELc85ELb0ELb0EfPKfS1_PfEviT_T9_T10_S3_lS5_S3_lS4_T11_S3_li,comdat
.Lfunc_end149:
	.size	_ZL29rocblas_internal_gemmt_kernelIlLi16ELi32ELi8ELc84ELc67ELc85ELb0ELb0EfPKfS1_PfEviT_T9_T10_S3_lS5_S3_lS4_T11_S3_li, .Lfunc_end149-_ZL29rocblas_internal_gemmt_kernelIlLi16ELi32ELi8ELc84ELc67ELc85ELb0ELb0EfPKfS1_PfEviT_T9_T10_S3_lS5_S3_lS4_T11_S3_li
                                        ; -- End function
	.set _ZL29rocblas_internal_gemmt_kernelIlLi16ELi32ELi8ELc84ELc67ELc85ELb0ELb0EfPKfS1_PfEviT_T9_T10_S3_lS5_S3_lS4_T11_S3_li.num_vgpr, 54
	.set _ZL29rocblas_internal_gemmt_kernelIlLi16ELi32ELi8ELc84ELc67ELc85ELb0ELb0EfPKfS1_PfEviT_T9_T10_S3_lS5_S3_lS4_T11_S3_li.num_agpr, 0
	.set _ZL29rocblas_internal_gemmt_kernelIlLi16ELi32ELi8ELc84ELc67ELc85ELb0ELb0EfPKfS1_PfEviT_T9_T10_S3_lS5_S3_lS4_T11_S3_li.numbered_sgpr, 35
	.set _ZL29rocblas_internal_gemmt_kernelIlLi16ELi32ELi8ELc84ELc67ELc85ELb0ELb0EfPKfS1_PfEviT_T9_T10_S3_lS5_S3_lS4_T11_S3_li.num_named_barrier, 0
	.set _ZL29rocblas_internal_gemmt_kernelIlLi16ELi32ELi8ELc84ELc67ELc85ELb0ELb0EfPKfS1_PfEviT_T9_T10_S3_lS5_S3_lS4_T11_S3_li.private_seg_size, 0
	.set _ZL29rocblas_internal_gemmt_kernelIlLi16ELi32ELi8ELc84ELc67ELc85ELb0ELb0EfPKfS1_PfEviT_T9_T10_S3_lS5_S3_lS4_T11_S3_li.uses_vcc, 1
	.set _ZL29rocblas_internal_gemmt_kernelIlLi16ELi32ELi8ELc84ELc67ELc85ELb0ELb0EfPKfS1_PfEviT_T9_T10_S3_lS5_S3_lS4_T11_S3_li.uses_flat_scratch, 0
	.set _ZL29rocblas_internal_gemmt_kernelIlLi16ELi32ELi8ELc84ELc67ELc85ELb0ELb0EfPKfS1_PfEviT_T9_T10_S3_lS5_S3_lS4_T11_S3_li.has_dyn_sized_stack, 0
	.set _ZL29rocblas_internal_gemmt_kernelIlLi16ELi32ELi8ELc84ELc67ELc85ELb0ELb0EfPKfS1_PfEviT_T9_T10_S3_lS5_S3_lS4_T11_S3_li.has_recursion, 0
	.set _ZL29rocblas_internal_gemmt_kernelIlLi16ELi32ELi8ELc84ELc67ELc85ELb0ELb0EfPKfS1_PfEviT_T9_T10_S3_lS5_S3_lS4_T11_S3_li.has_indirect_call, 0
	.section	.AMDGPU.csdata,"",@progbits
; Kernel info:
; codeLenInByte = 1596
; TotalNumSgprs: 37
; NumVgprs: 54
; ScratchSize: 0
; MemoryBound: 0
; FloatMode: 240
; IeeeMode: 1
; LDSByteSize: 2048 bytes/workgroup (compile time only)
; SGPRBlocks: 0
; VGPRBlocks: 3
; NumSGPRsForWavesPerEU: 37
; NumVGPRsForWavesPerEU: 54
; NamedBarCnt: 0
; Occupancy: 16
; WaveLimiterHint : 0
; COMPUTE_PGM_RSRC2:SCRATCH_EN: 0
; COMPUTE_PGM_RSRC2:USER_SGPR: 2
; COMPUTE_PGM_RSRC2:TRAP_HANDLER: 0
; COMPUTE_PGM_RSRC2:TGID_X_EN: 1
; COMPUTE_PGM_RSRC2:TGID_Y_EN: 1
; COMPUTE_PGM_RSRC2:TGID_Z_EN: 1
; COMPUTE_PGM_RSRC2:TIDIG_COMP_CNT: 1
	.section	.text._ZL29rocblas_internal_gemmt_kernelIlLi16ELi32ELi8ELc67ELc78ELc85ELb0ELb0EfPKfS1_PfEviT_T9_T10_S3_lS5_S3_lS4_T11_S3_li,"axG",@progbits,_ZL29rocblas_internal_gemmt_kernelIlLi16ELi32ELi8ELc67ELc78ELc85ELb0ELb0EfPKfS1_PfEviT_T9_T10_S3_lS5_S3_lS4_T11_S3_li,comdat
	.globl	_ZL29rocblas_internal_gemmt_kernelIlLi16ELi32ELi8ELc67ELc78ELc85ELb0ELb0EfPKfS1_PfEviT_T9_T10_S3_lS5_S3_lS4_T11_S3_li ; -- Begin function _ZL29rocblas_internal_gemmt_kernelIlLi16ELi32ELi8ELc67ELc78ELc85ELb0ELb0EfPKfS1_PfEviT_T9_T10_S3_lS5_S3_lS4_T11_S3_li
	.p2align	8
	.type	_ZL29rocblas_internal_gemmt_kernelIlLi16ELi32ELi8ELc67ELc78ELc85ELb0ELb0EfPKfS1_PfEviT_T9_T10_S3_lS5_S3_lS4_T11_S3_li,@function
_ZL29rocblas_internal_gemmt_kernelIlLi16ELi32ELi8ELc67ELc78ELc85ELb0ELb0EfPKfS1_PfEviT_T9_T10_S3_lS5_S3_lS4_T11_S3_li: ; @_ZL29rocblas_internal_gemmt_kernelIlLi16ELi32ELi8ELc67ELc78ELc85ELb0ELb0EfPKfS1_PfEviT_T9_T10_S3_lS5_S3_lS4_T11_S3_li
; %bb.0:
	s_clause 0x1
	s_load_b256 s[24:31], s[0:1], 0x48
	s_load_b512 s[8:23], s[0:1], 0x8
	s_wait_kmcnt 0x0
	s_load_b32 s33, s[24:25], 0x0
	s_load_b32 s34, s[10:11], 0x0
	s_wait_kmcnt 0x0
	s_cmp_neq_f32 s33, 1.0
	s_cselect_b32 s2, -1, 0
	s_delay_alu instid0(SALU_CYCLE_1)
	s_and_b32 vcc_lo, exec_lo, s2
	s_cbranch_vccnz .LBB150_2
; %bb.1:
	s_cmp_lg_u64 s[8:9], 0
	s_cselect_b32 s2, -1, 0
	s_cmp_neq_f32 s34, 0
	s_cselect_b32 s3, -1, 0
	s_delay_alu instid0(SALU_CYCLE_1)
	s_and_b32 s2, s2, s3
.LBB150_2:
	s_delay_alu instid0(SALU_CYCLE_1)
	s_and_not1_b32 vcc_lo, exec_lo, s2
	s_cbranch_vccnz .LBB150_35
; %bb.3:
	s_load_b32 s10, s[0:1], 0x68
	s_bfe_u32 s2, ttmp6, 0x40014
	s_lshr_b32 s3, ttmp7, 16
	s_add_co_i32 s2, s2, 1
	s_bfe_u32 s5, ttmp6, 0x40008
	s_mul_i32 s4, s3, s2
	s_getreg_b32 s2, hwreg(HW_REG_IB_STS2, 6, 4)
	s_add_co_i32 s5, s5, s4
	s_cmp_eq_u32 s2, 0
	s_mov_b32 s7, 0
	s_cselect_b32 s6, s3, s5
	s_wait_kmcnt 0x0
	s_cmp_ge_u32 s6, s10
	s_cbranch_scc1 .LBB150_35
; %bb.4:
	v_and_b32_e32 v8, 0x3ff, v0
	v_bfe_u32 v2, v0, 10, 10
	s_bfe_u32 s4, ttmp6, 0x4000c
	s_bfe_u32 s11, ttmp6, 0x40010
	s_and_b32 s5, ttmp7, 0xffff
	s_add_co_i32 s4, s4, 1
	s_add_co_i32 s11, s11, 1
	v_lshl_add_u32 v6, v2, 4, v8
	s_and_b32 s3, ttmp6, 15
	s_mul_i32 s4, ttmp9, s4
	s_mul_i32 s11, s5, s11
	s_bfe_u32 s24, ttmp6, 0x40004
	s_add_co_i32 s3, s3, s4
	s_add_co_i32 s24, s24, s11
	s_cmp_eq_u32 s2, 0
	v_dual_lshrrev_b32 v9, 3, v6 :: v_dual_bitop2_b32 v10, 31, v6 bitop3:0x40
	s_cselect_b32 s2, ttmp9, s3
	s_cselect_b32 s3, s5, s24
	s_lshl_b32 s2, s2, 5
	s_lshl_b32 s3, s3, 5
	s_delay_alu instid0(SALU_CYCLE_1) | instskip(SKIP_2) | instid1(VALU_DEP_2)
	v_dual_add_nc_u32 v14, s3, v9 :: v_dual_bitop2_b32 v12, s2, v10 bitop3:0x54
	v_dual_add_nc_u32 v16, s3, v2 :: v_dual_bitop2_b32 v0, 7, v0 bitop3:0x40
	s_load_b32 s3, s[0:1], 0x0
	v_dual_ashrrev_i32 v13, 31, v12 :: v_dual_ashrrev_i32 v15, 31, v14
	s_delay_alu instid0(VALU_DEP_2) | instskip(NEXT) | instid1(VALU_DEP_3)
	v_dual_add_nc_u32 v22, 16, v16 :: v_dual_ashrrev_i32 v17, 31, v16
	v_lshlrev_b32_e32 v11, 2, v0
	s_delay_alu instid0(VALU_DEP_3) | instskip(NEXT) | instid1(VALU_DEP_4)
	v_mul_u64_e32 v[18:19], s[14:15], v[12:13]
	v_mul_u64_e32 v[20:21], s[20:21], v[14:15]
	s_delay_alu instid0(VALU_DEP_4) | instskip(SKIP_3) | instid1(VALU_DEP_4)
	v_ashrrev_i32_e32 v23, 31, v22
	v_lshl_add_u32 v7, v2, 5, 0x400
	v_mul_u64_e32 v[2:3], s[28:29], v[16:17]
	v_dual_lshlrev_b32 v1, 2, v8 :: v_dual_lshrrev_b32 v6, 5, v6
	v_mul_u64_e32 v[4:5], s[28:29], v[22:23]
	v_dual_add_nc_u32 v8, s2, v8 :: v_dual_lshlrev_b32 v13, 2, v10
	s_cmp_neq_f32 s34, 0
	v_lshl_or_b32 v11, v9, 5, v11
	v_cmp_gt_i64_e64 s15, s[8:9], 0
	s_delay_alu instid0(VALU_DEP_3)
	v_cmp_le_i32_e32 vcc_lo, v8, v16
	v_dual_ashrrev_i32 v9, 31, v8 :: v_dual_add_nc_u32 v10, 16, v8
	s_wait_kmcnt 0x0
	v_cmp_gt_i32_e64 s2, s3, v16
	s_cselect_b32 s20, -1, 0
	s_cmp_neq_f32 s33, 0
	v_cmp_gt_i32_e64 s0, s3, v12
	v_cmp_gt_i32_e64 s1, s3, v14
	;; [unrolled: 1-line block ×3, first 2 shown]
	s_cselect_b32 s11, -1, 0
	s_and_b32 s14, s2, vcc_lo
	v_cmp_le_i32_e32 vcc_lo, v10, v16
	v_cmp_le_i32_e64 s4, v8, v22
	v_cmp_le_i32_e64 s5, v10, v22
	v_lshl_or_b32 v26, v6, 7, v13
	v_add_nc_u32_e32 v27, 0x400, v11
	v_dual_ashrrev_i32 v11, 31, v10 :: v_dual_mov_b32 v17, 0
	s_and_b32 s4, s3, s4
	v_lshl_add_u64 v[12:13], v[18:19], 2, s[12:13]
	v_lshl_add_u64 v[14:15], v[20:21], 2, s[18:19]
	s_and_b32 s12, s20, s15
	s_and_b32 s13, s2, vcc_lo
	s_and_b32 s5, s3, s5
	s_branch .LBB150_6
.LBB150_5:                              ;   in Loop: Header=BB150_6 Depth=1
	s_wait_xcnt 0x0
	s_or_b32 exec_lo, exec_lo, s2
	s_add_co_i32 s6, s6, 0x10000
	s_delay_alu instid0(SALU_CYCLE_1)
	s_cmp_lt_u32 s6, s10
	s_cbranch_scc0 .LBB150_35
.LBB150_6:                              ; =>This Loop Header: Depth=1
                                        ;     Child Loop BB150_9 Depth 2
	v_dual_mov_b32 v25, v17 :: v_dual_mov_b32 v24, v17
	v_dual_mov_b32 v19, v17 :: v_dual_mov_b32 v18, v17
	s_and_not1_b32 vcc_lo, exec_lo, s12
	s_cbranch_vccnz .LBB150_15
; %bb.7:                                ;   in Loop: Header=BB150_6 Depth=1
	v_mov_b32_e32 v18, 0
	s_mul_u64 s[2:3], s[16:17], s[6:7]
	s_mul_u64 s[18:19], s[22:23], s[6:7]
	v_lshl_add_u64 v[20:21], s[2:3], 2, v[12:13]
	v_lshl_add_u64 v[22:23], s[18:19], 2, v[14:15]
	v_dual_mov_b32 v19, v18 :: v_dual_mov_b32 v24, v18
	v_mov_b32_e32 v25, v18
	s_mov_b64 s[2:3], 0
	s_branch .LBB150_9
.LBB150_8:                              ;   in Loop: Header=BB150_9 Depth=2
	s_wait_xcnt 0x0
	s_or_b32 exec_lo, exec_lo, s15
	s_wait_loadcnt 0x0
	ds_store_b32 v27, v29
	s_wait_dscnt 0x0
	s_barrier_signal -1
	s_barrier_wait -1
	ds_load_b128 v[28:31], v7
	ds_load_2addr_b32 v[44:45], v1 offset1:16
	ds_load_b128 v[32:35], v7 offset:512
	ds_load_2addr_b32 v[46:47], v1 offset0:32 offset1:48
	ds_load_2addr_b32 v[48:49], v1 offset0:64 offset1:80
	ds_load_2addr_b32 v[50:51], v1 offset0:96 offset1:112
	ds_load_b128 v[36:39], v7 offset:16
	ds_load_2addr_b32 v[52:53], v1 offset0:128 offset1:144
	ds_load_b128 v[40:43], v7 offset:528
	s_add_nc_u64 s[2:3], s[2:3], 8
	s_delay_alu instid0(SALU_CYCLE_1)
	v_cmp_gt_i64_e64 s15, s[8:9], s[2:3]
	s_and_b32 vcc_lo, exec_lo, s15
	s_wait_dscnt 0x8
	v_mov_b32_e32 v16, v31
	s_wait_dscnt 0x7
	v_pk_fma_f32 v[24:25], v[44:45], v[28:29], v[24:25] op_sel_hi:[1,0,1]
	s_wait_dscnt 0x6
	v_pk_fma_f32 v[18:19], v[44:45], v[32:33], v[18:19] op_sel_hi:[1,0,1]
	ds_load_2addr_b32 v[44:45], v1 offset0:160 offset1:176
	s_wait_dscnt 0x6
	v_pk_fma_f32 v[24:25], v[46:47], v[28:29], v[24:25] op_sel:[0,1,0]
	v_pk_fma_f32 v[18:19], v[46:47], v[32:33], v[18:19] op_sel:[0,1,0]
	ds_load_2addr_b32 v[28:29], v1 offset0:192 offset1:208
	v_mov_b32_e32 v32, v35
	s_wait_dscnt 0x6
	v_pk_fma_f32 v[24:25], v[48:49], v[30:31], v[24:25] op_sel_hi:[1,0,1]
	v_pk_fma_f32 v[18:19], v[48:49], v[34:35], v[18:19] op_sel_hi:[1,0,1]
	ds_load_2addr_b32 v[30:31], v1 offset0:224 offset1:240
	s_wait_dscnt 0x0
	s_barrier_signal -1
	v_pk_fma_f32 v[24:25], v[50:51], v[16:17], v[24:25] op_sel_hi:[1,0,1]
	v_pk_fma_f32 v[18:19], v[50:51], v[32:33], v[18:19] op_sel_hi:[1,0,1]
	v_dual_mov_b32 v16, v39 :: v_dual_mov_b32 v32, v43
	s_barrier_wait -1
	s_delay_alu instid0(VALU_DEP_3) | instskip(NEXT) | instid1(VALU_DEP_3)
	v_pk_fma_f32 v[24:25], v[52:53], v[36:37], v[24:25] op_sel_hi:[1,0,1]
	v_pk_fma_f32 v[18:19], v[52:53], v[40:41], v[18:19] op_sel_hi:[1,0,1]
	s_delay_alu instid0(VALU_DEP_2) | instskip(NEXT) | instid1(VALU_DEP_2)
	v_pk_fma_f32 v[24:25], v[44:45], v[36:37], v[24:25] op_sel:[0,1,0]
	v_pk_fma_f32 v[18:19], v[44:45], v[40:41], v[18:19] op_sel:[0,1,0]
	s_delay_alu instid0(VALU_DEP_2) | instskip(NEXT) | instid1(VALU_DEP_2)
	v_pk_fma_f32 v[24:25], v[28:29], v[38:39], v[24:25] op_sel_hi:[1,0,1]
	v_pk_fma_f32 v[18:19], v[28:29], v[42:43], v[18:19] op_sel_hi:[1,0,1]
	s_delay_alu instid0(VALU_DEP_2) | instskip(NEXT) | instid1(VALU_DEP_2)
	v_pk_fma_f32 v[24:25], v[30:31], v[16:17], v[24:25] op_sel_hi:[1,0,1]
	v_pk_fma_f32 v[18:19], v[30:31], v[32:33], v[18:19] op_sel_hi:[1,0,1]
	s_cbranch_vccz .LBB150_15
.LBB150_9:                              ;   Parent Loop BB150_6 Depth=1
                                        ; =>  This Inner Loop Header: Depth=2
	v_mov_b32_e32 v28, 0
	s_and_saveexec_b32 s15, s0
	s_cbranch_execz .LBB150_13
; %bb.10:                               ;   in Loop: Header=BB150_9 Depth=2
	v_dual_add_nc_u32 v16, s2, v6 :: v_dual_mov_b32 v28, 0
	s_mov_b32 s18, exec_lo
	s_delay_alu instid0(VALU_DEP_1)
	v_cmpx_gt_u64_e64 s[8:9], v[16:17]
	s_cbranch_execz .LBB150_12
; %bb.11:                               ;   in Loop: Header=BB150_9 Depth=2
	v_lshl_add_u64 v[28:29], v[16:17], 2, v[20:21]
	global_load_b32 v28, v[28:29], off
.LBB150_12:                             ;   in Loop: Header=BB150_9 Depth=2
	s_wait_xcnt 0x0
	s_or_b32 exec_lo, exec_lo, s18
.LBB150_13:                             ;   in Loop: Header=BB150_9 Depth=2
	s_delay_alu instid0(SALU_CYCLE_1)
	s_or_b32 exec_lo, exec_lo, s15
	v_dual_mov_b32 v29, 0 :: v_dual_add_nc_u32 v16, s2, v0
	s_wait_loadcnt 0x0
	ds_store_b32 v26, v28
	v_cmp_gt_u64_e32 vcc_lo, s[8:9], v[16:17]
	s_and_b32 s18, vcc_lo, s1
	s_delay_alu instid0(SALU_CYCLE_1)
	s_and_saveexec_b32 s15, s18
	s_cbranch_execz .LBB150_8
; %bb.14:                               ;   in Loop: Header=BB150_9 Depth=2
	v_lshl_add_u64 v[28:29], v[16:17], 2, v[22:23]
	global_load_b32 v29, v[28:29], off
	s_branch .LBB150_8
.LBB150_15:                             ;   in Loop: Header=BB150_6 Depth=1
	s_mul_u64 s[2:3], s[30:31], s[6:7]
	s_delay_alu instid0(SALU_CYCLE_1) | instskip(NEXT) | instid1(SALU_CYCLE_1)
	s_lshl_b64 s[2:3], s[2:3], 2
	s_add_nc_u64 s[2:3], s[26:27], s[2:3]
	s_delay_alu instid0(SALU_CYCLE_1)
	v_lshl_add_u64 v[20:21], v[2:3], 2, s[2:3]
	s_and_saveexec_b32 s15, s14
	s_cbranch_execz .LBB150_19
; %bb.16:                               ;   in Loop: Header=BB150_6 Depth=1
	v_mul_f32_e32 v16, s34, v24
	s_delay_alu instid0(VALU_DEP_2)
	v_lshl_add_u64 v[22:23], v[8:9], 2, v[20:21]
	s_and_b32 vcc_lo, exec_lo, s11
	s_cbranch_vccz .LBB150_30
; %bb.17:                               ;   in Loop: Header=BB150_6 Depth=1
	global_load_b32 v24, v[22:23], off
	s_wait_loadcnt 0x0
	v_fma_f32 v24, s33, v24, v16
	global_store_b32 v[22:23], v24, off
	s_cbranch_execnz .LBB150_19
.LBB150_18:                             ;   in Loop: Header=BB150_6 Depth=1
	global_store_b32 v[22:23], v16, off
.LBB150_19:                             ;   in Loop: Header=BB150_6 Depth=1
	s_wait_xcnt 0x0
	s_or_b32 exec_lo, exec_lo, s15
	s_and_saveexec_b32 s15, s13
	s_cbranch_execz .LBB150_23
; %bb.20:                               ;   in Loop: Header=BB150_6 Depth=1
	v_mul_f32_e32 v16, s34, v25
	v_lshl_add_u64 v[20:21], v[10:11], 2, v[20:21]
	s_and_not1_b32 vcc_lo, exec_lo, s11
	s_cbranch_vccnz .LBB150_31
; %bb.21:                               ;   in Loop: Header=BB150_6 Depth=1
	global_load_b32 v22, v[20:21], off
	s_wait_loadcnt 0x0
	v_fma_f32 v22, s33, v22, v16
	global_store_b32 v[20:21], v22, off
	s_cbranch_execnz .LBB150_23
.LBB150_22:                             ;   in Loop: Header=BB150_6 Depth=1
	global_store_b32 v[20:21], v16, off
.LBB150_23:                             ;   in Loop: Header=BB150_6 Depth=1
	s_wait_xcnt 0x0
	s_or_b32 exec_lo, exec_lo, s15
	v_lshl_add_u64 v[20:21], v[4:5], 2, s[2:3]
	s_and_saveexec_b32 s2, s4
	s_cbranch_execz .LBB150_27
; %bb.24:                               ;   in Loop: Header=BB150_6 Depth=1
	v_mul_f32_e32 v16, s34, v18
	s_delay_alu instid0(VALU_DEP_2)
	v_lshl_add_u64 v[22:23], v[8:9], 2, v[20:21]
	s_and_not1_b32 vcc_lo, exec_lo, s11
	s_cbranch_vccnz .LBB150_32
; %bb.25:                               ;   in Loop: Header=BB150_6 Depth=1
	global_load_b32 v18, v[22:23], off
	s_wait_loadcnt 0x0
	v_fma_f32 v18, s33, v18, v16
	global_store_b32 v[22:23], v18, off
	s_cbranch_execnz .LBB150_27
.LBB150_26:                             ;   in Loop: Header=BB150_6 Depth=1
	global_store_b32 v[22:23], v16, off
.LBB150_27:                             ;   in Loop: Header=BB150_6 Depth=1
	s_wait_xcnt 0x0
	s_or_b32 exec_lo, exec_lo, s2
	s_and_saveexec_b32 s2, s5
	s_cbranch_execz .LBB150_5
; %bb.28:                               ;   in Loop: Header=BB150_6 Depth=1
	v_mul_f32_e32 v16, s34, v19
	v_lshl_add_u64 v[18:19], v[10:11], 2, v[20:21]
	s_and_not1_b32 vcc_lo, exec_lo, s11
	s_cbranch_vccnz .LBB150_33
; %bb.29:                               ;   in Loop: Header=BB150_6 Depth=1
	global_load_b32 v20, v[18:19], off
	s_wait_loadcnt 0x0
	v_fma_f32 v20, s33, v20, v16
	global_store_b32 v[18:19], v20, off
	s_cbranch_execnz .LBB150_5
	s_branch .LBB150_34
.LBB150_30:                             ;   in Loop: Header=BB150_6 Depth=1
	s_branch .LBB150_18
.LBB150_31:                             ;   in Loop: Header=BB150_6 Depth=1
	s_branch .LBB150_22
.LBB150_32:                             ;   in Loop: Header=BB150_6 Depth=1
	s_branch .LBB150_26
.LBB150_33:                             ;   in Loop: Header=BB150_6 Depth=1
.LBB150_34:                             ;   in Loop: Header=BB150_6 Depth=1
	global_store_b32 v[18:19], v16, off
	s_branch .LBB150_5
.LBB150_35:
	s_endpgm
	.section	.rodata,"a",@progbits
	.p2align	6, 0x0
	.amdhsa_kernel _ZL29rocblas_internal_gemmt_kernelIlLi16ELi32ELi8ELc67ELc78ELc85ELb0ELb0EfPKfS1_PfEviT_T9_T10_S3_lS5_S3_lS4_T11_S3_li
		.amdhsa_group_segment_fixed_size 2048
		.amdhsa_private_segment_fixed_size 0
		.amdhsa_kernarg_size 108
		.amdhsa_user_sgpr_count 2
		.amdhsa_user_sgpr_dispatch_ptr 0
		.amdhsa_user_sgpr_queue_ptr 0
		.amdhsa_user_sgpr_kernarg_segment_ptr 1
		.amdhsa_user_sgpr_dispatch_id 0
		.amdhsa_user_sgpr_kernarg_preload_length 0
		.amdhsa_user_sgpr_kernarg_preload_offset 0
		.amdhsa_user_sgpr_private_segment_size 0
		.amdhsa_wavefront_size32 1
		.amdhsa_uses_dynamic_stack 0
		.amdhsa_enable_private_segment 0
		.amdhsa_system_sgpr_workgroup_id_x 1
		.amdhsa_system_sgpr_workgroup_id_y 1
		.amdhsa_system_sgpr_workgroup_id_z 1
		.amdhsa_system_sgpr_workgroup_info 0
		.amdhsa_system_vgpr_workitem_id 1
		.amdhsa_next_free_vgpr 54
		.amdhsa_next_free_sgpr 35
		.amdhsa_named_barrier_count 0
		.amdhsa_reserve_vcc 1
		.amdhsa_float_round_mode_32 0
		.amdhsa_float_round_mode_16_64 0
		.amdhsa_float_denorm_mode_32 3
		.amdhsa_float_denorm_mode_16_64 3
		.amdhsa_fp16_overflow 0
		.amdhsa_memory_ordered 1
		.amdhsa_forward_progress 1
		.amdhsa_inst_pref_size 13
		.amdhsa_round_robin_scheduling 0
		.amdhsa_exception_fp_ieee_invalid_op 0
		.amdhsa_exception_fp_denorm_src 0
		.amdhsa_exception_fp_ieee_div_zero 0
		.amdhsa_exception_fp_ieee_overflow 0
		.amdhsa_exception_fp_ieee_underflow 0
		.amdhsa_exception_fp_ieee_inexact 0
		.amdhsa_exception_int_div_zero 0
	.end_amdhsa_kernel
	.section	.text._ZL29rocblas_internal_gemmt_kernelIlLi16ELi32ELi8ELc67ELc78ELc85ELb0ELb0EfPKfS1_PfEviT_T9_T10_S3_lS5_S3_lS4_T11_S3_li,"axG",@progbits,_ZL29rocblas_internal_gemmt_kernelIlLi16ELi32ELi8ELc67ELc78ELc85ELb0ELb0EfPKfS1_PfEviT_T9_T10_S3_lS5_S3_lS4_T11_S3_li,comdat
.Lfunc_end150:
	.size	_ZL29rocblas_internal_gemmt_kernelIlLi16ELi32ELi8ELc67ELc78ELc85ELb0ELb0EfPKfS1_PfEviT_T9_T10_S3_lS5_S3_lS4_T11_S3_li, .Lfunc_end150-_ZL29rocblas_internal_gemmt_kernelIlLi16ELi32ELi8ELc67ELc78ELc85ELb0ELb0EfPKfS1_PfEviT_T9_T10_S3_lS5_S3_lS4_T11_S3_li
                                        ; -- End function
	.set _ZL29rocblas_internal_gemmt_kernelIlLi16ELi32ELi8ELc67ELc78ELc85ELb0ELb0EfPKfS1_PfEviT_T9_T10_S3_lS5_S3_lS4_T11_S3_li.num_vgpr, 54
	.set _ZL29rocblas_internal_gemmt_kernelIlLi16ELi32ELi8ELc67ELc78ELc85ELb0ELb0EfPKfS1_PfEviT_T9_T10_S3_lS5_S3_lS4_T11_S3_li.num_agpr, 0
	.set _ZL29rocblas_internal_gemmt_kernelIlLi16ELi32ELi8ELc67ELc78ELc85ELb0ELb0EfPKfS1_PfEviT_T9_T10_S3_lS5_S3_lS4_T11_S3_li.numbered_sgpr, 35
	.set _ZL29rocblas_internal_gemmt_kernelIlLi16ELi32ELi8ELc67ELc78ELc85ELb0ELb0EfPKfS1_PfEviT_T9_T10_S3_lS5_S3_lS4_T11_S3_li.num_named_barrier, 0
	.set _ZL29rocblas_internal_gemmt_kernelIlLi16ELi32ELi8ELc67ELc78ELc85ELb0ELb0EfPKfS1_PfEviT_T9_T10_S3_lS5_S3_lS4_T11_S3_li.private_seg_size, 0
	.set _ZL29rocblas_internal_gemmt_kernelIlLi16ELi32ELi8ELc67ELc78ELc85ELb0ELb0EfPKfS1_PfEviT_T9_T10_S3_lS5_S3_lS4_T11_S3_li.uses_vcc, 1
	.set _ZL29rocblas_internal_gemmt_kernelIlLi16ELi32ELi8ELc67ELc78ELc85ELb0ELb0EfPKfS1_PfEviT_T9_T10_S3_lS5_S3_lS4_T11_S3_li.uses_flat_scratch, 0
	.set _ZL29rocblas_internal_gemmt_kernelIlLi16ELi32ELi8ELc67ELc78ELc85ELb0ELb0EfPKfS1_PfEviT_T9_T10_S3_lS5_S3_lS4_T11_S3_li.has_dyn_sized_stack, 0
	.set _ZL29rocblas_internal_gemmt_kernelIlLi16ELi32ELi8ELc67ELc78ELc85ELb0ELb0EfPKfS1_PfEviT_T9_T10_S3_lS5_S3_lS4_T11_S3_li.has_recursion, 0
	.set _ZL29rocblas_internal_gemmt_kernelIlLi16ELi32ELi8ELc67ELc78ELc85ELb0ELb0EfPKfS1_PfEviT_T9_T10_S3_lS5_S3_lS4_T11_S3_li.has_indirect_call, 0
	.section	.AMDGPU.csdata,"",@progbits
; Kernel info:
; codeLenInByte = 1596
; TotalNumSgprs: 37
; NumVgprs: 54
; ScratchSize: 0
; MemoryBound: 0
; FloatMode: 240
; IeeeMode: 1
; LDSByteSize: 2048 bytes/workgroup (compile time only)
; SGPRBlocks: 0
; VGPRBlocks: 3
; NumSGPRsForWavesPerEU: 37
; NumVGPRsForWavesPerEU: 54
; NamedBarCnt: 0
; Occupancy: 16
; WaveLimiterHint : 0
; COMPUTE_PGM_RSRC2:SCRATCH_EN: 0
; COMPUTE_PGM_RSRC2:USER_SGPR: 2
; COMPUTE_PGM_RSRC2:TRAP_HANDLER: 0
; COMPUTE_PGM_RSRC2:TGID_X_EN: 1
; COMPUTE_PGM_RSRC2:TGID_Y_EN: 1
; COMPUTE_PGM_RSRC2:TGID_Z_EN: 1
; COMPUTE_PGM_RSRC2:TIDIG_COMP_CNT: 1
	.section	.text._ZL29rocblas_internal_gemmt_kernelIlLi16ELi32ELi8ELc67ELc84ELc85ELb0ELb0EfPKfS1_PfEviT_T9_T10_S3_lS5_S3_lS4_T11_S3_li,"axG",@progbits,_ZL29rocblas_internal_gemmt_kernelIlLi16ELi32ELi8ELc67ELc84ELc85ELb0ELb0EfPKfS1_PfEviT_T9_T10_S3_lS5_S3_lS4_T11_S3_li,comdat
	.globl	_ZL29rocblas_internal_gemmt_kernelIlLi16ELi32ELi8ELc67ELc84ELc85ELb0ELb0EfPKfS1_PfEviT_T9_T10_S3_lS5_S3_lS4_T11_S3_li ; -- Begin function _ZL29rocblas_internal_gemmt_kernelIlLi16ELi32ELi8ELc67ELc84ELc85ELb0ELb0EfPKfS1_PfEviT_T9_T10_S3_lS5_S3_lS4_T11_S3_li
	.p2align	8
	.type	_ZL29rocblas_internal_gemmt_kernelIlLi16ELi32ELi8ELc67ELc84ELc85ELb0ELb0EfPKfS1_PfEviT_T9_T10_S3_lS5_S3_lS4_T11_S3_li,@function
_ZL29rocblas_internal_gemmt_kernelIlLi16ELi32ELi8ELc67ELc84ELc85ELb0ELb0EfPKfS1_PfEviT_T9_T10_S3_lS5_S3_lS4_T11_S3_li: ; @_ZL29rocblas_internal_gemmt_kernelIlLi16ELi32ELi8ELc67ELc84ELc85ELb0ELb0EfPKfS1_PfEviT_T9_T10_S3_lS5_S3_lS4_T11_S3_li
; %bb.0:
	s_clause 0x1
	s_load_b256 s[24:31], s[0:1], 0x48
	s_load_b512 s[8:23], s[0:1], 0x8
	s_wait_kmcnt 0x0
	s_load_b32 s33, s[24:25], 0x0
	s_load_b32 s34, s[10:11], 0x0
	s_wait_kmcnt 0x0
	s_cmp_neq_f32 s33, 1.0
	s_cselect_b32 s2, -1, 0
	s_delay_alu instid0(SALU_CYCLE_1)
	s_and_b32 vcc_lo, exec_lo, s2
	s_cbranch_vccnz .LBB151_2
; %bb.1:
	s_cmp_lg_u64 s[8:9], 0
	s_cselect_b32 s2, -1, 0
	s_cmp_neq_f32 s34, 0
	s_cselect_b32 s3, -1, 0
	s_delay_alu instid0(SALU_CYCLE_1)
	s_and_b32 s2, s2, s3
.LBB151_2:
	s_delay_alu instid0(SALU_CYCLE_1)
	s_and_not1_b32 vcc_lo, exec_lo, s2
	s_cbranch_vccnz .LBB151_35
; %bb.3:
	s_load_b32 s10, s[0:1], 0x68
	s_bfe_u32 s2, ttmp6, 0x40014
	s_lshr_b32 s3, ttmp7, 16
	s_add_co_i32 s2, s2, 1
	s_bfe_u32 s5, ttmp6, 0x40008
	s_mul_i32 s4, s3, s2
	s_getreg_b32 s2, hwreg(HW_REG_IB_STS2, 6, 4)
	s_add_co_i32 s5, s5, s4
	s_cmp_eq_u32 s2, 0
	s_mov_b32 s7, 0
	s_cselect_b32 s6, s3, s5
	s_wait_kmcnt 0x0
	s_cmp_ge_u32 s6, s10
	s_cbranch_scc1 .LBB151_35
; %bb.4:
	s_bfe_u32 s3, ttmp6, 0x4000c
	s_bfe_u32 s5, ttmp6, 0x40010
	v_and_b32_e32 v8, 0x3ff, v0
	v_bfe_u32 v2, v0, 10, 10
	s_add_co_i32 s3, s3, 1
	s_and_b32 s11, ttmp7, 0xffff
	s_add_co_i32 s5, s5, 1
	s_and_b32 s4, ttmp6, 15
	s_mul_i32 s3, ttmp9, s3
	s_mul_i32 s5, s11, s5
	s_bfe_u32 s24, ttmp6, 0x40004
	v_lshl_add_u32 v4, v2, 4, v8
	s_add_co_i32 s4, s4, s3
	s_add_co_i32 s24, s24, s5
	s_cmp_eq_u32 s2, 0
	v_lshl_add_u32 v3, v2, 5, 0x400
	s_cselect_b32 s3, s11, s24
	s_cselect_b32 s2, ttmp9, s4
	s_lshl_b32 s3, s3, 5
	s_delay_alu instid0(SALU_CYCLE_1) | instskip(SKIP_3) | instid1(VALU_DEP_2)
	v_dual_add_nc_u32 v14, s3, v2 :: v_dual_bitop2_b32 v9, 31, v4 bitop3:0x40
	s_lshl_b32 s2, s2, 5
	s_load_b32 s4, s[0:1], 0x0
	v_dual_lshrrev_b32 v2, 5, v4 :: v_dual_lshrrev_b32 v11, 3, v4
	v_dual_add_nc_u32 v18, 16, v14 :: v_dual_bitop2_b32 v12, s2, v9 bitop3:0x54
	v_dual_ashrrev_i32 v15, 31, v14 :: v_dual_bitop2_b32 v0, 7, v0 bitop3:0x40
	v_dual_lshlrev_b32 v1, 2, v8 :: v_dual_add_nc_u32 v8, s2, v8
	s_delay_alu instid0(VALU_DEP_3) | instskip(NEXT) | instid1(VALU_DEP_3)
	v_dual_ashrrev_i32 v13, 31, v12 :: v_dual_ashrrev_i32 v19, 31, v18
	v_mul_u64_e32 v[4:5], s[28:29], v[14:15]
	s_delay_alu instid0(VALU_DEP_4) | instskip(NEXT) | instid1(VALU_DEP_3)
	v_dual_lshlrev_b32 v10, 2, v0 :: v_dual_add_nc_u32 v20, s3, v11
	v_mul_u64_e32 v[16:17], s[14:15], v[12:13]
	s_delay_alu instid0(VALU_DEP_4) | instskip(SKIP_1) | instid1(VALU_DEP_3)
	v_mul_u64_e32 v[6:7], s[28:29], v[18:19]
	s_cmp_neq_f32 s34, 0
	v_lshl_or_b32 v11, v11, 5, v10
	v_add_nc_u32_e32 v10, 16, v8
	v_cmp_le_i32_e32 vcc_lo, v8, v14
	s_wait_kmcnt 0x0
	v_cmp_gt_i32_e64 s2, s4, v14
	s_cselect_b32 s24, -1, 0
	s_cmp_neq_f32 s33, 0
	v_dual_lshlrev_b32 v13, 2, v9 :: v_dual_ashrrev_i32 v9, 31, v8
	v_cmp_le_i32_e64 s3, v10, v14
	v_cmp_gt_i64_e64 s15, s[8:9], 0
	v_cmp_gt_i32_e64 s0, s4, v12
	v_cmp_gt_i32_e64 s1, s4, v20
	s_cselect_b32 s11, -1, 0
	s_and_b32 s14, s2, vcc_lo
	v_cmp_gt_i32_e32 vcc_lo, s4, v18
	v_cmp_le_i32_e64 s4, v8, v18
	v_lshl_or_b32 v26, v2, 7, v13
	v_add_nc_u32_e32 v27, 0x400, v11
	s_and_b32 s4, vcc_lo, s4
	v_lshl_add_u64 v[14:15], v[16:17], 2, s[12:13]
	v_dual_mov_b32 v17, 0 :: v_dual_ashrrev_i32 v21, 31, v20
	v_ashrrev_i32_e32 v11, 31, v10
	v_cmp_le_i32_e64 s5, v10, v18
	s_and_b32 s12, s24, s15
	s_and_b32 s13, s2, s3
	v_lshl_add_u64 v[12:13], v[20:21], 2, s[18:19]
	s_and_b32 s5, vcc_lo, s5
	s_branch .LBB151_6
.LBB151_5:                              ;   in Loop: Header=BB151_6 Depth=1
	s_wait_xcnt 0x0
	s_or_b32 exec_lo, exec_lo, s2
	s_add_co_i32 s6, s6, 0x10000
	s_delay_alu instid0(SALU_CYCLE_1)
	s_cmp_lt_u32 s6, s10
	s_cbranch_scc0 .LBB151_35
.LBB151_6:                              ; =>This Loop Header: Depth=1
                                        ;     Child Loop BB151_9 Depth 2
	v_dual_mov_b32 v25, v17 :: v_dual_mov_b32 v24, v17
	v_dual_mov_b32 v19, v17 :: v_dual_mov_b32 v18, v17
	s_and_not1_b32 vcc_lo, exec_lo, s12
	s_cbranch_vccnz .LBB151_15
; %bb.7:                                ;   in Loop: Header=BB151_6 Depth=1
	v_mov_b32_e32 v18, 0
	s_mul_u64 s[2:3], s[16:17], s[6:7]
	s_mul_u64 s[18:19], s[22:23], s[6:7]
	v_lshl_add_u64 v[20:21], s[2:3], 2, v[14:15]
	v_lshl_add_u64 v[22:23], s[18:19], 2, v[12:13]
	v_dual_mov_b32 v19, v18 :: v_dual_mov_b32 v24, v18
	v_mov_b32_e32 v25, v18
	s_mov_b64 s[2:3], 0
	s_branch .LBB151_9
.LBB151_8:                              ;   in Loop: Header=BB151_9 Depth=2
	s_wait_xcnt 0x0
	s_or_b32 exec_lo, exec_lo, s15
	s_wait_loadcnt 0x0
	ds_store_b32 v27, v29
	s_wait_dscnt 0x0
	s_barrier_signal -1
	s_barrier_wait -1
	ds_load_b128 v[28:31], v3
	ds_load_2addr_b32 v[44:45], v1 offset1:16
	ds_load_b128 v[32:35], v3 offset:512
	ds_load_2addr_b32 v[46:47], v1 offset0:32 offset1:48
	ds_load_2addr_b32 v[48:49], v1 offset0:64 offset1:80
	ds_load_2addr_b32 v[50:51], v1 offset0:96 offset1:112
	ds_load_b128 v[36:39], v3 offset:16
	ds_load_2addr_b32 v[52:53], v1 offset0:128 offset1:144
	ds_load_b128 v[40:43], v3 offset:528
	s_add_nc_u64 s[2:3], s[2:3], 8
	s_delay_alu instid0(SALU_CYCLE_1)
	v_cmp_gt_i64_e64 s15, s[8:9], s[2:3]
	s_and_b32 vcc_lo, exec_lo, s15
	s_wait_dscnt 0x8
	v_mov_b32_e32 v16, v31
	s_wait_dscnt 0x7
	v_pk_fma_f32 v[24:25], v[44:45], v[28:29], v[24:25] op_sel_hi:[1,0,1]
	s_wait_dscnt 0x6
	v_pk_fma_f32 v[18:19], v[44:45], v[32:33], v[18:19] op_sel_hi:[1,0,1]
	ds_load_2addr_b32 v[44:45], v1 offset0:160 offset1:176
	s_wait_dscnt 0x6
	v_pk_fma_f32 v[24:25], v[46:47], v[28:29], v[24:25] op_sel:[0,1,0]
	v_pk_fma_f32 v[18:19], v[46:47], v[32:33], v[18:19] op_sel:[0,1,0]
	ds_load_2addr_b32 v[28:29], v1 offset0:192 offset1:208
	v_mov_b32_e32 v32, v35
	s_wait_dscnt 0x6
	v_pk_fma_f32 v[24:25], v[48:49], v[30:31], v[24:25] op_sel_hi:[1,0,1]
	v_pk_fma_f32 v[18:19], v[48:49], v[34:35], v[18:19] op_sel_hi:[1,0,1]
	ds_load_2addr_b32 v[30:31], v1 offset0:224 offset1:240
	s_wait_dscnt 0x0
	s_barrier_signal -1
	v_pk_fma_f32 v[24:25], v[50:51], v[16:17], v[24:25] op_sel_hi:[1,0,1]
	v_pk_fma_f32 v[18:19], v[50:51], v[32:33], v[18:19] op_sel_hi:[1,0,1]
	v_dual_mov_b32 v16, v39 :: v_dual_mov_b32 v32, v43
	s_barrier_wait -1
	s_delay_alu instid0(VALU_DEP_3) | instskip(NEXT) | instid1(VALU_DEP_3)
	v_pk_fma_f32 v[24:25], v[52:53], v[36:37], v[24:25] op_sel_hi:[1,0,1]
	v_pk_fma_f32 v[18:19], v[52:53], v[40:41], v[18:19] op_sel_hi:[1,0,1]
	s_delay_alu instid0(VALU_DEP_2) | instskip(NEXT) | instid1(VALU_DEP_2)
	v_pk_fma_f32 v[24:25], v[44:45], v[36:37], v[24:25] op_sel:[0,1,0]
	v_pk_fma_f32 v[18:19], v[44:45], v[40:41], v[18:19] op_sel:[0,1,0]
	s_delay_alu instid0(VALU_DEP_2) | instskip(NEXT) | instid1(VALU_DEP_2)
	v_pk_fma_f32 v[24:25], v[28:29], v[38:39], v[24:25] op_sel_hi:[1,0,1]
	v_pk_fma_f32 v[18:19], v[28:29], v[42:43], v[18:19] op_sel_hi:[1,0,1]
	s_delay_alu instid0(VALU_DEP_2) | instskip(NEXT) | instid1(VALU_DEP_2)
	v_pk_fma_f32 v[24:25], v[30:31], v[16:17], v[24:25] op_sel_hi:[1,0,1]
	v_pk_fma_f32 v[18:19], v[30:31], v[32:33], v[18:19] op_sel_hi:[1,0,1]
	s_cbranch_vccz .LBB151_15
.LBB151_9:                              ;   Parent Loop BB151_6 Depth=1
                                        ; =>  This Inner Loop Header: Depth=2
	v_mov_b32_e32 v28, 0
	s_and_saveexec_b32 s15, s0
	s_cbranch_execz .LBB151_13
; %bb.10:                               ;   in Loop: Header=BB151_9 Depth=2
	v_dual_add_nc_u32 v16, s2, v2 :: v_dual_mov_b32 v28, 0
	s_mov_b32 s18, exec_lo
	s_delay_alu instid0(VALU_DEP_1)
	v_cmpx_gt_u64_e64 s[8:9], v[16:17]
	s_cbranch_execz .LBB151_12
; %bb.11:                               ;   in Loop: Header=BB151_9 Depth=2
	v_lshl_add_u64 v[28:29], v[16:17], 2, v[20:21]
	global_load_b32 v28, v[28:29], off
.LBB151_12:                             ;   in Loop: Header=BB151_9 Depth=2
	s_wait_xcnt 0x0
	s_or_b32 exec_lo, exec_lo, s18
.LBB151_13:                             ;   in Loop: Header=BB151_9 Depth=2
	s_delay_alu instid0(SALU_CYCLE_1)
	s_or_b32 exec_lo, exec_lo, s15
	v_dual_mov_b32 v29, 0 :: v_dual_add_nc_u32 v16, s2, v0
	s_wait_loadcnt 0x0
	ds_store_b32 v26, v28
	v_cmp_gt_u64_e32 vcc_lo, s[8:9], v[16:17]
	s_and_b32 s18, vcc_lo, s1
	s_delay_alu instid0(SALU_CYCLE_1)
	s_and_saveexec_b32 s15, s18
	s_cbranch_execz .LBB151_8
; %bb.14:                               ;   in Loop: Header=BB151_9 Depth=2
	v_mul_u64_e32 v[28:29], s[20:21], v[16:17]
	s_delay_alu instid0(VALU_DEP_1)
	v_lshl_add_u64 v[28:29], v[28:29], 2, v[22:23]
	global_load_b32 v29, v[28:29], off
	s_branch .LBB151_8
.LBB151_15:                             ;   in Loop: Header=BB151_6 Depth=1
	s_mul_u64 s[2:3], s[30:31], s[6:7]
	s_delay_alu instid0(SALU_CYCLE_1) | instskip(NEXT) | instid1(SALU_CYCLE_1)
	s_lshl_b64 s[2:3], s[2:3], 2
	s_add_nc_u64 s[2:3], s[26:27], s[2:3]
	s_delay_alu instid0(SALU_CYCLE_1)
	v_lshl_add_u64 v[20:21], v[4:5], 2, s[2:3]
	s_and_saveexec_b32 s15, s14
	s_cbranch_execz .LBB151_19
; %bb.16:                               ;   in Loop: Header=BB151_6 Depth=1
	v_mul_f32_e32 v16, s34, v24
	s_delay_alu instid0(VALU_DEP_2)
	v_lshl_add_u64 v[22:23], v[8:9], 2, v[20:21]
	s_and_b32 vcc_lo, exec_lo, s11
	s_cbranch_vccz .LBB151_30
; %bb.17:                               ;   in Loop: Header=BB151_6 Depth=1
	global_load_b32 v24, v[22:23], off
	s_wait_loadcnt 0x0
	v_fma_f32 v24, s33, v24, v16
	global_store_b32 v[22:23], v24, off
	s_cbranch_execnz .LBB151_19
.LBB151_18:                             ;   in Loop: Header=BB151_6 Depth=1
	global_store_b32 v[22:23], v16, off
.LBB151_19:                             ;   in Loop: Header=BB151_6 Depth=1
	s_wait_xcnt 0x0
	s_or_b32 exec_lo, exec_lo, s15
	s_and_saveexec_b32 s15, s13
	s_cbranch_execz .LBB151_23
; %bb.20:                               ;   in Loop: Header=BB151_6 Depth=1
	v_mul_f32_e32 v16, s34, v25
	v_lshl_add_u64 v[20:21], v[10:11], 2, v[20:21]
	s_and_not1_b32 vcc_lo, exec_lo, s11
	s_cbranch_vccnz .LBB151_31
; %bb.21:                               ;   in Loop: Header=BB151_6 Depth=1
	global_load_b32 v22, v[20:21], off
	s_wait_loadcnt 0x0
	v_fma_f32 v22, s33, v22, v16
	global_store_b32 v[20:21], v22, off
	s_cbranch_execnz .LBB151_23
.LBB151_22:                             ;   in Loop: Header=BB151_6 Depth=1
	global_store_b32 v[20:21], v16, off
.LBB151_23:                             ;   in Loop: Header=BB151_6 Depth=1
	s_wait_xcnt 0x0
	s_or_b32 exec_lo, exec_lo, s15
	v_lshl_add_u64 v[20:21], v[6:7], 2, s[2:3]
	s_and_saveexec_b32 s2, s4
	s_cbranch_execz .LBB151_27
; %bb.24:                               ;   in Loop: Header=BB151_6 Depth=1
	v_mul_f32_e32 v16, s34, v18
	s_delay_alu instid0(VALU_DEP_2)
	v_lshl_add_u64 v[22:23], v[8:9], 2, v[20:21]
	s_and_not1_b32 vcc_lo, exec_lo, s11
	s_cbranch_vccnz .LBB151_32
; %bb.25:                               ;   in Loop: Header=BB151_6 Depth=1
	global_load_b32 v18, v[22:23], off
	s_wait_loadcnt 0x0
	v_fma_f32 v18, s33, v18, v16
	global_store_b32 v[22:23], v18, off
	s_cbranch_execnz .LBB151_27
.LBB151_26:                             ;   in Loop: Header=BB151_6 Depth=1
	global_store_b32 v[22:23], v16, off
.LBB151_27:                             ;   in Loop: Header=BB151_6 Depth=1
	s_wait_xcnt 0x0
	s_or_b32 exec_lo, exec_lo, s2
	s_and_saveexec_b32 s2, s5
	s_cbranch_execz .LBB151_5
; %bb.28:                               ;   in Loop: Header=BB151_6 Depth=1
	v_mul_f32_e32 v16, s34, v19
	v_lshl_add_u64 v[18:19], v[10:11], 2, v[20:21]
	s_and_not1_b32 vcc_lo, exec_lo, s11
	s_cbranch_vccnz .LBB151_33
; %bb.29:                               ;   in Loop: Header=BB151_6 Depth=1
	global_load_b32 v20, v[18:19], off
	s_wait_loadcnt 0x0
	v_fma_f32 v20, s33, v20, v16
	global_store_b32 v[18:19], v20, off
	s_cbranch_execnz .LBB151_5
	s_branch .LBB151_34
.LBB151_30:                             ;   in Loop: Header=BB151_6 Depth=1
	s_branch .LBB151_18
.LBB151_31:                             ;   in Loop: Header=BB151_6 Depth=1
	s_branch .LBB151_22
.LBB151_32:                             ;   in Loop: Header=BB151_6 Depth=1
	s_branch .LBB151_26
.LBB151_33:                             ;   in Loop: Header=BB151_6 Depth=1
.LBB151_34:                             ;   in Loop: Header=BB151_6 Depth=1
	global_store_b32 v[18:19], v16, off
	s_branch .LBB151_5
.LBB151_35:
	s_endpgm
	.section	.rodata,"a",@progbits
	.p2align	6, 0x0
	.amdhsa_kernel _ZL29rocblas_internal_gemmt_kernelIlLi16ELi32ELi8ELc67ELc84ELc85ELb0ELb0EfPKfS1_PfEviT_T9_T10_S3_lS5_S3_lS4_T11_S3_li
		.amdhsa_group_segment_fixed_size 2048
		.amdhsa_private_segment_fixed_size 0
		.amdhsa_kernarg_size 108
		.amdhsa_user_sgpr_count 2
		.amdhsa_user_sgpr_dispatch_ptr 0
		.amdhsa_user_sgpr_queue_ptr 0
		.amdhsa_user_sgpr_kernarg_segment_ptr 1
		.amdhsa_user_sgpr_dispatch_id 0
		.amdhsa_user_sgpr_kernarg_preload_length 0
		.amdhsa_user_sgpr_kernarg_preload_offset 0
		.amdhsa_user_sgpr_private_segment_size 0
		.amdhsa_wavefront_size32 1
		.amdhsa_uses_dynamic_stack 0
		.amdhsa_enable_private_segment 0
		.amdhsa_system_sgpr_workgroup_id_x 1
		.amdhsa_system_sgpr_workgroup_id_y 1
		.amdhsa_system_sgpr_workgroup_id_z 1
		.amdhsa_system_sgpr_workgroup_info 0
		.amdhsa_system_vgpr_workitem_id 1
		.amdhsa_next_free_vgpr 54
		.amdhsa_next_free_sgpr 35
		.amdhsa_named_barrier_count 0
		.amdhsa_reserve_vcc 1
		.amdhsa_float_round_mode_32 0
		.amdhsa_float_round_mode_16_64 0
		.amdhsa_float_denorm_mode_32 3
		.amdhsa_float_denorm_mode_16_64 3
		.amdhsa_fp16_overflow 0
		.amdhsa_memory_ordered 1
		.amdhsa_forward_progress 1
		.amdhsa_inst_pref_size 13
		.amdhsa_round_robin_scheduling 0
		.amdhsa_exception_fp_ieee_invalid_op 0
		.amdhsa_exception_fp_denorm_src 0
		.amdhsa_exception_fp_ieee_div_zero 0
		.amdhsa_exception_fp_ieee_overflow 0
		.amdhsa_exception_fp_ieee_underflow 0
		.amdhsa_exception_fp_ieee_inexact 0
		.amdhsa_exception_int_div_zero 0
	.end_amdhsa_kernel
	.section	.text._ZL29rocblas_internal_gemmt_kernelIlLi16ELi32ELi8ELc67ELc84ELc85ELb0ELb0EfPKfS1_PfEviT_T9_T10_S3_lS5_S3_lS4_T11_S3_li,"axG",@progbits,_ZL29rocblas_internal_gemmt_kernelIlLi16ELi32ELi8ELc67ELc84ELc85ELb0ELb0EfPKfS1_PfEviT_T9_T10_S3_lS5_S3_lS4_T11_S3_li,comdat
.Lfunc_end151:
	.size	_ZL29rocblas_internal_gemmt_kernelIlLi16ELi32ELi8ELc67ELc84ELc85ELb0ELb0EfPKfS1_PfEviT_T9_T10_S3_lS5_S3_lS4_T11_S3_li, .Lfunc_end151-_ZL29rocblas_internal_gemmt_kernelIlLi16ELi32ELi8ELc67ELc84ELc85ELb0ELb0EfPKfS1_PfEviT_T9_T10_S3_lS5_S3_lS4_T11_S3_li
                                        ; -- End function
	.set _ZL29rocblas_internal_gemmt_kernelIlLi16ELi32ELi8ELc67ELc84ELc85ELb0ELb0EfPKfS1_PfEviT_T9_T10_S3_lS5_S3_lS4_T11_S3_li.num_vgpr, 54
	.set _ZL29rocblas_internal_gemmt_kernelIlLi16ELi32ELi8ELc67ELc84ELc85ELb0ELb0EfPKfS1_PfEviT_T9_T10_S3_lS5_S3_lS4_T11_S3_li.num_agpr, 0
	.set _ZL29rocblas_internal_gemmt_kernelIlLi16ELi32ELi8ELc67ELc84ELc85ELb0ELb0EfPKfS1_PfEviT_T9_T10_S3_lS5_S3_lS4_T11_S3_li.numbered_sgpr, 35
	.set _ZL29rocblas_internal_gemmt_kernelIlLi16ELi32ELi8ELc67ELc84ELc85ELb0ELb0EfPKfS1_PfEviT_T9_T10_S3_lS5_S3_lS4_T11_S3_li.num_named_barrier, 0
	.set _ZL29rocblas_internal_gemmt_kernelIlLi16ELi32ELi8ELc67ELc84ELc85ELb0ELb0EfPKfS1_PfEviT_T9_T10_S3_lS5_S3_lS4_T11_S3_li.private_seg_size, 0
	.set _ZL29rocblas_internal_gemmt_kernelIlLi16ELi32ELi8ELc67ELc84ELc85ELb0ELb0EfPKfS1_PfEviT_T9_T10_S3_lS5_S3_lS4_T11_S3_li.uses_vcc, 1
	.set _ZL29rocblas_internal_gemmt_kernelIlLi16ELi32ELi8ELc67ELc84ELc85ELb0ELb0EfPKfS1_PfEviT_T9_T10_S3_lS5_S3_lS4_T11_S3_li.uses_flat_scratch, 0
	.set _ZL29rocblas_internal_gemmt_kernelIlLi16ELi32ELi8ELc67ELc84ELc85ELb0ELb0EfPKfS1_PfEviT_T9_T10_S3_lS5_S3_lS4_T11_S3_li.has_dyn_sized_stack, 0
	.set _ZL29rocblas_internal_gemmt_kernelIlLi16ELi32ELi8ELc67ELc84ELc85ELb0ELb0EfPKfS1_PfEviT_T9_T10_S3_lS5_S3_lS4_T11_S3_li.has_recursion, 0
	.set _ZL29rocblas_internal_gemmt_kernelIlLi16ELi32ELi8ELc67ELc84ELc85ELb0ELb0EfPKfS1_PfEviT_T9_T10_S3_lS5_S3_lS4_T11_S3_li.has_indirect_call, 0
	.section	.AMDGPU.csdata,"",@progbits
; Kernel info:
; codeLenInByte = 1596
; TotalNumSgprs: 37
; NumVgprs: 54
; ScratchSize: 0
; MemoryBound: 0
; FloatMode: 240
; IeeeMode: 1
; LDSByteSize: 2048 bytes/workgroup (compile time only)
; SGPRBlocks: 0
; VGPRBlocks: 3
; NumSGPRsForWavesPerEU: 37
; NumVGPRsForWavesPerEU: 54
; NamedBarCnt: 0
; Occupancy: 16
; WaveLimiterHint : 0
; COMPUTE_PGM_RSRC2:SCRATCH_EN: 0
; COMPUTE_PGM_RSRC2:USER_SGPR: 2
; COMPUTE_PGM_RSRC2:TRAP_HANDLER: 0
; COMPUTE_PGM_RSRC2:TGID_X_EN: 1
; COMPUTE_PGM_RSRC2:TGID_Y_EN: 1
; COMPUTE_PGM_RSRC2:TGID_Z_EN: 1
; COMPUTE_PGM_RSRC2:TIDIG_COMP_CNT: 1
	.section	.text._ZL29rocblas_internal_gemmt_kernelIlLi16ELi32ELi8ELc67ELc67ELc85ELb0ELb0EfPKfS1_PfEviT_T9_T10_S3_lS5_S3_lS4_T11_S3_li,"axG",@progbits,_ZL29rocblas_internal_gemmt_kernelIlLi16ELi32ELi8ELc67ELc67ELc85ELb0ELb0EfPKfS1_PfEviT_T9_T10_S3_lS5_S3_lS4_T11_S3_li,comdat
	.globl	_ZL29rocblas_internal_gemmt_kernelIlLi16ELi32ELi8ELc67ELc67ELc85ELb0ELb0EfPKfS1_PfEviT_T9_T10_S3_lS5_S3_lS4_T11_S3_li ; -- Begin function _ZL29rocblas_internal_gemmt_kernelIlLi16ELi32ELi8ELc67ELc67ELc85ELb0ELb0EfPKfS1_PfEviT_T9_T10_S3_lS5_S3_lS4_T11_S3_li
	.p2align	8
	.type	_ZL29rocblas_internal_gemmt_kernelIlLi16ELi32ELi8ELc67ELc67ELc85ELb0ELb0EfPKfS1_PfEviT_T9_T10_S3_lS5_S3_lS4_T11_S3_li,@function
_ZL29rocblas_internal_gemmt_kernelIlLi16ELi32ELi8ELc67ELc67ELc85ELb0ELb0EfPKfS1_PfEviT_T9_T10_S3_lS5_S3_lS4_T11_S3_li: ; @_ZL29rocblas_internal_gemmt_kernelIlLi16ELi32ELi8ELc67ELc67ELc85ELb0ELb0EfPKfS1_PfEviT_T9_T10_S3_lS5_S3_lS4_T11_S3_li
; %bb.0:
	s_clause 0x1
	s_load_b256 s[24:31], s[0:1], 0x48
	s_load_b512 s[8:23], s[0:1], 0x8
	s_wait_kmcnt 0x0
	s_load_b32 s33, s[24:25], 0x0
	s_load_b32 s34, s[10:11], 0x0
	s_wait_kmcnt 0x0
	s_cmp_neq_f32 s33, 1.0
	s_cselect_b32 s2, -1, 0
	s_delay_alu instid0(SALU_CYCLE_1)
	s_and_b32 vcc_lo, exec_lo, s2
	s_cbranch_vccnz .LBB152_2
; %bb.1:
	s_cmp_lg_u64 s[8:9], 0
	s_cselect_b32 s2, -1, 0
	s_cmp_neq_f32 s34, 0
	s_cselect_b32 s3, -1, 0
	s_delay_alu instid0(SALU_CYCLE_1)
	s_and_b32 s2, s2, s3
.LBB152_2:
	s_delay_alu instid0(SALU_CYCLE_1)
	s_and_not1_b32 vcc_lo, exec_lo, s2
	s_cbranch_vccnz .LBB152_35
; %bb.3:
	s_load_b32 s10, s[0:1], 0x68
	s_bfe_u32 s2, ttmp6, 0x40014
	s_lshr_b32 s3, ttmp7, 16
	s_add_co_i32 s2, s2, 1
	s_bfe_u32 s5, ttmp6, 0x40008
	s_mul_i32 s4, s3, s2
	s_getreg_b32 s2, hwreg(HW_REG_IB_STS2, 6, 4)
	s_add_co_i32 s5, s5, s4
	s_cmp_eq_u32 s2, 0
	s_mov_b32 s7, 0
	s_cselect_b32 s6, s3, s5
	s_wait_kmcnt 0x0
	s_cmp_ge_u32 s6, s10
	s_cbranch_scc1 .LBB152_35
; %bb.4:
	s_bfe_u32 s3, ttmp6, 0x4000c
	s_bfe_u32 s5, ttmp6, 0x40010
	v_and_b32_e32 v8, 0x3ff, v0
	v_bfe_u32 v2, v0, 10, 10
	s_add_co_i32 s3, s3, 1
	s_and_b32 s11, ttmp7, 0xffff
	s_add_co_i32 s5, s5, 1
	s_and_b32 s4, ttmp6, 15
	s_mul_i32 s3, ttmp9, s3
	s_mul_i32 s5, s11, s5
	s_bfe_u32 s24, ttmp6, 0x40004
	v_lshl_add_u32 v4, v2, 4, v8
	s_add_co_i32 s4, s4, s3
	s_add_co_i32 s24, s24, s5
	s_cmp_eq_u32 s2, 0
	v_lshl_add_u32 v3, v2, 5, 0x400
	s_cselect_b32 s3, s11, s24
	s_cselect_b32 s2, ttmp9, s4
	s_lshl_b32 s3, s3, 5
	s_delay_alu instid0(SALU_CYCLE_1) | instskip(SKIP_3) | instid1(VALU_DEP_2)
	v_dual_add_nc_u32 v14, s3, v2 :: v_dual_bitop2_b32 v9, 31, v4 bitop3:0x40
	s_lshl_b32 s2, s2, 5
	s_load_b32 s4, s[0:1], 0x0
	v_dual_lshrrev_b32 v2, 5, v4 :: v_dual_lshrrev_b32 v11, 3, v4
	v_dual_add_nc_u32 v18, 16, v14 :: v_dual_bitop2_b32 v12, s2, v9 bitop3:0x54
	v_dual_ashrrev_i32 v15, 31, v14 :: v_dual_bitop2_b32 v0, 7, v0 bitop3:0x40
	v_dual_lshlrev_b32 v1, 2, v8 :: v_dual_add_nc_u32 v8, s2, v8
	s_delay_alu instid0(VALU_DEP_3) | instskip(NEXT) | instid1(VALU_DEP_3)
	v_dual_ashrrev_i32 v13, 31, v12 :: v_dual_ashrrev_i32 v19, 31, v18
	v_mul_u64_e32 v[4:5], s[28:29], v[14:15]
	s_delay_alu instid0(VALU_DEP_4) | instskip(NEXT) | instid1(VALU_DEP_3)
	v_dual_lshlrev_b32 v10, 2, v0 :: v_dual_add_nc_u32 v20, s3, v11
	v_mul_u64_e32 v[16:17], s[14:15], v[12:13]
	s_delay_alu instid0(VALU_DEP_4) | instskip(SKIP_1) | instid1(VALU_DEP_3)
	v_mul_u64_e32 v[6:7], s[28:29], v[18:19]
	s_cmp_neq_f32 s34, 0
	v_lshl_or_b32 v11, v11, 5, v10
	v_add_nc_u32_e32 v10, 16, v8
	v_cmp_le_i32_e32 vcc_lo, v8, v14
	s_wait_kmcnt 0x0
	v_cmp_gt_i32_e64 s2, s4, v14
	s_cselect_b32 s24, -1, 0
	s_cmp_neq_f32 s33, 0
	v_dual_lshlrev_b32 v13, 2, v9 :: v_dual_ashrrev_i32 v9, 31, v8
	v_cmp_le_i32_e64 s3, v10, v14
	v_cmp_gt_i64_e64 s15, s[8:9], 0
	v_cmp_gt_i32_e64 s0, s4, v12
	v_cmp_gt_i32_e64 s1, s4, v20
	s_cselect_b32 s11, -1, 0
	s_and_b32 s14, s2, vcc_lo
	v_cmp_gt_i32_e32 vcc_lo, s4, v18
	v_cmp_le_i32_e64 s4, v8, v18
	v_lshl_or_b32 v26, v2, 7, v13
	v_add_nc_u32_e32 v27, 0x400, v11
	s_and_b32 s4, vcc_lo, s4
	v_lshl_add_u64 v[14:15], v[16:17], 2, s[12:13]
	v_dual_mov_b32 v17, 0 :: v_dual_ashrrev_i32 v21, 31, v20
	v_ashrrev_i32_e32 v11, 31, v10
	v_cmp_le_i32_e64 s5, v10, v18
	s_and_b32 s12, s24, s15
	s_and_b32 s13, s2, s3
	v_lshl_add_u64 v[12:13], v[20:21], 2, s[18:19]
	s_and_b32 s5, vcc_lo, s5
	s_branch .LBB152_6
.LBB152_5:                              ;   in Loop: Header=BB152_6 Depth=1
	s_wait_xcnt 0x0
	s_or_b32 exec_lo, exec_lo, s2
	s_add_co_i32 s6, s6, 0x10000
	s_delay_alu instid0(SALU_CYCLE_1)
	s_cmp_lt_u32 s6, s10
	s_cbranch_scc0 .LBB152_35
.LBB152_6:                              ; =>This Loop Header: Depth=1
                                        ;     Child Loop BB152_9 Depth 2
	v_dual_mov_b32 v25, v17 :: v_dual_mov_b32 v24, v17
	v_dual_mov_b32 v19, v17 :: v_dual_mov_b32 v18, v17
	s_and_not1_b32 vcc_lo, exec_lo, s12
	s_cbranch_vccnz .LBB152_15
; %bb.7:                                ;   in Loop: Header=BB152_6 Depth=1
	v_mov_b32_e32 v18, 0
	s_mul_u64 s[2:3], s[16:17], s[6:7]
	s_mul_u64 s[18:19], s[22:23], s[6:7]
	v_lshl_add_u64 v[20:21], s[2:3], 2, v[14:15]
	v_lshl_add_u64 v[22:23], s[18:19], 2, v[12:13]
	v_dual_mov_b32 v19, v18 :: v_dual_mov_b32 v24, v18
	v_mov_b32_e32 v25, v18
	s_mov_b64 s[2:3], 0
	s_branch .LBB152_9
.LBB152_8:                              ;   in Loop: Header=BB152_9 Depth=2
	s_wait_xcnt 0x0
	s_or_b32 exec_lo, exec_lo, s15
	s_wait_loadcnt 0x0
	ds_store_b32 v27, v29
	s_wait_dscnt 0x0
	s_barrier_signal -1
	s_barrier_wait -1
	ds_load_b128 v[28:31], v3
	ds_load_2addr_b32 v[44:45], v1 offset1:16
	ds_load_b128 v[32:35], v3 offset:512
	ds_load_2addr_b32 v[46:47], v1 offset0:32 offset1:48
	ds_load_2addr_b32 v[48:49], v1 offset0:64 offset1:80
	ds_load_2addr_b32 v[50:51], v1 offset0:96 offset1:112
	ds_load_b128 v[36:39], v3 offset:16
	ds_load_2addr_b32 v[52:53], v1 offset0:128 offset1:144
	ds_load_b128 v[40:43], v3 offset:528
	s_add_nc_u64 s[2:3], s[2:3], 8
	s_delay_alu instid0(SALU_CYCLE_1)
	v_cmp_gt_i64_e64 s15, s[8:9], s[2:3]
	s_and_b32 vcc_lo, exec_lo, s15
	s_wait_dscnt 0x8
	v_mov_b32_e32 v16, v31
	s_wait_dscnt 0x7
	v_pk_fma_f32 v[24:25], v[44:45], v[28:29], v[24:25] op_sel_hi:[1,0,1]
	s_wait_dscnt 0x6
	v_pk_fma_f32 v[18:19], v[44:45], v[32:33], v[18:19] op_sel_hi:[1,0,1]
	ds_load_2addr_b32 v[44:45], v1 offset0:160 offset1:176
	s_wait_dscnt 0x6
	v_pk_fma_f32 v[24:25], v[46:47], v[28:29], v[24:25] op_sel:[0,1,0]
	v_pk_fma_f32 v[18:19], v[46:47], v[32:33], v[18:19] op_sel:[0,1,0]
	ds_load_2addr_b32 v[28:29], v1 offset0:192 offset1:208
	v_mov_b32_e32 v32, v35
	s_wait_dscnt 0x6
	v_pk_fma_f32 v[24:25], v[48:49], v[30:31], v[24:25] op_sel_hi:[1,0,1]
	v_pk_fma_f32 v[18:19], v[48:49], v[34:35], v[18:19] op_sel_hi:[1,0,1]
	ds_load_2addr_b32 v[30:31], v1 offset0:224 offset1:240
	s_wait_dscnt 0x0
	s_barrier_signal -1
	v_pk_fma_f32 v[24:25], v[50:51], v[16:17], v[24:25] op_sel_hi:[1,0,1]
	v_pk_fma_f32 v[18:19], v[50:51], v[32:33], v[18:19] op_sel_hi:[1,0,1]
	v_dual_mov_b32 v16, v39 :: v_dual_mov_b32 v32, v43
	s_barrier_wait -1
	s_delay_alu instid0(VALU_DEP_3) | instskip(NEXT) | instid1(VALU_DEP_3)
	v_pk_fma_f32 v[24:25], v[52:53], v[36:37], v[24:25] op_sel_hi:[1,0,1]
	v_pk_fma_f32 v[18:19], v[52:53], v[40:41], v[18:19] op_sel_hi:[1,0,1]
	s_delay_alu instid0(VALU_DEP_2) | instskip(NEXT) | instid1(VALU_DEP_2)
	v_pk_fma_f32 v[24:25], v[44:45], v[36:37], v[24:25] op_sel:[0,1,0]
	v_pk_fma_f32 v[18:19], v[44:45], v[40:41], v[18:19] op_sel:[0,1,0]
	s_delay_alu instid0(VALU_DEP_2) | instskip(NEXT) | instid1(VALU_DEP_2)
	v_pk_fma_f32 v[24:25], v[28:29], v[38:39], v[24:25] op_sel_hi:[1,0,1]
	v_pk_fma_f32 v[18:19], v[28:29], v[42:43], v[18:19] op_sel_hi:[1,0,1]
	s_delay_alu instid0(VALU_DEP_2) | instskip(NEXT) | instid1(VALU_DEP_2)
	v_pk_fma_f32 v[24:25], v[30:31], v[16:17], v[24:25] op_sel_hi:[1,0,1]
	v_pk_fma_f32 v[18:19], v[30:31], v[32:33], v[18:19] op_sel_hi:[1,0,1]
	s_cbranch_vccz .LBB152_15
.LBB152_9:                              ;   Parent Loop BB152_6 Depth=1
                                        ; =>  This Inner Loop Header: Depth=2
	v_mov_b32_e32 v28, 0
	s_and_saveexec_b32 s15, s0
	s_cbranch_execz .LBB152_13
; %bb.10:                               ;   in Loop: Header=BB152_9 Depth=2
	v_dual_add_nc_u32 v16, s2, v2 :: v_dual_mov_b32 v28, 0
	s_mov_b32 s18, exec_lo
	s_delay_alu instid0(VALU_DEP_1)
	v_cmpx_gt_u64_e64 s[8:9], v[16:17]
	s_cbranch_execz .LBB152_12
; %bb.11:                               ;   in Loop: Header=BB152_9 Depth=2
	v_lshl_add_u64 v[28:29], v[16:17], 2, v[20:21]
	global_load_b32 v28, v[28:29], off
.LBB152_12:                             ;   in Loop: Header=BB152_9 Depth=2
	s_wait_xcnt 0x0
	s_or_b32 exec_lo, exec_lo, s18
.LBB152_13:                             ;   in Loop: Header=BB152_9 Depth=2
	s_delay_alu instid0(SALU_CYCLE_1)
	s_or_b32 exec_lo, exec_lo, s15
	v_dual_mov_b32 v29, 0 :: v_dual_add_nc_u32 v16, s2, v0
	s_wait_loadcnt 0x0
	ds_store_b32 v26, v28
	v_cmp_gt_u64_e32 vcc_lo, s[8:9], v[16:17]
	s_and_b32 s18, vcc_lo, s1
	s_delay_alu instid0(SALU_CYCLE_1)
	s_and_saveexec_b32 s15, s18
	s_cbranch_execz .LBB152_8
; %bb.14:                               ;   in Loop: Header=BB152_9 Depth=2
	v_mul_u64_e32 v[28:29], s[20:21], v[16:17]
	s_delay_alu instid0(VALU_DEP_1)
	v_lshl_add_u64 v[28:29], v[28:29], 2, v[22:23]
	global_load_b32 v29, v[28:29], off
	s_branch .LBB152_8
.LBB152_15:                             ;   in Loop: Header=BB152_6 Depth=1
	s_mul_u64 s[2:3], s[30:31], s[6:7]
	s_delay_alu instid0(SALU_CYCLE_1) | instskip(NEXT) | instid1(SALU_CYCLE_1)
	s_lshl_b64 s[2:3], s[2:3], 2
	s_add_nc_u64 s[2:3], s[26:27], s[2:3]
	s_delay_alu instid0(SALU_CYCLE_1)
	v_lshl_add_u64 v[20:21], v[4:5], 2, s[2:3]
	s_and_saveexec_b32 s15, s14
	s_cbranch_execz .LBB152_19
; %bb.16:                               ;   in Loop: Header=BB152_6 Depth=1
	v_mul_f32_e32 v16, s34, v24
	s_delay_alu instid0(VALU_DEP_2)
	v_lshl_add_u64 v[22:23], v[8:9], 2, v[20:21]
	s_and_b32 vcc_lo, exec_lo, s11
	s_cbranch_vccz .LBB152_30
; %bb.17:                               ;   in Loop: Header=BB152_6 Depth=1
	global_load_b32 v24, v[22:23], off
	s_wait_loadcnt 0x0
	v_fma_f32 v24, s33, v24, v16
	global_store_b32 v[22:23], v24, off
	s_cbranch_execnz .LBB152_19
.LBB152_18:                             ;   in Loop: Header=BB152_6 Depth=1
	global_store_b32 v[22:23], v16, off
.LBB152_19:                             ;   in Loop: Header=BB152_6 Depth=1
	s_wait_xcnt 0x0
	s_or_b32 exec_lo, exec_lo, s15
	s_and_saveexec_b32 s15, s13
	s_cbranch_execz .LBB152_23
; %bb.20:                               ;   in Loop: Header=BB152_6 Depth=1
	v_mul_f32_e32 v16, s34, v25
	v_lshl_add_u64 v[20:21], v[10:11], 2, v[20:21]
	s_and_not1_b32 vcc_lo, exec_lo, s11
	s_cbranch_vccnz .LBB152_31
; %bb.21:                               ;   in Loop: Header=BB152_6 Depth=1
	global_load_b32 v22, v[20:21], off
	s_wait_loadcnt 0x0
	v_fma_f32 v22, s33, v22, v16
	global_store_b32 v[20:21], v22, off
	s_cbranch_execnz .LBB152_23
.LBB152_22:                             ;   in Loop: Header=BB152_6 Depth=1
	global_store_b32 v[20:21], v16, off
.LBB152_23:                             ;   in Loop: Header=BB152_6 Depth=1
	s_wait_xcnt 0x0
	s_or_b32 exec_lo, exec_lo, s15
	v_lshl_add_u64 v[20:21], v[6:7], 2, s[2:3]
	s_and_saveexec_b32 s2, s4
	s_cbranch_execz .LBB152_27
; %bb.24:                               ;   in Loop: Header=BB152_6 Depth=1
	v_mul_f32_e32 v16, s34, v18
	s_delay_alu instid0(VALU_DEP_2)
	v_lshl_add_u64 v[22:23], v[8:9], 2, v[20:21]
	s_and_not1_b32 vcc_lo, exec_lo, s11
	s_cbranch_vccnz .LBB152_32
; %bb.25:                               ;   in Loop: Header=BB152_6 Depth=1
	global_load_b32 v18, v[22:23], off
	s_wait_loadcnt 0x0
	v_fma_f32 v18, s33, v18, v16
	global_store_b32 v[22:23], v18, off
	s_cbranch_execnz .LBB152_27
.LBB152_26:                             ;   in Loop: Header=BB152_6 Depth=1
	global_store_b32 v[22:23], v16, off
.LBB152_27:                             ;   in Loop: Header=BB152_6 Depth=1
	s_wait_xcnt 0x0
	s_or_b32 exec_lo, exec_lo, s2
	s_and_saveexec_b32 s2, s5
	s_cbranch_execz .LBB152_5
; %bb.28:                               ;   in Loop: Header=BB152_6 Depth=1
	v_mul_f32_e32 v16, s34, v19
	v_lshl_add_u64 v[18:19], v[10:11], 2, v[20:21]
	s_and_not1_b32 vcc_lo, exec_lo, s11
	s_cbranch_vccnz .LBB152_33
; %bb.29:                               ;   in Loop: Header=BB152_6 Depth=1
	global_load_b32 v20, v[18:19], off
	s_wait_loadcnt 0x0
	v_fma_f32 v20, s33, v20, v16
	global_store_b32 v[18:19], v20, off
	s_cbranch_execnz .LBB152_5
	s_branch .LBB152_34
.LBB152_30:                             ;   in Loop: Header=BB152_6 Depth=1
	s_branch .LBB152_18
.LBB152_31:                             ;   in Loop: Header=BB152_6 Depth=1
	s_branch .LBB152_22
.LBB152_32:                             ;   in Loop: Header=BB152_6 Depth=1
	s_branch .LBB152_26
.LBB152_33:                             ;   in Loop: Header=BB152_6 Depth=1
.LBB152_34:                             ;   in Loop: Header=BB152_6 Depth=1
	global_store_b32 v[18:19], v16, off
	s_branch .LBB152_5
.LBB152_35:
	s_endpgm
	.section	.rodata,"a",@progbits
	.p2align	6, 0x0
	.amdhsa_kernel _ZL29rocblas_internal_gemmt_kernelIlLi16ELi32ELi8ELc67ELc67ELc85ELb0ELb0EfPKfS1_PfEviT_T9_T10_S3_lS5_S3_lS4_T11_S3_li
		.amdhsa_group_segment_fixed_size 2048
		.amdhsa_private_segment_fixed_size 0
		.amdhsa_kernarg_size 108
		.amdhsa_user_sgpr_count 2
		.amdhsa_user_sgpr_dispatch_ptr 0
		.amdhsa_user_sgpr_queue_ptr 0
		.amdhsa_user_sgpr_kernarg_segment_ptr 1
		.amdhsa_user_sgpr_dispatch_id 0
		.amdhsa_user_sgpr_kernarg_preload_length 0
		.amdhsa_user_sgpr_kernarg_preload_offset 0
		.amdhsa_user_sgpr_private_segment_size 0
		.amdhsa_wavefront_size32 1
		.amdhsa_uses_dynamic_stack 0
		.amdhsa_enable_private_segment 0
		.amdhsa_system_sgpr_workgroup_id_x 1
		.amdhsa_system_sgpr_workgroup_id_y 1
		.amdhsa_system_sgpr_workgroup_id_z 1
		.amdhsa_system_sgpr_workgroup_info 0
		.amdhsa_system_vgpr_workitem_id 1
		.amdhsa_next_free_vgpr 54
		.amdhsa_next_free_sgpr 35
		.amdhsa_named_barrier_count 0
		.amdhsa_reserve_vcc 1
		.amdhsa_float_round_mode_32 0
		.amdhsa_float_round_mode_16_64 0
		.amdhsa_float_denorm_mode_32 3
		.amdhsa_float_denorm_mode_16_64 3
		.amdhsa_fp16_overflow 0
		.amdhsa_memory_ordered 1
		.amdhsa_forward_progress 1
		.amdhsa_inst_pref_size 13
		.amdhsa_round_robin_scheduling 0
		.amdhsa_exception_fp_ieee_invalid_op 0
		.amdhsa_exception_fp_denorm_src 0
		.amdhsa_exception_fp_ieee_div_zero 0
		.amdhsa_exception_fp_ieee_overflow 0
		.amdhsa_exception_fp_ieee_underflow 0
		.amdhsa_exception_fp_ieee_inexact 0
		.amdhsa_exception_int_div_zero 0
	.end_amdhsa_kernel
	.section	.text._ZL29rocblas_internal_gemmt_kernelIlLi16ELi32ELi8ELc67ELc67ELc85ELb0ELb0EfPKfS1_PfEviT_T9_T10_S3_lS5_S3_lS4_T11_S3_li,"axG",@progbits,_ZL29rocblas_internal_gemmt_kernelIlLi16ELi32ELi8ELc67ELc67ELc85ELb0ELb0EfPKfS1_PfEviT_T9_T10_S3_lS5_S3_lS4_T11_S3_li,comdat
.Lfunc_end152:
	.size	_ZL29rocblas_internal_gemmt_kernelIlLi16ELi32ELi8ELc67ELc67ELc85ELb0ELb0EfPKfS1_PfEviT_T9_T10_S3_lS5_S3_lS4_T11_S3_li, .Lfunc_end152-_ZL29rocblas_internal_gemmt_kernelIlLi16ELi32ELi8ELc67ELc67ELc85ELb0ELb0EfPKfS1_PfEviT_T9_T10_S3_lS5_S3_lS4_T11_S3_li
                                        ; -- End function
	.set _ZL29rocblas_internal_gemmt_kernelIlLi16ELi32ELi8ELc67ELc67ELc85ELb0ELb0EfPKfS1_PfEviT_T9_T10_S3_lS5_S3_lS4_T11_S3_li.num_vgpr, 54
	.set _ZL29rocblas_internal_gemmt_kernelIlLi16ELi32ELi8ELc67ELc67ELc85ELb0ELb0EfPKfS1_PfEviT_T9_T10_S3_lS5_S3_lS4_T11_S3_li.num_agpr, 0
	.set _ZL29rocblas_internal_gemmt_kernelIlLi16ELi32ELi8ELc67ELc67ELc85ELb0ELb0EfPKfS1_PfEviT_T9_T10_S3_lS5_S3_lS4_T11_S3_li.numbered_sgpr, 35
	.set _ZL29rocblas_internal_gemmt_kernelIlLi16ELi32ELi8ELc67ELc67ELc85ELb0ELb0EfPKfS1_PfEviT_T9_T10_S3_lS5_S3_lS4_T11_S3_li.num_named_barrier, 0
	.set _ZL29rocblas_internal_gemmt_kernelIlLi16ELi32ELi8ELc67ELc67ELc85ELb0ELb0EfPKfS1_PfEviT_T9_T10_S3_lS5_S3_lS4_T11_S3_li.private_seg_size, 0
	.set _ZL29rocblas_internal_gemmt_kernelIlLi16ELi32ELi8ELc67ELc67ELc85ELb0ELb0EfPKfS1_PfEviT_T9_T10_S3_lS5_S3_lS4_T11_S3_li.uses_vcc, 1
	.set _ZL29rocblas_internal_gemmt_kernelIlLi16ELi32ELi8ELc67ELc67ELc85ELb0ELb0EfPKfS1_PfEviT_T9_T10_S3_lS5_S3_lS4_T11_S3_li.uses_flat_scratch, 0
	.set _ZL29rocblas_internal_gemmt_kernelIlLi16ELi32ELi8ELc67ELc67ELc85ELb0ELb0EfPKfS1_PfEviT_T9_T10_S3_lS5_S3_lS4_T11_S3_li.has_dyn_sized_stack, 0
	.set _ZL29rocblas_internal_gemmt_kernelIlLi16ELi32ELi8ELc67ELc67ELc85ELb0ELb0EfPKfS1_PfEviT_T9_T10_S3_lS5_S3_lS4_T11_S3_li.has_recursion, 0
	.set _ZL29rocblas_internal_gemmt_kernelIlLi16ELi32ELi8ELc67ELc67ELc85ELb0ELb0EfPKfS1_PfEviT_T9_T10_S3_lS5_S3_lS4_T11_S3_li.has_indirect_call, 0
	.section	.AMDGPU.csdata,"",@progbits
; Kernel info:
; codeLenInByte = 1596
; TotalNumSgprs: 37
; NumVgprs: 54
; ScratchSize: 0
; MemoryBound: 0
; FloatMode: 240
; IeeeMode: 1
; LDSByteSize: 2048 bytes/workgroup (compile time only)
; SGPRBlocks: 0
; VGPRBlocks: 3
; NumSGPRsForWavesPerEU: 37
; NumVGPRsForWavesPerEU: 54
; NamedBarCnt: 0
; Occupancy: 16
; WaveLimiterHint : 0
; COMPUTE_PGM_RSRC2:SCRATCH_EN: 0
; COMPUTE_PGM_RSRC2:USER_SGPR: 2
; COMPUTE_PGM_RSRC2:TRAP_HANDLER: 0
; COMPUTE_PGM_RSRC2:TGID_X_EN: 1
; COMPUTE_PGM_RSRC2:TGID_Y_EN: 1
; COMPUTE_PGM_RSRC2:TGID_Z_EN: 1
; COMPUTE_PGM_RSRC2:TIDIG_COMP_CNT: 1
	.section	.text._ZL29rocblas_internal_gemmt_kernelIlLi16ELi32ELi8ELc78ELc78ELc76ELb0ELb0EfPKfS1_PfEviT_T9_T10_S3_lS5_S3_lS4_T11_S3_li,"axG",@progbits,_ZL29rocblas_internal_gemmt_kernelIlLi16ELi32ELi8ELc78ELc78ELc76ELb0ELb0EfPKfS1_PfEviT_T9_T10_S3_lS5_S3_lS4_T11_S3_li,comdat
	.globl	_ZL29rocblas_internal_gemmt_kernelIlLi16ELi32ELi8ELc78ELc78ELc76ELb0ELb0EfPKfS1_PfEviT_T9_T10_S3_lS5_S3_lS4_T11_S3_li ; -- Begin function _ZL29rocblas_internal_gemmt_kernelIlLi16ELi32ELi8ELc78ELc78ELc76ELb0ELb0EfPKfS1_PfEviT_T9_T10_S3_lS5_S3_lS4_T11_S3_li
	.p2align	8
	.type	_ZL29rocblas_internal_gemmt_kernelIlLi16ELi32ELi8ELc78ELc78ELc76ELb0ELb0EfPKfS1_PfEviT_T9_T10_S3_lS5_S3_lS4_T11_S3_li,@function
_ZL29rocblas_internal_gemmt_kernelIlLi16ELi32ELi8ELc78ELc78ELc76ELb0ELb0EfPKfS1_PfEviT_T9_T10_S3_lS5_S3_lS4_T11_S3_li: ; @_ZL29rocblas_internal_gemmt_kernelIlLi16ELi32ELi8ELc78ELc78ELc76ELb0ELb0EfPKfS1_PfEviT_T9_T10_S3_lS5_S3_lS4_T11_S3_li
; %bb.0:
	s_clause 0x1
	s_load_b256 s[24:31], s[0:1], 0x48
	s_load_b512 s[8:23], s[0:1], 0x8
	s_wait_kmcnt 0x0
	s_load_b32 s33, s[24:25], 0x0
	s_load_b32 s34, s[10:11], 0x0
	s_wait_kmcnt 0x0
	s_cmp_neq_f32 s33, 1.0
	s_cselect_b32 s2, -1, 0
	s_delay_alu instid0(SALU_CYCLE_1)
	s_and_b32 vcc_lo, exec_lo, s2
	s_cbranch_vccnz .LBB153_2
; %bb.1:
	s_cmp_lg_u64 s[8:9], 0
	s_cselect_b32 s2, -1, 0
	s_cmp_neq_f32 s34, 0
	s_cselect_b32 s3, -1, 0
	s_delay_alu instid0(SALU_CYCLE_1)
	s_and_b32 s2, s2, s3
.LBB153_2:
	s_delay_alu instid0(SALU_CYCLE_1)
	s_and_not1_b32 vcc_lo, exec_lo, s2
	s_cbranch_vccnz .LBB153_35
; %bb.3:
	s_load_b32 s10, s[0:1], 0x68
	s_bfe_u32 s2, ttmp6, 0x40014
	s_lshr_b32 s3, ttmp7, 16
	s_add_co_i32 s2, s2, 1
	s_bfe_u32 s5, ttmp6, 0x40008
	s_mul_i32 s4, s3, s2
	s_getreg_b32 s2, hwreg(HW_REG_IB_STS2, 6, 4)
	s_add_co_i32 s5, s5, s4
	s_cmp_eq_u32 s2, 0
	s_mov_b32 s7, 0
	s_cselect_b32 s6, s3, s5
	s_wait_kmcnt 0x0
	s_cmp_ge_u32 s6, s10
	s_cbranch_scc1 .LBB153_35
; %bb.4:
	s_bfe_u32 s3, ttmp6, 0x4000c
	s_bfe_u32 s5, ttmp6, 0x40010
	v_and_b32_e32 v8, 0x3ff, v0
	v_bfe_u32 v2, v0, 10, 10
	s_add_co_i32 s3, s3, 1
	s_and_b32 s11, ttmp7, 0xffff
	s_add_co_i32 s5, s5, 1
	s_and_b32 s4, ttmp6, 15
	s_mul_i32 s3, ttmp9, s3
	s_mul_i32 s5, s11, s5
	s_bfe_u32 s24, ttmp6, 0x40004
	v_lshl_add_u32 v4, v2, 4, v8
	s_add_co_i32 s4, s4, s3
	s_add_co_i32 s24, s24, s5
	s_cmp_eq_u32 s2, 0
	v_lshl_add_u32 v3, v2, 5, 0x400
	s_cselect_b32 s2, s11, s24
	s_cselect_b32 s3, ttmp9, s4
	s_lshl_b32 s2, s2, 5
	s_delay_alu instid0(SALU_CYCLE_1) | instskip(SKIP_3) | instid1(VALU_DEP_3)
	v_dual_lshrrev_b32 v9, 3, v4 :: v_dual_add_nc_u32 v14, s2, v2
	v_and_b32_e32 v0, 7, v0
	s_load_b32 s4, s[0:1], 0x0
	v_dual_lshrrev_b32 v2, 5, v4 :: v_dual_bitop2_b32 v11, 31, v4 bitop3:0x40
	v_dual_add_nc_u32 v12, s2, v9 :: v_dual_add_nc_u32 v18, 16, v14
	s_delay_alu instid0(VALU_DEP_3) | instskip(SKIP_1) | instid1(VALU_DEP_3)
	v_dual_lshlrev_b32 v10, 2, v0 :: v_dual_ashrrev_i32 v15, 31, v14
	v_lshlrev_b32_e32 v1, 2, v8
	v_dual_ashrrev_i32 v13, 31, v12 :: v_dual_ashrrev_i32 v19, 31, v18
	s_wait_xcnt 0x0
	s_lshl_b32 s0, s3, 5
	v_mul_u64_e32 v[4:5], s[28:29], v[14:15]
	v_dual_add_nc_u32 v8, s0, v8 :: v_dual_bitop2_b32 v20, s0, v11 bitop3:0x54
	v_mul_u64_e32 v[16:17], s[20:21], v[12:13]
	v_mul_u64_e32 v[6:7], s[28:29], v[18:19]
	v_lshl_or_b32 v13, v9, 5, v10
	s_delay_alu instid0(VALU_DEP_4)
	v_add_nc_u32_e32 v10, 16, v8
	s_cmp_neq_f32 s34, 0
	v_dual_lshlrev_b32 v11, 2, v11 :: v_dual_ashrrev_i32 v9, 31, v8
	v_cmp_le_i32_e32 vcc_lo, v14, v8
	s_wait_kmcnt 0x0
	v_cmp_gt_i32_e64 s2, s4, v8
	v_cmp_le_i32_e64 s3, v14, v10
	s_cselect_b32 s20, -1, 0
	s_cmp_neq_f32 s33, 0
	v_cmp_gt_i64_e64 s24, s[8:9], 0
	v_cmp_gt_i32_e64 s0, s4, v20
	v_lshl_or_b32 v26, v2, 7, v11
	v_cmp_gt_i32_e64 s1, s4, v12
	v_add_nc_u32_e32 v27, 0x400, v13
	s_cselect_b32 s11, -1, 0
	v_lshl_add_u64 v[14:15], v[16:17], 2, s[18:19]
	v_dual_mov_b32 v17, 0 :: v_dual_ashrrev_i32 v21, 31, v20
	v_ashrrev_i32_e32 v11, 31, v10
	v_cmp_le_i32_e64 s5, v18, v10
	s_delay_alu instid0(VALU_DEP_3)
	v_lshl_add_u64 v[12:13], v[20:21], 2, s[12:13]
	s_and_b32 s12, vcc_lo, s2
	v_cmp_gt_i32_e32 vcc_lo, s4, v10
	v_cmp_le_i32_e64 s4, v18, v8
	s_and_b32 s13, s20, s24
	s_and_b32 s18, s3, vcc_lo
	s_and_b32 s4, s4, s2
	s_and_b32 s5, s5, vcc_lo
	s_branch .LBB153_6
.LBB153_5:                              ;   in Loop: Header=BB153_6 Depth=1
	s_wait_xcnt 0x0
	s_or_b32 exec_lo, exec_lo, s2
	s_add_co_i32 s6, s6, 0x10000
	s_delay_alu instid0(SALU_CYCLE_1)
	s_cmp_lt_u32 s6, s10
	s_cbranch_scc0 .LBB153_35
.LBB153_6:                              ; =>This Loop Header: Depth=1
                                        ;     Child Loop BB153_9 Depth 2
	v_dual_mov_b32 v25, v17 :: v_dual_mov_b32 v24, v17
	v_dual_mov_b32 v19, v17 :: v_dual_mov_b32 v18, v17
	s_and_not1_b32 vcc_lo, exec_lo, s13
	s_cbranch_vccnz .LBB153_15
; %bb.7:                                ;   in Loop: Header=BB153_6 Depth=1
	v_mov_b32_e32 v18, 0
	s_mul_u64 s[2:3], s[16:17], s[6:7]
	s_mul_u64 s[20:21], s[22:23], s[6:7]
	v_lshl_add_u64 v[20:21], s[2:3], 2, v[12:13]
	v_lshl_add_u64 v[22:23], s[20:21], 2, v[14:15]
	v_dual_mov_b32 v19, v18 :: v_dual_mov_b32 v24, v18
	v_mov_b32_e32 v25, v18
	s_mov_b64 s[2:3], 0
	s_branch .LBB153_9
.LBB153_8:                              ;   in Loop: Header=BB153_9 Depth=2
	s_wait_xcnt 0x0
	s_or_b32 exec_lo, exec_lo, s19
	s_wait_loadcnt 0x0
	ds_store_b32 v27, v29
	s_wait_dscnt 0x0
	s_barrier_signal -1
	s_barrier_wait -1
	ds_load_b128 v[28:31], v3
	ds_load_2addr_b32 v[44:45], v1 offset1:16
	ds_load_b128 v[32:35], v3 offset:512
	ds_load_2addr_b32 v[46:47], v1 offset0:32 offset1:48
	ds_load_2addr_b32 v[48:49], v1 offset0:64 offset1:80
	;; [unrolled: 1-line block ×3, first 2 shown]
	ds_load_b128 v[36:39], v3 offset:16
	ds_load_2addr_b32 v[52:53], v1 offset0:128 offset1:144
	ds_load_b128 v[40:43], v3 offset:528
	s_add_nc_u64 s[2:3], s[2:3], 8
	s_delay_alu instid0(SALU_CYCLE_1)
	v_cmp_gt_i64_e64 s19, s[8:9], s[2:3]
	s_and_b32 vcc_lo, exec_lo, s19
	s_wait_dscnt 0x8
	v_mov_b32_e32 v16, v31
	s_wait_dscnt 0x7
	v_pk_fma_f32 v[24:25], v[44:45], v[28:29], v[24:25] op_sel_hi:[1,0,1]
	s_wait_dscnt 0x6
	v_pk_fma_f32 v[18:19], v[44:45], v[32:33], v[18:19] op_sel_hi:[1,0,1]
	ds_load_2addr_b32 v[44:45], v1 offset0:160 offset1:176
	s_wait_dscnt 0x6
	v_pk_fma_f32 v[24:25], v[46:47], v[28:29], v[24:25] op_sel:[0,1,0]
	v_pk_fma_f32 v[18:19], v[46:47], v[32:33], v[18:19] op_sel:[0,1,0]
	ds_load_2addr_b32 v[28:29], v1 offset0:192 offset1:208
	v_mov_b32_e32 v32, v35
	s_wait_dscnt 0x6
	v_pk_fma_f32 v[24:25], v[48:49], v[30:31], v[24:25] op_sel_hi:[1,0,1]
	v_pk_fma_f32 v[18:19], v[48:49], v[34:35], v[18:19] op_sel_hi:[1,0,1]
	ds_load_2addr_b32 v[30:31], v1 offset0:224 offset1:240
	s_wait_dscnt 0x0
	s_barrier_signal -1
	v_pk_fma_f32 v[24:25], v[50:51], v[16:17], v[24:25] op_sel_hi:[1,0,1]
	v_pk_fma_f32 v[18:19], v[50:51], v[32:33], v[18:19] op_sel_hi:[1,0,1]
	v_dual_mov_b32 v16, v39 :: v_dual_mov_b32 v32, v43
	s_barrier_wait -1
	s_delay_alu instid0(VALU_DEP_3) | instskip(NEXT) | instid1(VALU_DEP_3)
	v_pk_fma_f32 v[24:25], v[52:53], v[36:37], v[24:25] op_sel_hi:[1,0,1]
	v_pk_fma_f32 v[18:19], v[52:53], v[40:41], v[18:19] op_sel_hi:[1,0,1]
	s_delay_alu instid0(VALU_DEP_2) | instskip(NEXT) | instid1(VALU_DEP_2)
	v_pk_fma_f32 v[24:25], v[44:45], v[36:37], v[24:25] op_sel:[0,1,0]
	v_pk_fma_f32 v[18:19], v[44:45], v[40:41], v[18:19] op_sel:[0,1,0]
	s_delay_alu instid0(VALU_DEP_2) | instskip(NEXT) | instid1(VALU_DEP_2)
	v_pk_fma_f32 v[24:25], v[28:29], v[38:39], v[24:25] op_sel_hi:[1,0,1]
	v_pk_fma_f32 v[18:19], v[28:29], v[42:43], v[18:19] op_sel_hi:[1,0,1]
	s_delay_alu instid0(VALU_DEP_2) | instskip(NEXT) | instid1(VALU_DEP_2)
	v_pk_fma_f32 v[24:25], v[30:31], v[16:17], v[24:25] op_sel_hi:[1,0,1]
	v_pk_fma_f32 v[18:19], v[30:31], v[32:33], v[18:19] op_sel_hi:[1,0,1]
	s_cbranch_vccz .LBB153_15
.LBB153_9:                              ;   Parent Loop BB153_6 Depth=1
                                        ; =>  This Inner Loop Header: Depth=2
	v_mov_b32_e32 v28, 0
	s_and_saveexec_b32 s19, s0
	s_cbranch_execz .LBB153_13
; %bb.10:                               ;   in Loop: Header=BB153_9 Depth=2
	v_dual_add_nc_u32 v16, s2, v2 :: v_dual_mov_b32 v28, 0
	s_mov_b32 s20, exec_lo
	s_delay_alu instid0(VALU_DEP_1)
	v_cmpx_gt_u64_e64 s[8:9], v[16:17]
	s_cbranch_execz .LBB153_12
; %bb.11:                               ;   in Loop: Header=BB153_9 Depth=2
	v_mul_u64_e32 v[28:29], s[14:15], v[16:17]
	s_delay_alu instid0(VALU_DEP_1)
	v_lshl_add_u64 v[28:29], v[28:29], 2, v[20:21]
	global_load_b32 v28, v[28:29], off
.LBB153_12:                             ;   in Loop: Header=BB153_9 Depth=2
	s_wait_xcnt 0x0
	s_or_b32 exec_lo, exec_lo, s20
.LBB153_13:                             ;   in Loop: Header=BB153_9 Depth=2
	s_delay_alu instid0(SALU_CYCLE_1)
	s_or_b32 exec_lo, exec_lo, s19
	v_dual_mov_b32 v29, 0 :: v_dual_add_nc_u32 v16, s2, v0
	s_wait_loadcnt 0x0
	ds_store_b32 v26, v28
	v_cmp_gt_u64_e32 vcc_lo, s[8:9], v[16:17]
	s_and_b32 s20, vcc_lo, s1
	s_delay_alu instid0(SALU_CYCLE_1)
	s_and_saveexec_b32 s19, s20
	s_cbranch_execz .LBB153_8
; %bb.14:                               ;   in Loop: Header=BB153_9 Depth=2
	v_lshl_add_u64 v[28:29], v[16:17], 2, v[22:23]
	global_load_b32 v29, v[28:29], off
	s_branch .LBB153_8
.LBB153_15:                             ;   in Loop: Header=BB153_6 Depth=1
	s_mul_u64 s[2:3], s[30:31], s[6:7]
	s_delay_alu instid0(SALU_CYCLE_1) | instskip(NEXT) | instid1(SALU_CYCLE_1)
	s_lshl_b64 s[2:3], s[2:3], 2
	s_add_nc_u64 s[2:3], s[26:27], s[2:3]
	s_delay_alu instid0(SALU_CYCLE_1)
	v_lshl_add_u64 v[20:21], v[4:5], 2, s[2:3]
	s_and_saveexec_b32 s19, s12
	s_cbranch_execz .LBB153_19
; %bb.16:                               ;   in Loop: Header=BB153_6 Depth=1
	v_mul_f32_e32 v16, s34, v24
	s_delay_alu instid0(VALU_DEP_2)
	v_lshl_add_u64 v[22:23], v[8:9], 2, v[20:21]
	s_and_b32 vcc_lo, exec_lo, s11
	s_cbranch_vccz .LBB153_30
; %bb.17:                               ;   in Loop: Header=BB153_6 Depth=1
	global_load_b32 v24, v[22:23], off
	s_wait_loadcnt 0x0
	v_fma_f32 v24, s33, v24, v16
	global_store_b32 v[22:23], v24, off
	s_cbranch_execnz .LBB153_19
.LBB153_18:                             ;   in Loop: Header=BB153_6 Depth=1
	global_store_b32 v[22:23], v16, off
.LBB153_19:                             ;   in Loop: Header=BB153_6 Depth=1
	s_wait_xcnt 0x0
	s_or_b32 exec_lo, exec_lo, s19
	s_and_saveexec_b32 s19, s18
	s_cbranch_execz .LBB153_23
; %bb.20:                               ;   in Loop: Header=BB153_6 Depth=1
	v_mul_f32_e32 v16, s34, v25
	v_lshl_add_u64 v[20:21], v[10:11], 2, v[20:21]
	s_and_not1_b32 vcc_lo, exec_lo, s11
	s_cbranch_vccnz .LBB153_31
; %bb.21:                               ;   in Loop: Header=BB153_6 Depth=1
	global_load_b32 v22, v[20:21], off
	s_wait_loadcnt 0x0
	v_fma_f32 v22, s33, v22, v16
	global_store_b32 v[20:21], v22, off
	s_cbranch_execnz .LBB153_23
.LBB153_22:                             ;   in Loop: Header=BB153_6 Depth=1
	global_store_b32 v[20:21], v16, off
.LBB153_23:                             ;   in Loop: Header=BB153_6 Depth=1
	s_wait_xcnt 0x0
	s_or_b32 exec_lo, exec_lo, s19
	v_lshl_add_u64 v[20:21], v[6:7], 2, s[2:3]
	s_and_saveexec_b32 s2, s4
	s_cbranch_execz .LBB153_27
; %bb.24:                               ;   in Loop: Header=BB153_6 Depth=1
	v_mul_f32_e32 v16, s34, v18
	s_delay_alu instid0(VALU_DEP_2)
	v_lshl_add_u64 v[22:23], v[8:9], 2, v[20:21]
	s_and_not1_b32 vcc_lo, exec_lo, s11
	s_cbranch_vccnz .LBB153_32
; %bb.25:                               ;   in Loop: Header=BB153_6 Depth=1
	global_load_b32 v18, v[22:23], off
	s_wait_loadcnt 0x0
	v_fma_f32 v18, s33, v18, v16
	global_store_b32 v[22:23], v18, off
	s_cbranch_execnz .LBB153_27
.LBB153_26:                             ;   in Loop: Header=BB153_6 Depth=1
	global_store_b32 v[22:23], v16, off
.LBB153_27:                             ;   in Loop: Header=BB153_6 Depth=1
	s_wait_xcnt 0x0
	s_or_b32 exec_lo, exec_lo, s2
	s_and_saveexec_b32 s2, s5
	s_cbranch_execz .LBB153_5
; %bb.28:                               ;   in Loop: Header=BB153_6 Depth=1
	v_mul_f32_e32 v16, s34, v19
	v_lshl_add_u64 v[18:19], v[10:11], 2, v[20:21]
	s_and_not1_b32 vcc_lo, exec_lo, s11
	s_cbranch_vccnz .LBB153_33
; %bb.29:                               ;   in Loop: Header=BB153_6 Depth=1
	global_load_b32 v20, v[18:19], off
	s_wait_loadcnt 0x0
	v_fma_f32 v20, s33, v20, v16
	global_store_b32 v[18:19], v20, off
	s_cbranch_execnz .LBB153_5
	s_branch .LBB153_34
.LBB153_30:                             ;   in Loop: Header=BB153_6 Depth=1
	s_branch .LBB153_18
.LBB153_31:                             ;   in Loop: Header=BB153_6 Depth=1
	s_branch .LBB153_22
.LBB153_32:                             ;   in Loop: Header=BB153_6 Depth=1
	s_branch .LBB153_26
.LBB153_33:                             ;   in Loop: Header=BB153_6 Depth=1
.LBB153_34:                             ;   in Loop: Header=BB153_6 Depth=1
	global_store_b32 v[18:19], v16, off
	s_branch .LBB153_5
.LBB153_35:
	s_endpgm
	.section	.rodata,"a",@progbits
	.p2align	6, 0x0
	.amdhsa_kernel _ZL29rocblas_internal_gemmt_kernelIlLi16ELi32ELi8ELc78ELc78ELc76ELb0ELb0EfPKfS1_PfEviT_T9_T10_S3_lS5_S3_lS4_T11_S3_li
		.amdhsa_group_segment_fixed_size 2048
		.amdhsa_private_segment_fixed_size 0
		.amdhsa_kernarg_size 108
		.amdhsa_user_sgpr_count 2
		.amdhsa_user_sgpr_dispatch_ptr 0
		.amdhsa_user_sgpr_queue_ptr 0
		.amdhsa_user_sgpr_kernarg_segment_ptr 1
		.amdhsa_user_sgpr_dispatch_id 0
		.amdhsa_user_sgpr_kernarg_preload_length 0
		.amdhsa_user_sgpr_kernarg_preload_offset 0
		.amdhsa_user_sgpr_private_segment_size 0
		.amdhsa_wavefront_size32 1
		.amdhsa_uses_dynamic_stack 0
		.amdhsa_enable_private_segment 0
		.amdhsa_system_sgpr_workgroup_id_x 1
		.amdhsa_system_sgpr_workgroup_id_y 1
		.amdhsa_system_sgpr_workgroup_id_z 1
		.amdhsa_system_sgpr_workgroup_info 0
		.amdhsa_system_vgpr_workitem_id 1
		.amdhsa_next_free_vgpr 54
		.amdhsa_next_free_sgpr 35
		.amdhsa_named_barrier_count 0
		.amdhsa_reserve_vcc 1
		.amdhsa_float_round_mode_32 0
		.amdhsa_float_round_mode_16_64 0
		.amdhsa_float_denorm_mode_32 3
		.amdhsa_float_denorm_mode_16_64 3
		.amdhsa_fp16_overflow 0
		.amdhsa_memory_ordered 1
		.amdhsa_forward_progress 1
		.amdhsa_inst_pref_size 13
		.amdhsa_round_robin_scheduling 0
		.amdhsa_exception_fp_ieee_invalid_op 0
		.amdhsa_exception_fp_denorm_src 0
		.amdhsa_exception_fp_ieee_div_zero 0
		.amdhsa_exception_fp_ieee_overflow 0
		.amdhsa_exception_fp_ieee_underflow 0
		.amdhsa_exception_fp_ieee_inexact 0
		.amdhsa_exception_int_div_zero 0
	.end_amdhsa_kernel
	.section	.text._ZL29rocblas_internal_gemmt_kernelIlLi16ELi32ELi8ELc78ELc78ELc76ELb0ELb0EfPKfS1_PfEviT_T9_T10_S3_lS5_S3_lS4_T11_S3_li,"axG",@progbits,_ZL29rocblas_internal_gemmt_kernelIlLi16ELi32ELi8ELc78ELc78ELc76ELb0ELb0EfPKfS1_PfEviT_T9_T10_S3_lS5_S3_lS4_T11_S3_li,comdat
.Lfunc_end153:
	.size	_ZL29rocblas_internal_gemmt_kernelIlLi16ELi32ELi8ELc78ELc78ELc76ELb0ELb0EfPKfS1_PfEviT_T9_T10_S3_lS5_S3_lS4_T11_S3_li, .Lfunc_end153-_ZL29rocblas_internal_gemmt_kernelIlLi16ELi32ELi8ELc78ELc78ELc76ELb0ELb0EfPKfS1_PfEviT_T9_T10_S3_lS5_S3_lS4_T11_S3_li
                                        ; -- End function
	.set _ZL29rocblas_internal_gemmt_kernelIlLi16ELi32ELi8ELc78ELc78ELc76ELb0ELb0EfPKfS1_PfEviT_T9_T10_S3_lS5_S3_lS4_T11_S3_li.num_vgpr, 54
	.set _ZL29rocblas_internal_gemmt_kernelIlLi16ELi32ELi8ELc78ELc78ELc76ELb0ELb0EfPKfS1_PfEviT_T9_T10_S3_lS5_S3_lS4_T11_S3_li.num_agpr, 0
	.set _ZL29rocblas_internal_gemmt_kernelIlLi16ELi32ELi8ELc78ELc78ELc76ELb0ELb0EfPKfS1_PfEviT_T9_T10_S3_lS5_S3_lS4_T11_S3_li.numbered_sgpr, 35
	.set _ZL29rocblas_internal_gemmt_kernelIlLi16ELi32ELi8ELc78ELc78ELc76ELb0ELb0EfPKfS1_PfEviT_T9_T10_S3_lS5_S3_lS4_T11_S3_li.num_named_barrier, 0
	.set _ZL29rocblas_internal_gemmt_kernelIlLi16ELi32ELi8ELc78ELc78ELc76ELb0ELb0EfPKfS1_PfEviT_T9_T10_S3_lS5_S3_lS4_T11_S3_li.private_seg_size, 0
	.set _ZL29rocblas_internal_gemmt_kernelIlLi16ELi32ELi8ELc78ELc78ELc76ELb0ELb0EfPKfS1_PfEviT_T9_T10_S3_lS5_S3_lS4_T11_S3_li.uses_vcc, 1
	.set _ZL29rocblas_internal_gemmt_kernelIlLi16ELi32ELi8ELc78ELc78ELc76ELb0ELb0EfPKfS1_PfEviT_T9_T10_S3_lS5_S3_lS4_T11_S3_li.uses_flat_scratch, 0
	.set _ZL29rocblas_internal_gemmt_kernelIlLi16ELi32ELi8ELc78ELc78ELc76ELb0ELb0EfPKfS1_PfEviT_T9_T10_S3_lS5_S3_lS4_T11_S3_li.has_dyn_sized_stack, 0
	.set _ZL29rocblas_internal_gemmt_kernelIlLi16ELi32ELi8ELc78ELc78ELc76ELb0ELb0EfPKfS1_PfEviT_T9_T10_S3_lS5_S3_lS4_T11_S3_li.has_recursion, 0
	.set _ZL29rocblas_internal_gemmt_kernelIlLi16ELi32ELi8ELc78ELc78ELc76ELb0ELb0EfPKfS1_PfEviT_T9_T10_S3_lS5_S3_lS4_T11_S3_li.has_indirect_call, 0
	.section	.AMDGPU.csdata,"",@progbits
; Kernel info:
; codeLenInByte = 1596
; TotalNumSgprs: 37
; NumVgprs: 54
; ScratchSize: 0
; MemoryBound: 0
; FloatMode: 240
; IeeeMode: 1
; LDSByteSize: 2048 bytes/workgroup (compile time only)
; SGPRBlocks: 0
; VGPRBlocks: 3
; NumSGPRsForWavesPerEU: 37
; NumVGPRsForWavesPerEU: 54
; NamedBarCnt: 0
; Occupancy: 16
; WaveLimiterHint : 0
; COMPUTE_PGM_RSRC2:SCRATCH_EN: 0
; COMPUTE_PGM_RSRC2:USER_SGPR: 2
; COMPUTE_PGM_RSRC2:TRAP_HANDLER: 0
; COMPUTE_PGM_RSRC2:TGID_X_EN: 1
; COMPUTE_PGM_RSRC2:TGID_Y_EN: 1
; COMPUTE_PGM_RSRC2:TGID_Z_EN: 1
; COMPUTE_PGM_RSRC2:TIDIG_COMP_CNT: 1
	.section	.text._ZL29rocblas_internal_gemmt_kernelIlLi16ELi32ELi8ELc78ELc84ELc76ELb0ELb0EfPKfS1_PfEviT_T9_T10_S3_lS5_S3_lS4_T11_S3_li,"axG",@progbits,_ZL29rocblas_internal_gemmt_kernelIlLi16ELi32ELi8ELc78ELc84ELc76ELb0ELb0EfPKfS1_PfEviT_T9_T10_S3_lS5_S3_lS4_T11_S3_li,comdat
	.globl	_ZL29rocblas_internal_gemmt_kernelIlLi16ELi32ELi8ELc78ELc84ELc76ELb0ELb0EfPKfS1_PfEviT_T9_T10_S3_lS5_S3_lS4_T11_S3_li ; -- Begin function _ZL29rocblas_internal_gemmt_kernelIlLi16ELi32ELi8ELc78ELc84ELc76ELb0ELb0EfPKfS1_PfEviT_T9_T10_S3_lS5_S3_lS4_T11_S3_li
	.p2align	8
	.type	_ZL29rocblas_internal_gemmt_kernelIlLi16ELi32ELi8ELc78ELc84ELc76ELb0ELb0EfPKfS1_PfEviT_T9_T10_S3_lS5_S3_lS4_T11_S3_li,@function
_ZL29rocblas_internal_gemmt_kernelIlLi16ELi32ELi8ELc78ELc84ELc76ELb0ELb0EfPKfS1_PfEviT_T9_T10_S3_lS5_S3_lS4_T11_S3_li: ; @_ZL29rocblas_internal_gemmt_kernelIlLi16ELi32ELi8ELc78ELc84ELc76ELb0ELb0EfPKfS1_PfEviT_T9_T10_S3_lS5_S3_lS4_T11_S3_li
; %bb.0:
	s_clause 0x1
	s_load_b256 s[24:31], s[0:1], 0x48
	s_load_b512 s[8:23], s[0:1], 0x8
	s_wait_kmcnt 0x0
	s_load_b32 s33, s[24:25], 0x0
	s_load_b32 s34, s[10:11], 0x0
	s_wait_kmcnt 0x0
	s_cmp_neq_f32 s33, 1.0
	s_cselect_b32 s2, -1, 0
	s_delay_alu instid0(SALU_CYCLE_1)
	s_and_b32 vcc_lo, exec_lo, s2
	s_cbranch_vccnz .LBB154_2
; %bb.1:
	s_cmp_lg_u64 s[8:9], 0
	s_cselect_b32 s2, -1, 0
	s_cmp_neq_f32 s34, 0
	s_cselect_b32 s3, -1, 0
	s_delay_alu instid0(SALU_CYCLE_1)
	s_and_b32 s2, s2, s3
.LBB154_2:
	s_delay_alu instid0(SALU_CYCLE_1)
	s_and_not1_b32 vcc_lo, exec_lo, s2
	s_cbranch_vccnz .LBB154_35
; %bb.3:
	s_load_b32 s10, s[0:1], 0x68
	s_bfe_u32 s2, ttmp6, 0x40014
	s_lshr_b32 s3, ttmp7, 16
	s_add_co_i32 s2, s2, 1
	s_bfe_u32 s5, ttmp6, 0x40008
	s_mul_i32 s4, s3, s2
	s_getreg_b32 s2, hwreg(HW_REG_IB_STS2, 6, 4)
	s_add_co_i32 s5, s5, s4
	s_cmp_eq_u32 s2, 0
	s_mov_b32 s7, 0
	s_cselect_b32 s6, s3, s5
	s_wait_kmcnt 0x0
	s_cmp_ge_u32 s6, s10
	s_cbranch_scc1 .LBB154_35
; %bb.4:
	s_bfe_u32 s4, ttmp6, 0x4000c
	s_bfe_u32 s11, ttmp6, 0x40010
	s_and_b32 s5, ttmp7, 0xffff
	s_add_co_i32 s4, s4, 1
	s_add_co_i32 s11, s11, 1
	s_and_b32 s3, ttmp6, 15
	s_mul_i32 s4, ttmp9, s4
	s_mul_i32 s11, s5, s11
	s_bfe_u32 s24, ttmp6, 0x40004
	s_add_co_i32 s3, s3, s4
	s_add_co_i32 s24, s24, s11
	s_cmp_eq_u32 s2, 0
	v_and_b32_e32 v11, 0x3ff, v0
	v_bfe_u32 v15, v0, 10, 10
	s_load_b32 s4, s[0:1], 0x0
	s_wait_xcnt 0x0
	s_cselect_b32 s0, s5, s24
	s_cselect_b32 s1, ttmp9, s3
	s_lshl_b32 s0, s0, 5
	v_lshl_add_u32 v1, v15, 4, v11
	v_dual_add_nc_u32 v16, s0, v15 :: v_dual_bitop2_b32 v0, 7, v0 bitop3:0x40
	s_lshl_b32 s1, s1, 5
	s_cmp_neq_f32 s34, 0
	s_delay_alu instid0(VALU_DEP_2) | instskip(NEXT) | instid1(VALU_DEP_2)
	v_dual_lshrrev_b32 v10, 3, v1 :: v_dual_bitop2_b32 v3, 31, v1 bitop3:0x40
	v_dual_add_nc_u32 v18, 16, v16 :: v_dual_ashrrev_i32 v17, 31, v16
	s_delay_alu instid0(VALU_DEP_2) | instskip(NEXT) | instid1(VALU_DEP_3)
	v_dual_lshrrev_b32 v2, 5, v1 :: v_dual_bitop2_b32 v8, s1, v3 bitop3:0x54
	v_add_nc_u32_e32 v12, s0, v10
	s_delay_alu instid0(VALU_DEP_3) | instskip(NEXT) | instid1(VALU_DEP_4)
	v_ashrrev_i32_e32 v19, 31, v18
	v_mul_u64_e32 v[4:5], s[28:29], v[16:17]
	v_dual_lshlrev_b32 v1, 2, v3 :: v_dual_lshlrev_b32 v3, 2, v0
	v_ashrrev_i32_e32 v9, 31, v8
	s_delay_alu instid0(VALU_DEP_4)
	v_mul_u64_e32 v[6:7], s[28:29], v[18:19]
	s_cselect_b32 s24, -1, 0
	s_cmp_neq_f32 s33, 0
	v_lshl_or_b32 v3, v10, 5, v3
	v_dual_add_nc_u32 v10, s1, v11 :: v_dual_ashrrev_i32 v13, 31, v12
	v_lshlrev_b32_e32 v26, 2, v11
	v_cmp_gt_i64_e64 s25, s[8:9], 0
	s_wait_kmcnt 0x0
	v_cmp_gt_i32_e64 s0, s4, v8
	v_cmp_le_i32_e32 vcc_lo, v16, v10
	v_cmp_gt_i32_e64 s2, s4, v10
	v_dual_add_nc_u32 v14, 16, v10 :: v_dual_ashrrev_i32 v11, 31, v10
	v_lshl_add_u64 v[8:9], v[8:9], 2, s[12:13]
	v_cmp_gt_i32_e64 s1, s4, v12
	s_cselect_b32 s11, -1, 0
	s_and_b32 s12, vcc_lo, s2
	v_cmp_le_i32_e32 vcc_lo, v16, v14
	v_cmp_gt_i32_e64 s3, s4, v14
	v_cmp_le_i32_e64 s4, v18, v10
	v_cmp_le_i32_e64 s5, v18, v14
	v_lshl_or_b32 v1, v2, 7, v1
	v_add_nc_u32_e32 v3, 0x400, v3
	v_lshl_add_u64 v[12:13], v[12:13], 2, s[18:19]
	v_lshl_add_u32 v27, v15, 5, 0x400
	v_dual_ashrrev_i32 v15, 31, v14 :: v_dual_mov_b32 v17, 0
	s_and_b32 s13, s24, s25
	s_and_b32 s18, vcc_lo, s3
	s_and_b32 s4, s4, s2
	s_and_b32 s5, s5, s3
	s_branch .LBB154_6
.LBB154_5:                              ;   in Loop: Header=BB154_6 Depth=1
	s_wait_xcnt 0x0
	s_or_b32 exec_lo, exec_lo, s2
	s_add_co_i32 s6, s6, 0x10000
	s_delay_alu instid0(SALU_CYCLE_1)
	s_cmp_lt_u32 s6, s10
	s_cbranch_scc0 .LBB154_35
.LBB154_6:                              ; =>This Loop Header: Depth=1
                                        ;     Child Loop BB154_9 Depth 2
	v_dual_mov_b32 v25, v17 :: v_dual_mov_b32 v24, v17
	v_dual_mov_b32 v19, v17 :: v_dual_mov_b32 v18, v17
	s_and_not1_b32 vcc_lo, exec_lo, s13
	s_cbranch_vccnz .LBB154_15
; %bb.7:                                ;   in Loop: Header=BB154_6 Depth=1
	v_mov_b32_e32 v18, 0
	s_mul_u64 s[2:3], s[16:17], s[6:7]
	s_mul_u64 s[24:25], s[22:23], s[6:7]
	v_lshl_add_u64 v[20:21], s[2:3], 2, v[8:9]
	v_lshl_add_u64 v[22:23], s[24:25], 2, v[12:13]
	v_dual_mov_b32 v19, v18 :: v_dual_mov_b32 v24, v18
	v_mov_b32_e32 v25, v18
	s_mov_b64 s[2:3], 0
	s_branch .LBB154_9
.LBB154_8:                              ;   in Loop: Header=BB154_9 Depth=2
	s_wait_xcnt 0x0
	s_or_b32 exec_lo, exec_lo, s19
	s_wait_loadcnt 0x0
	ds_store_b32 v3, v29
	s_wait_dscnt 0x0
	s_barrier_signal -1
	s_barrier_wait -1
	ds_load_b128 v[28:31], v27
	ds_load_2addr_b32 v[44:45], v26 offset1:16
	ds_load_b128 v[32:35], v27 offset:512
	ds_load_2addr_b32 v[46:47], v26 offset0:32 offset1:48
	ds_load_2addr_b32 v[48:49], v26 offset0:64 offset1:80
	;; [unrolled: 1-line block ×3, first 2 shown]
	ds_load_b128 v[36:39], v27 offset:16
	ds_load_2addr_b32 v[52:53], v26 offset0:128 offset1:144
	ds_load_b128 v[40:43], v27 offset:528
	s_add_nc_u64 s[2:3], s[2:3], 8
	s_delay_alu instid0(SALU_CYCLE_1)
	v_cmp_gt_i64_e64 s19, s[8:9], s[2:3]
	s_and_b32 vcc_lo, exec_lo, s19
	s_wait_dscnt 0x8
	v_mov_b32_e32 v16, v31
	s_wait_dscnt 0x7
	v_pk_fma_f32 v[24:25], v[44:45], v[28:29], v[24:25] op_sel_hi:[1,0,1]
	s_wait_dscnt 0x6
	v_pk_fma_f32 v[18:19], v[44:45], v[32:33], v[18:19] op_sel_hi:[1,0,1]
	ds_load_2addr_b32 v[44:45], v26 offset0:160 offset1:176
	s_wait_dscnt 0x6
	v_pk_fma_f32 v[24:25], v[46:47], v[28:29], v[24:25] op_sel:[0,1,0]
	v_pk_fma_f32 v[18:19], v[46:47], v[32:33], v[18:19] op_sel:[0,1,0]
	ds_load_2addr_b32 v[28:29], v26 offset0:192 offset1:208
	v_mov_b32_e32 v32, v35
	s_wait_dscnt 0x6
	v_pk_fma_f32 v[24:25], v[48:49], v[30:31], v[24:25] op_sel_hi:[1,0,1]
	v_pk_fma_f32 v[18:19], v[48:49], v[34:35], v[18:19] op_sel_hi:[1,0,1]
	ds_load_2addr_b32 v[30:31], v26 offset0:224 offset1:240
	s_wait_dscnt 0x0
	s_barrier_signal -1
	v_pk_fma_f32 v[24:25], v[50:51], v[16:17], v[24:25] op_sel_hi:[1,0,1]
	v_pk_fma_f32 v[18:19], v[50:51], v[32:33], v[18:19] op_sel_hi:[1,0,1]
	v_dual_mov_b32 v16, v39 :: v_dual_mov_b32 v32, v43
	s_barrier_wait -1
	s_delay_alu instid0(VALU_DEP_3) | instskip(NEXT) | instid1(VALU_DEP_3)
	v_pk_fma_f32 v[24:25], v[52:53], v[36:37], v[24:25] op_sel_hi:[1,0,1]
	v_pk_fma_f32 v[18:19], v[52:53], v[40:41], v[18:19] op_sel_hi:[1,0,1]
	s_delay_alu instid0(VALU_DEP_2) | instskip(NEXT) | instid1(VALU_DEP_2)
	v_pk_fma_f32 v[24:25], v[44:45], v[36:37], v[24:25] op_sel:[0,1,0]
	v_pk_fma_f32 v[18:19], v[44:45], v[40:41], v[18:19] op_sel:[0,1,0]
	s_delay_alu instid0(VALU_DEP_2) | instskip(NEXT) | instid1(VALU_DEP_2)
	v_pk_fma_f32 v[24:25], v[28:29], v[38:39], v[24:25] op_sel_hi:[1,0,1]
	v_pk_fma_f32 v[18:19], v[28:29], v[42:43], v[18:19] op_sel_hi:[1,0,1]
	s_delay_alu instid0(VALU_DEP_2) | instskip(NEXT) | instid1(VALU_DEP_2)
	v_pk_fma_f32 v[24:25], v[30:31], v[16:17], v[24:25] op_sel_hi:[1,0,1]
	v_pk_fma_f32 v[18:19], v[30:31], v[32:33], v[18:19] op_sel_hi:[1,0,1]
	s_cbranch_vccz .LBB154_15
.LBB154_9:                              ;   Parent Loop BB154_6 Depth=1
                                        ; =>  This Inner Loop Header: Depth=2
	v_mov_b32_e32 v28, 0
	s_and_saveexec_b32 s19, s0
	s_cbranch_execz .LBB154_13
; %bb.10:                               ;   in Loop: Header=BB154_9 Depth=2
	v_dual_add_nc_u32 v16, s2, v2 :: v_dual_mov_b32 v28, 0
	s_mov_b32 s24, exec_lo
	s_delay_alu instid0(VALU_DEP_1)
	v_cmpx_gt_u64_e64 s[8:9], v[16:17]
	s_cbranch_execz .LBB154_12
; %bb.11:                               ;   in Loop: Header=BB154_9 Depth=2
	v_mul_u64_e32 v[28:29], s[14:15], v[16:17]
	s_delay_alu instid0(VALU_DEP_1)
	v_lshl_add_u64 v[28:29], v[28:29], 2, v[20:21]
	global_load_b32 v28, v[28:29], off
.LBB154_12:                             ;   in Loop: Header=BB154_9 Depth=2
	s_wait_xcnt 0x0
	s_or_b32 exec_lo, exec_lo, s24
.LBB154_13:                             ;   in Loop: Header=BB154_9 Depth=2
	s_delay_alu instid0(SALU_CYCLE_1)
	s_or_b32 exec_lo, exec_lo, s19
	v_dual_mov_b32 v29, 0 :: v_dual_add_nc_u32 v16, s2, v0
	s_wait_loadcnt 0x0
	ds_store_b32 v1, v28
	v_cmp_gt_u64_e32 vcc_lo, s[8:9], v[16:17]
	s_and_b32 s24, vcc_lo, s1
	s_delay_alu instid0(SALU_CYCLE_1)
	s_and_saveexec_b32 s19, s24
	s_cbranch_execz .LBB154_8
; %bb.14:                               ;   in Loop: Header=BB154_9 Depth=2
	v_mul_u64_e32 v[28:29], s[20:21], v[16:17]
	s_delay_alu instid0(VALU_DEP_1)
	v_lshl_add_u64 v[28:29], v[28:29], 2, v[22:23]
	global_load_b32 v29, v[28:29], off
	s_branch .LBB154_8
.LBB154_15:                             ;   in Loop: Header=BB154_6 Depth=1
	s_mul_u64 s[2:3], s[30:31], s[6:7]
	s_delay_alu instid0(SALU_CYCLE_1) | instskip(NEXT) | instid1(SALU_CYCLE_1)
	s_lshl_b64 s[2:3], s[2:3], 2
	s_add_nc_u64 s[2:3], s[26:27], s[2:3]
	s_delay_alu instid0(SALU_CYCLE_1)
	v_lshl_add_u64 v[20:21], v[4:5], 2, s[2:3]
	s_and_saveexec_b32 s19, s12
	s_cbranch_execz .LBB154_19
; %bb.16:                               ;   in Loop: Header=BB154_6 Depth=1
	v_mul_f32_e32 v16, s34, v24
	s_delay_alu instid0(VALU_DEP_2)
	v_lshl_add_u64 v[22:23], v[10:11], 2, v[20:21]
	s_and_b32 vcc_lo, exec_lo, s11
	s_cbranch_vccz .LBB154_30
; %bb.17:                               ;   in Loop: Header=BB154_6 Depth=1
	global_load_b32 v24, v[22:23], off
	s_wait_loadcnt 0x0
	v_fma_f32 v24, s33, v24, v16
	global_store_b32 v[22:23], v24, off
	s_cbranch_execnz .LBB154_19
.LBB154_18:                             ;   in Loop: Header=BB154_6 Depth=1
	global_store_b32 v[22:23], v16, off
.LBB154_19:                             ;   in Loop: Header=BB154_6 Depth=1
	s_wait_xcnt 0x0
	s_or_b32 exec_lo, exec_lo, s19
	s_and_saveexec_b32 s19, s18
	s_cbranch_execz .LBB154_23
; %bb.20:                               ;   in Loop: Header=BB154_6 Depth=1
	v_mul_f32_e32 v16, s34, v25
	v_lshl_add_u64 v[20:21], v[14:15], 2, v[20:21]
	s_and_not1_b32 vcc_lo, exec_lo, s11
	s_cbranch_vccnz .LBB154_31
; %bb.21:                               ;   in Loop: Header=BB154_6 Depth=1
	global_load_b32 v22, v[20:21], off
	s_wait_loadcnt 0x0
	v_fma_f32 v22, s33, v22, v16
	global_store_b32 v[20:21], v22, off
	s_cbranch_execnz .LBB154_23
.LBB154_22:                             ;   in Loop: Header=BB154_6 Depth=1
	global_store_b32 v[20:21], v16, off
.LBB154_23:                             ;   in Loop: Header=BB154_6 Depth=1
	s_wait_xcnt 0x0
	s_or_b32 exec_lo, exec_lo, s19
	v_lshl_add_u64 v[20:21], v[6:7], 2, s[2:3]
	s_and_saveexec_b32 s2, s4
	s_cbranch_execz .LBB154_27
; %bb.24:                               ;   in Loop: Header=BB154_6 Depth=1
	v_mul_f32_e32 v16, s34, v18
	s_delay_alu instid0(VALU_DEP_2)
	v_lshl_add_u64 v[22:23], v[10:11], 2, v[20:21]
	s_and_not1_b32 vcc_lo, exec_lo, s11
	s_cbranch_vccnz .LBB154_32
; %bb.25:                               ;   in Loop: Header=BB154_6 Depth=1
	global_load_b32 v18, v[22:23], off
	s_wait_loadcnt 0x0
	v_fma_f32 v18, s33, v18, v16
	global_store_b32 v[22:23], v18, off
	s_cbranch_execnz .LBB154_27
.LBB154_26:                             ;   in Loop: Header=BB154_6 Depth=1
	global_store_b32 v[22:23], v16, off
.LBB154_27:                             ;   in Loop: Header=BB154_6 Depth=1
	s_wait_xcnt 0x0
	s_or_b32 exec_lo, exec_lo, s2
	s_and_saveexec_b32 s2, s5
	s_cbranch_execz .LBB154_5
; %bb.28:                               ;   in Loop: Header=BB154_6 Depth=1
	v_mul_f32_e32 v16, s34, v19
	v_lshl_add_u64 v[18:19], v[14:15], 2, v[20:21]
	s_and_not1_b32 vcc_lo, exec_lo, s11
	s_cbranch_vccnz .LBB154_33
; %bb.29:                               ;   in Loop: Header=BB154_6 Depth=1
	global_load_b32 v20, v[18:19], off
	s_wait_loadcnt 0x0
	v_fma_f32 v20, s33, v20, v16
	global_store_b32 v[18:19], v20, off
	s_cbranch_execnz .LBB154_5
	s_branch .LBB154_34
.LBB154_30:                             ;   in Loop: Header=BB154_6 Depth=1
	s_branch .LBB154_18
.LBB154_31:                             ;   in Loop: Header=BB154_6 Depth=1
	s_branch .LBB154_22
.LBB154_32:                             ;   in Loop: Header=BB154_6 Depth=1
	s_branch .LBB154_26
.LBB154_33:                             ;   in Loop: Header=BB154_6 Depth=1
.LBB154_34:                             ;   in Loop: Header=BB154_6 Depth=1
	global_store_b32 v[18:19], v16, off
	s_branch .LBB154_5
.LBB154_35:
	s_endpgm
	.section	.rodata,"a",@progbits
	.p2align	6, 0x0
	.amdhsa_kernel _ZL29rocblas_internal_gemmt_kernelIlLi16ELi32ELi8ELc78ELc84ELc76ELb0ELb0EfPKfS1_PfEviT_T9_T10_S3_lS5_S3_lS4_T11_S3_li
		.amdhsa_group_segment_fixed_size 2048
		.amdhsa_private_segment_fixed_size 0
		.amdhsa_kernarg_size 108
		.amdhsa_user_sgpr_count 2
		.amdhsa_user_sgpr_dispatch_ptr 0
		.amdhsa_user_sgpr_queue_ptr 0
		.amdhsa_user_sgpr_kernarg_segment_ptr 1
		.amdhsa_user_sgpr_dispatch_id 0
		.amdhsa_user_sgpr_kernarg_preload_length 0
		.amdhsa_user_sgpr_kernarg_preload_offset 0
		.amdhsa_user_sgpr_private_segment_size 0
		.amdhsa_wavefront_size32 1
		.amdhsa_uses_dynamic_stack 0
		.amdhsa_enable_private_segment 0
		.amdhsa_system_sgpr_workgroup_id_x 1
		.amdhsa_system_sgpr_workgroup_id_y 1
		.amdhsa_system_sgpr_workgroup_id_z 1
		.amdhsa_system_sgpr_workgroup_info 0
		.amdhsa_system_vgpr_workitem_id 1
		.amdhsa_next_free_vgpr 54
		.amdhsa_next_free_sgpr 35
		.amdhsa_named_barrier_count 0
		.amdhsa_reserve_vcc 1
		.amdhsa_float_round_mode_32 0
		.amdhsa_float_round_mode_16_64 0
		.amdhsa_float_denorm_mode_32 3
		.amdhsa_float_denorm_mode_16_64 3
		.amdhsa_fp16_overflow 0
		.amdhsa_memory_ordered 1
		.amdhsa_forward_progress 1
		.amdhsa_inst_pref_size 13
		.amdhsa_round_robin_scheduling 0
		.amdhsa_exception_fp_ieee_invalid_op 0
		.amdhsa_exception_fp_denorm_src 0
		.amdhsa_exception_fp_ieee_div_zero 0
		.amdhsa_exception_fp_ieee_overflow 0
		.amdhsa_exception_fp_ieee_underflow 0
		.amdhsa_exception_fp_ieee_inexact 0
		.amdhsa_exception_int_div_zero 0
	.end_amdhsa_kernel
	.section	.text._ZL29rocblas_internal_gemmt_kernelIlLi16ELi32ELi8ELc78ELc84ELc76ELb0ELb0EfPKfS1_PfEviT_T9_T10_S3_lS5_S3_lS4_T11_S3_li,"axG",@progbits,_ZL29rocblas_internal_gemmt_kernelIlLi16ELi32ELi8ELc78ELc84ELc76ELb0ELb0EfPKfS1_PfEviT_T9_T10_S3_lS5_S3_lS4_T11_S3_li,comdat
.Lfunc_end154:
	.size	_ZL29rocblas_internal_gemmt_kernelIlLi16ELi32ELi8ELc78ELc84ELc76ELb0ELb0EfPKfS1_PfEviT_T9_T10_S3_lS5_S3_lS4_T11_S3_li, .Lfunc_end154-_ZL29rocblas_internal_gemmt_kernelIlLi16ELi32ELi8ELc78ELc84ELc76ELb0ELb0EfPKfS1_PfEviT_T9_T10_S3_lS5_S3_lS4_T11_S3_li
                                        ; -- End function
	.set _ZL29rocblas_internal_gemmt_kernelIlLi16ELi32ELi8ELc78ELc84ELc76ELb0ELb0EfPKfS1_PfEviT_T9_T10_S3_lS5_S3_lS4_T11_S3_li.num_vgpr, 54
	.set _ZL29rocblas_internal_gemmt_kernelIlLi16ELi32ELi8ELc78ELc84ELc76ELb0ELb0EfPKfS1_PfEviT_T9_T10_S3_lS5_S3_lS4_T11_S3_li.num_agpr, 0
	.set _ZL29rocblas_internal_gemmt_kernelIlLi16ELi32ELi8ELc78ELc84ELc76ELb0ELb0EfPKfS1_PfEviT_T9_T10_S3_lS5_S3_lS4_T11_S3_li.numbered_sgpr, 35
	.set _ZL29rocblas_internal_gemmt_kernelIlLi16ELi32ELi8ELc78ELc84ELc76ELb0ELb0EfPKfS1_PfEviT_T9_T10_S3_lS5_S3_lS4_T11_S3_li.num_named_barrier, 0
	.set _ZL29rocblas_internal_gemmt_kernelIlLi16ELi32ELi8ELc78ELc84ELc76ELb0ELb0EfPKfS1_PfEviT_T9_T10_S3_lS5_S3_lS4_T11_S3_li.private_seg_size, 0
	.set _ZL29rocblas_internal_gemmt_kernelIlLi16ELi32ELi8ELc78ELc84ELc76ELb0ELb0EfPKfS1_PfEviT_T9_T10_S3_lS5_S3_lS4_T11_S3_li.uses_vcc, 1
	.set _ZL29rocblas_internal_gemmt_kernelIlLi16ELi32ELi8ELc78ELc84ELc76ELb0ELb0EfPKfS1_PfEviT_T9_T10_S3_lS5_S3_lS4_T11_S3_li.uses_flat_scratch, 0
	.set _ZL29rocblas_internal_gemmt_kernelIlLi16ELi32ELi8ELc78ELc84ELc76ELb0ELb0EfPKfS1_PfEviT_T9_T10_S3_lS5_S3_lS4_T11_S3_li.has_dyn_sized_stack, 0
	.set _ZL29rocblas_internal_gemmt_kernelIlLi16ELi32ELi8ELc78ELc84ELc76ELb0ELb0EfPKfS1_PfEviT_T9_T10_S3_lS5_S3_lS4_T11_S3_li.has_recursion, 0
	.set _ZL29rocblas_internal_gemmt_kernelIlLi16ELi32ELi8ELc78ELc84ELc76ELb0ELb0EfPKfS1_PfEviT_T9_T10_S3_lS5_S3_lS4_T11_S3_li.has_indirect_call, 0
	.section	.AMDGPU.csdata,"",@progbits
; Kernel info:
; codeLenInByte = 1600
; TotalNumSgprs: 37
; NumVgprs: 54
; ScratchSize: 0
; MemoryBound: 0
; FloatMode: 240
; IeeeMode: 1
; LDSByteSize: 2048 bytes/workgroup (compile time only)
; SGPRBlocks: 0
; VGPRBlocks: 3
; NumSGPRsForWavesPerEU: 37
; NumVGPRsForWavesPerEU: 54
; NamedBarCnt: 0
; Occupancy: 16
; WaveLimiterHint : 0
; COMPUTE_PGM_RSRC2:SCRATCH_EN: 0
; COMPUTE_PGM_RSRC2:USER_SGPR: 2
; COMPUTE_PGM_RSRC2:TRAP_HANDLER: 0
; COMPUTE_PGM_RSRC2:TGID_X_EN: 1
; COMPUTE_PGM_RSRC2:TGID_Y_EN: 1
; COMPUTE_PGM_RSRC2:TGID_Z_EN: 1
; COMPUTE_PGM_RSRC2:TIDIG_COMP_CNT: 1
	.section	.text._ZL29rocblas_internal_gemmt_kernelIlLi16ELi32ELi8ELc78ELc67ELc76ELb0ELb0EfPKfS1_PfEviT_T9_T10_S3_lS5_S3_lS4_T11_S3_li,"axG",@progbits,_ZL29rocblas_internal_gemmt_kernelIlLi16ELi32ELi8ELc78ELc67ELc76ELb0ELb0EfPKfS1_PfEviT_T9_T10_S3_lS5_S3_lS4_T11_S3_li,comdat
	.globl	_ZL29rocblas_internal_gemmt_kernelIlLi16ELi32ELi8ELc78ELc67ELc76ELb0ELb0EfPKfS1_PfEviT_T9_T10_S3_lS5_S3_lS4_T11_S3_li ; -- Begin function _ZL29rocblas_internal_gemmt_kernelIlLi16ELi32ELi8ELc78ELc67ELc76ELb0ELb0EfPKfS1_PfEviT_T9_T10_S3_lS5_S3_lS4_T11_S3_li
	.p2align	8
	.type	_ZL29rocblas_internal_gemmt_kernelIlLi16ELi32ELi8ELc78ELc67ELc76ELb0ELb0EfPKfS1_PfEviT_T9_T10_S3_lS5_S3_lS4_T11_S3_li,@function
_ZL29rocblas_internal_gemmt_kernelIlLi16ELi32ELi8ELc78ELc67ELc76ELb0ELb0EfPKfS1_PfEviT_T9_T10_S3_lS5_S3_lS4_T11_S3_li: ; @_ZL29rocblas_internal_gemmt_kernelIlLi16ELi32ELi8ELc78ELc67ELc76ELb0ELb0EfPKfS1_PfEviT_T9_T10_S3_lS5_S3_lS4_T11_S3_li
; %bb.0:
	s_clause 0x1
	s_load_b256 s[24:31], s[0:1], 0x48
	s_load_b512 s[8:23], s[0:1], 0x8
	s_wait_kmcnt 0x0
	s_load_b32 s33, s[24:25], 0x0
	s_load_b32 s34, s[10:11], 0x0
	s_wait_kmcnt 0x0
	s_cmp_neq_f32 s33, 1.0
	s_cselect_b32 s2, -1, 0
	s_delay_alu instid0(SALU_CYCLE_1)
	s_and_b32 vcc_lo, exec_lo, s2
	s_cbranch_vccnz .LBB155_2
; %bb.1:
	s_cmp_lg_u64 s[8:9], 0
	s_cselect_b32 s2, -1, 0
	s_cmp_neq_f32 s34, 0
	s_cselect_b32 s3, -1, 0
	s_delay_alu instid0(SALU_CYCLE_1)
	s_and_b32 s2, s2, s3
.LBB155_2:
	s_delay_alu instid0(SALU_CYCLE_1)
	s_and_not1_b32 vcc_lo, exec_lo, s2
	s_cbranch_vccnz .LBB155_35
; %bb.3:
	s_load_b32 s10, s[0:1], 0x68
	s_bfe_u32 s2, ttmp6, 0x40014
	s_lshr_b32 s3, ttmp7, 16
	s_add_co_i32 s2, s2, 1
	s_bfe_u32 s5, ttmp6, 0x40008
	s_mul_i32 s4, s3, s2
	s_getreg_b32 s2, hwreg(HW_REG_IB_STS2, 6, 4)
	s_add_co_i32 s5, s5, s4
	s_cmp_eq_u32 s2, 0
	s_mov_b32 s7, 0
	s_cselect_b32 s6, s3, s5
	s_wait_kmcnt 0x0
	s_cmp_ge_u32 s6, s10
	s_cbranch_scc1 .LBB155_35
; %bb.4:
	s_bfe_u32 s4, ttmp6, 0x4000c
	s_bfe_u32 s11, ttmp6, 0x40010
	s_and_b32 s5, ttmp7, 0xffff
	s_add_co_i32 s4, s4, 1
	s_add_co_i32 s11, s11, 1
	s_and_b32 s3, ttmp6, 15
	s_mul_i32 s4, ttmp9, s4
	s_mul_i32 s11, s5, s11
	s_bfe_u32 s24, ttmp6, 0x40004
	s_add_co_i32 s3, s3, s4
	s_add_co_i32 s24, s24, s11
	s_cmp_eq_u32 s2, 0
	v_and_b32_e32 v11, 0x3ff, v0
	v_bfe_u32 v15, v0, 10, 10
	s_load_b32 s4, s[0:1], 0x0
	s_wait_xcnt 0x0
	s_cselect_b32 s0, s5, s24
	s_cselect_b32 s1, ttmp9, s3
	s_lshl_b32 s0, s0, 5
	v_lshl_add_u32 v1, v15, 4, v11
	v_dual_add_nc_u32 v16, s0, v15 :: v_dual_bitop2_b32 v0, 7, v0 bitop3:0x40
	s_lshl_b32 s1, s1, 5
	s_cmp_neq_f32 s34, 0
	s_delay_alu instid0(VALU_DEP_2) | instskip(NEXT) | instid1(VALU_DEP_2)
	v_dual_lshrrev_b32 v10, 3, v1 :: v_dual_bitop2_b32 v3, 31, v1 bitop3:0x40
	v_dual_add_nc_u32 v18, 16, v16 :: v_dual_ashrrev_i32 v17, 31, v16
	s_delay_alu instid0(VALU_DEP_2) | instskip(NEXT) | instid1(VALU_DEP_3)
	v_dual_lshrrev_b32 v2, 5, v1 :: v_dual_bitop2_b32 v8, s1, v3 bitop3:0x54
	v_add_nc_u32_e32 v12, s0, v10
	s_delay_alu instid0(VALU_DEP_3) | instskip(NEXT) | instid1(VALU_DEP_4)
	v_ashrrev_i32_e32 v19, 31, v18
	v_mul_u64_e32 v[4:5], s[28:29], v[16:17]
	v_dual_lshlrev_b32 v1, 2, v3 :: v_dual_lshlrev_b32 v3, 2, v0
	v_ashrrev_i32_e32 v9, 31, v8
	s_delay_alu instid0(VALU_DEP_4)
	v_mul_u64_e32 v[6:7], s[28:29], v[18:19]
	s_cselect_b32 s24, -1, 0
	s_cmp_neq_f32 s33, 0
	v_lshl_or_b32 v3, v10, 5, v3
	v_dual_add_nc_u32 v10, s1, v11 :: v_dual_ashrrev_i32 v13, 31, v12
	v_lshlrev_b32_e32 v26, 2, v11
	v_cmp_gt_i64_e64 s25, s[8:9], 0
	s_wait_kmcnt 0x0
	v_cmp_gt_i32_e64 s0, s4, v8
	v_cmp_le_i32_e32 vcc_lo, v16, v10
	v_cmp_gt_i32_e64 s2, s4, v10
	v_dual_add_nc_u32 v14, 16, v10 :: v_dual_ashrrev_i32 v11, 31, v10
	v_lshl_add_u64 v[8:9], v[8:9], 2, s[12:13]
	v_cmp_gt_i32_e64 s1, s4, v12
	s_cselect_b32 s11, -1, 0
	s_and_b32 s12, vcc_lo, s2
	v_cmp_le_i32_e32 vcc_lo, v16, v14
	v_cmp_gt_i32_e64 s3, s4, v14
	v_cmp_le_i32_e64 s4, v18, v10
	v_cmp_le_i32_e64 s5, v18, v14
	v_lshl_or_b32 v1, v2, 7, v1
	v_add_nc_u32_e32 v3, 0x400, v3
	v_lshl_add_u64 v[12:13], v[12:13], 2, s[18:19]
	v_lshl_add_u32 v27, v15, 5, 0x400
	v_dual_ashrrev_i32 v15, 31, v14 :: v_dual_mov_b32 v17, 0
	s_and_b32 s13, s24, s25
	s_and_b32 s18, vcc_lo, s3
	s_and_b32 s4, s4, s2
	s_and_b32 s5, s5, s3
	s_branch .LBB155_6
.LBB155_5:                              ;   in Loop: Header=BB155_6 Depth=1
	s_wait_xcnt 0x0
	s_or_b32 exec_lo, exec_lo, s2
	s_add_co_i32 s6, s6, 0x10000
	s_delay_alu instid0(SALU_CYCLE_1)
	s_cmp_lt_u32 s6, s10
	s_cbranch_scc0 .LBB155_35
.LBB155_6:                              ; =>This Loop Header: Depth=1
                                        ;     Child Loop BB155_9 Depth 2
	v_dual_mov_b32 v25, v17 :: v_dual_mov_b32 v24, v17
	v_dual_mov_b32 v19, v17 :: v_dual_mov_b32 v18, v17
	s_and_not1_b32 vcc_lo, exec_lo, s13
	s_cbranch_vccnz .LBB155_15
; %bb.7:                                ;   in Loop: Header=BB155_6 Depth=1
	v_mov_b32_e32 v18, 0
	s_mul_u64 s[2:3], s[16:17], s[6:7]
	s_mul_u64 s[24:25], s[22:23], s[6:7]
	v_lshl_add_u64 v[20:21], s[2:3], 2, v[8:9]
	v_lshl_add_u64 v[22:23], s[24:25], 2, v[12:13]
	v_dual_mov_b32 v19, v18 :: v_dual_mov_b32 v24, v18
	v_mov_b32_e32 v25, v18
	s_mov_b64 s[2:3], 0
	s_branch .LBB155_9
.LBB155_8:                              ;   in Loop: Header=BB155_9 Depth=2
	s_wait_xcnt 0x0
	s_or_b32 exec_lo, exec_lo, s19
	s_wait_loadcnt 0x0
	ds_store_b32 v3, v29
	s_wait_dscnt 0x0
	s_barrier_signal -1
	s_barrier_wait -1
	ds_load_b128 v[28:31], v27
	ds_load_2addr_b32 v[44:45], v26 offset1:16
	ds_load_b128 v[32:35], v27 offset:512
	ds_load_2addr_b32 v[46:47], v26 offset0:32 offset1:48
	ds_load_2addr_b32 v[48:49], v26 offset0:64 offset1:80
	;; [unrolled: 1-line block ×3, first 2 shown]
	ds_load_b128 v[36:39], v27 offset:16
	ds_load_2addr_b32 v[52:53], v26 offset0:128 offset1:144
	ds_load_b128 v[40:43], v27 offset:528
	s_add_nc_u64 s[2:3], s[2:3], 8
	s_delay_alu instid0(SALU_CYCLE_1)
	v_cmp_gt_i64_e64 s19, s[8:9], s[2:3]
	s_and_b32 vcc_lo, exec_lo, s19
	s_wait_dscnt 0x8
	v_mov_b32_e32 v16, v31
	s_wait_dscnt 0x7
	v_pk_fma_f32 v[24:25], v[44:45], v[28:29], v[24:25] op_sel_hi:[1,0,1]
	s_wait_dscnt 0x6
	v_pk_fma_f32 v[18:19], v[44:45], v[32:33], v[18:19] op_sel_hi:[1,0,1]
	ds_load_2addr_b32 v[44:45], v26 offset0:160 offset1:176
	s_wait_dscnt 0x6
	v_pk_fma_f32 v[24:25], v[46:47], v[28:29], v[24:25] op_sel:[0,1,0]
	v_pk_fma_f32 v[18:19], v[46:47], v[32:33], v[18:19] op_sel:[0,1,0]
	ds_load_2addr_b32 v[28:29], v26 offset0:192 offset1:208
	v_mov_b32_e32 v32, v35
	s_wait_dscnt 0x6
	v_pk_fma_f32 v[24:25], v[48:49], v[30:31], v[24:25] op_sel_hi:[1,0,1]
	v_pk_fma_f32 v[18:19], v[48:49], v[34:35], v[18:19] op_sel_hi:[1,0,1]
	ds_load_2addr_b32 v[30:31], v26 offset0:224 offset1:240
	s_wait_dscnt 0x0
	s_barrier_signal -1
	v_pk_fma_f32 v[24:25], v[50:51], v[16:17], v[24:25] op_sel_hi:[1,0,1]
	v_pk_fma_f32 v[18:19], v[50:51], v[32:33], v[18:19] op_sel_hi:[1,0,1]
	v_dual_mov_b32 v16, v39 :: v_dual_mov_b32 v32, v43
	s_barrier_wait -1
	s_delay_alu instid0(VALU_DEP_3) | instskip(NEXT) | instid1(VALU_DEP_3)
	v_pk_fma_f32 v[24:25], v[52:53], v[36:37], v[24:25] op_sel_hi:[1,0,1]
	v_pk_fma_f32 v[18:19], v[52:53], v[40:41], v[18:19] op_sel_hi:[1,0,1]
	s_delay_alu instid0(VALU_DEP_2) | instskip(NEXT) | instid1(VALU_DEP_2)
	v_pk_fma_f32 v[24:25], v[44:45], v[36:37], v[24:25] op_sel:[0,1,0]
	v_pk_fma_f32 v[18:19], v[44:45], v[40:41], v[18:19] op_sel:[0,1,0]
	s_delay_alu instid0(VALU_DEP_2) | instskip(NEXT) | instid1(VALU_DEP_2)
	v_pk_fma_f32 v[24:25], v[28:29], v[38:39], v[24:25] op_sel_hi:[1,0,1]
	v_pk_fma_f32 v[18:19], v[28:29], v[42:43], v[18:19] op_sel_hi:[1,0,1]
	s_delay_alu instid0(VALU_DEP_2) | instskip(NEXT) | instid1(VALU_DEP_2)
	v_pk_fma_f32 v[24:25], v[30:31], v[16:17], v[24:25] op_sel_hi:[1,0,1]
	v_pk_fma_f32 v[18:19], v[30:31], v[32:33], v[18:19] op_sel_hi:[1,0,1]
	s_cbranch_vccz .LBB155_15
.LBB155_9:                              ;   Parent Loop BB155_6 Depth=1
                                        ; =>  This Inner Loop Header: Depth=2
	v_mov_b32_e32 v28, 0
	s_and_saveexec_b32 s19, s0
	s_cbranch_execz .LBB155_13
; %bb.10:                               ;   in Loop: Header=BB155_9 Depth=2
	v_dual_add_nc_u32 v16, s2, v2 :: v_dual_mov_b32 v28, 0
	s_mov_b32 s24, exec_lo
	s_delay_alu instid0(VALU_DEP_1)
	v_cmpx_gt_u64_e64 s[8:9], v[16:17]
	s_cbranch_execz .LBB155_12
; %bb.11:                               ;   in Loop: Header=BB155_9 Depth=2
	v_mul_u64_e32 v[28:29], s[14:15], v[16:17]
	s_delay_alu instid0(VALU_DEP_1)
	v_lshl_add_u64 v[28:29], v[28:29], 2, v[20:21]
	global_load_b32 v28, v[28:29], off
.LBB155_12:                             ;   in Loop: Header=BB155_9 Depth=2
	s_wait_xcnt 0x0
	s_or_b32 exec_lo, exec_lo, s24
.LBB155_13:                             ;   in Loop: Header=BB155_9 Depth=2
	s_delay_alu instid0(SALU_CYCLE_1)
	s_or_b32 exec_lo, exec_lo, s19
	v_dual_mov_b32 v29, 0 :: v_dual_add_nc_u32 v16, s2, v0
	s_wait_loadcnt 0x0
	ds_store_b32 v1, v28
	v_cmp_gt_u64_e32 vcc_lo, s[8:9], v[16:17]
	s_and_b32 s24, vcc_lo, s1
	s_delay_alu instid0(SALU_CYCLE_1)
	s_and_saveexec_b32 s19, s24
	s_cbranch_execz .LBB155_8
; %bb.14:                               ;   in Loop: Header=BB155_9 Depth=2
	v_mul_u64_e32 v[28:29], s[20:21], v[16:17]
	s_delay_alu instid0(VALU_DEP_1)
	v_lshl_add_u64 v[28:29], v[28:29], 2, v[22:23]
	global_load_b32 v29, v[28:29], off
	s_branch .LBB155_8
.LBB155_15:                             ;   in Loop: Header=BB155_6 Depth=1
	s_mul_u64 s[2:3], s[30:31], s[6:7]
	s_delay_alu instid0(SALU_CYCLE_1) | instskip(NEXT) | instid1(SALU_CYCLE_1)
	s_lshl_b64 s[2:3], s[2:3], 2
	s_add_nc_u64 s[2:3], s[26:27], s[2:3]
	s_delay_alu instid0(SALU_CYCLE_1)
	v_lshl_add_u64 v[20:21], v[4:5], 2, s[2:3]
	s_and_saveexec_b32 s19, s12
	s_cbranch_execz .LBB155_19
; %bb.16:                               ;   in Loop: Header=BB155_6 Depth=1
	v_mul_f32_e32 v16, s34, v24
	s_delay_alu instid0(VALU_DEP_2)
	v_lshl_add_u64 v[22:23], v[10:11], 2, v[20:21]
	s_and_b32 vcc_lo, exec_lo, s11
	s_cbranch_vccz .LBB155_30
; %bb.17:                               ;   in Loop: Header=BB155_6 Depth=1
	global_load_b32 v24, v[22:23], off
	s_wait_loadcnt 0x0
	v_fma_f32 v24, s33, v24, v16
	global_store_b32 v[22:23], v24, off
	s_cbranch_execnz .LBB155_19
.LBB155_18:                             ;   in Loop: Header=BB155_6 Depth=1
	global_store_b32 v[22:23], v16, off
.LBB155_19:                             ;   in Loop: Header=BB155_6 Depth=1
	s_wait_xcnt 0x0
	s_or_b32 exec_lo, exec_lo, s19
	s_and_saveexec_b32 s19, s18
	s_cbranch_execz .LBB155_23
; %bb.20:                               ;   in Loop: Header=BB155_6 Depth=1
	v_mul_f32_e32 v16, s34, v25
	v_lshl_add_u64 v[20:21], v[14:15], 2, v[20:21]
	s_and_not1_b32 vcc_lo, exec_lo, s11
	s_cbranch_vccnz .LBB155_31
; %bb.21:                               ;   in Loop: Header=BB155_6 Depth=1
	global_load_b32 v22, v[20:21], off
	s_wait_loadcnt 0x0
	v_fma_f32 v22, s33, v22, v16
	global_store_b32 v[20:21], v22, off
	s_cbranch_execnz .LBB155_23
.LBB155_22:                             ;   in Loop: Header=BB155_6 Depth=1
	global_store_b32 v[20:21], v16, off
.LBB155_23:                             ;   in Loop: Header=BB155_6 Depth=1
	s_wait_xcnt 0x0
	s_or_b32 exec_lo, exec_lo, s19
	v_lshl_add_u64 v[20:21], v[6:7], 2, s[2:3]
	s_and_saveexec_b32 s2, s4
	s_cbranch_execz .LBB155_27
; %bb.24:                               ;   in Loop: Header=BB155_6 Depth=1
	v_mul_f32_e32 v16, s34, v18
	s_delay_alu instid0(VALU_DEP_2)
	v_lshl_add_u64 v[22:23], v[10:11], 2, v[20:21]
	s_and_not1_b32 vcc_lo, exec_lo, s11
	s_cbranch_vccnz .LBB155_32
; %bb.25:                               ;   in Loop: Header=BB155_6 Depth=1
	global_load_b32 v18, v[22:23], off
	s_wait_loadcnt 0x0
	v_fma_f32 v18, s33, v18, v16
	global_store_b32 v[22:23], v18, off
	s_cbranch_execnz .LBB155_27
.LBB155_26:                             ;   in Loop: Header=BB155_6 Depth=1
	global_store_b32 v[22:23], v16, off
.LBB155_27:                             ;   in Loop: Header=BB155_6 Depth=1
	s_wait_xcnt 0x0
	s_or_b32 exec_lo, exec_lo, s2
	s_and_saveexec_b32 s2, s5
	s_cbranch_execz .LBB155_5
; %bb.28:                               ;   in Loop: Header=BB155_6 Depth=1
	v_mul_f32_e32 v16, s34, v19
	v_lshl_add_u64 v[18:19], v[14:15], 2, v[20:21]
	s_and_not1_b32 vcc_lo, exec_lo, s11
	s_cbranch_vccnz .LBB155_33
; %bb.29:                               ;   in Loop: Header=BB155_6 Depth=1
	global_load_b32 v20, v[18:19], off
	s_wait_loadcnt 0x0
	v_fma_f32 v20, s33, v20, v16
	global_store_b32 v[18:19], v20, off
	s_cbranch_execnz .LBB155_5
	s_branch .LBB155_34
.LBB155_30:                             ;   in Loop: Header=BB155_6 Depth=1
	s_branch .LBB155_18
.LBB155_31:                             ;   in Loop: Header=BB155_6 Depth=1
	s_branch .LBB155_22
.LBB155_32:                             ;   in Loop: Header=BB155_6 Depth=1
	s_branch .LBB155_26
.LBB155_33:                             ;   in Loop: Header=BB155_6 Depth=1
.LBB155_34:                             ;   in Loop: Header=BB155_6 Depth=1
	global_store_b32 v[18:19], v16, off
	s_branch .LBB155_5
.LBB155_35:
	s_endpgm
	.section	.rodata,"a",@progbits
	.p2align	6, 0x0
	.amdhsa_kernel _ZL29rocblas_internal_gemmt_kernelIlLi16ELi32ELi8ELc78ELc67ELc76ELb0ELb0EfPKfS1_PfEviT_T9_T10_S3_lS5_S3_lS4_T11_S3_li
		.amdhsa_group_segment_fixed_size 2048
		.amdhsa_private_segment_fixed_size 0
		.amdhsa_kernarg_size 108
		.amdhsa_user_sgpr_count 2
		.amdhsa_user_sgpr_dispatch_ptr 0
		.amdhsa_user_sgpr_queue_ptr 0
		.amdhsa_user_sgpr_kernarg_segment_ptr 1
		.amdhsa_user_sgpr_dispatch_id 0
		.amdhsa_user_sgpr_kernarg_preload_length 0
		.amdhsa_user_sgpr_kernarg_preload_offset 0
		.amdhsa_user_sgpr_private_segment_size 0
		.amdhsa_wavefront_size32 1
		.amdhsa_uses_dynamic_stack 0
		.amdhsa_enable_private_segment 0
		.amdhsa_system_sgpr_workgroup_id_x 1
		.amdhsa_system_sgpr_workgroup_id_y 1
		.amdhsa_system_sgpr_workgroup_id_z 1
		.amdhsa_system_sgpr_workgroup_info 0
		.amdhsa_system_vgpr_workitem_id 1
		.amdhsa_next_free_vgpr 54
		.amdhsa_next_free_sgpr 35
		.amdhsa_named_barrier_count 0
		.amdhsa_reserve_vcc 1
		.amdhsa_float_round_mode_32 0
		.amdhsa_float_round_mode_16_64 0
		.amdhsa_float_denorm_mode_32 3
		.amdhsa_float_denorm_mode_16_64 3
		.amdhsa_fp16_overflow 0
		.amdhsa_memory_ordered 1
		.amdhsa_forward_progress 1
		.amdhsa_inst_pref_size 13
		.amdhsa_round_robin_scheduling 0
		.amdhsa_exception_fp_ieee_invalid_op 0
		.amdhsa_exception_fp_denorm_src 0
		.amdhsa_exception_fp_ieee_div_zero 0
		.amdhsa_exception_fp_ieee_overflow 0
		.amdhsa_exception_fp_ieee_underflow 0
		.amdhsa_exception_fp_ieee_inexact 0
		.amdhsa_exception_int_div_zero 0
	.end_amdhsa_kernel
	.section	.text._ZL29rocblas_internal_gemmt_kernelIlLi16ELi32ELi8ELc78ELc67ELc76ELb0ELb0EfPKfS1_PfEviT_T9_T10_S3_lS5_S3_lS4_T11_S3_li,"axG",@progbits,_ZL29rocblas_internal_gemmt_kernelIlLi16ELi32ELi8ELc78ELc67ELc76ELb0ELb0EfPKfS1_PfEviT_T9_T10_S3_lS5_S3_lS4_T11_S3_li,comdat
.Lfunc_end155:
	.size	_ZL29rocblas_internal_gemmt_kernelIlLi16ELi32ELi8ELc78ELc67ELc76ELb0ELb0EfPKfS1_PfEviT_T9_T10_S3_lS5_S3_lS4_T11_S3_li, .Lfunc_end155-_ZL29rocblas_internal_gemmt_kernelIlLi16ELi32ELi8ELc78ELc67ELc76ELb0ELb0EfPKfS1_PfEviT_T9_T10_S3_lS5_S3_lS4_T11_S3_li
                                        ; -- End function
	.set _ZL29rocblas_internal_gemmt_kernelIlLi16ELi32ELi8ELc78ELc67ELc76ELb0ELb0EfPKfS1_PfEviT_T9_T10_S3_lS5_S3_lS4_T11_S3_li.num_vgpr, 54
	.set _ZL29rocblas_internal_gemmt_kernelIlLi16ELi32ELi8ELc78ELc67ELc76ELb0ELb0EfPKfS1_PfEviT_T9_T10_S3_lS5_S3_lS4_T11_S3_li.num_agpr, 0
	.set _ZL29rocblas_internal_gemmt_kernelIlLi16ELi32ELi8ELc78ELc67ELc76ELb0ELb0EfPKfS1_PfEviT_T9_T10_S3_lS5_S3_lS4_T11_S3_li.numbered_sgpr, 35
	.set _ZL29rocblas_internal_gemmt_kernelIlLi16ELi32ELi8ELc78ELc67ELc76ELb0ELb0EfPKfS1_PfEviT_T9_T10_S3_lS5_S3_lS4_T11_S3_li.num_named_barrier, 0
	.set _ZL29rocblas_internal_gemmt_kernelIlLi16ELi32ELi8ELc78ELc67ELc76ELb0ELb0EfPKfS1_PfEviT_T9_T10_S3_lS5_S3_lS4_T11_S3_li.private_seg_size, 0
	.set _ZL29rocblas_internal_gemmt_kernelIlLi16ELi32ELi8ELc78ELc67ELc76ELb0ELb0EfPKfS1_PfEviT_T9_T10_S3_lS5_S3_lS4_T11_S3_li.uses_vcc, 1
	.set _ZL29rocblas_internal_gemmt_kernelIlLi16ELi32ELi8ELc78ELc67ELc76ELb0ELb0EfPKfS1_PfEviT_T9_T10_S3_lS5_S3_lS4_T11_S3_li.uses_flat_scratch, 0
	.set _ZL29rocblas_internal_gemmt_kernelIlLi16ELi32ELi8ELc78ELc67ELc76ELb0ELb0EfPKfS1_PfEviT_T9_T10_S3_lS5_S3_lS4_T11_S3_li.has_dyn_sized_stack, 0
	.set _ZL29rocblas_internal_gemmt_kernelIlLi16ELi32ELi8ELc78ELc67ELc76ELb0ELb0EfPKfS1_PfEviT_T9_T10_S3_lS5_S3_lS4_T11_S3_li.has_recursion, 0
	.set _ZL29rocblas_internal_gemmt_kernelIlLi16ELi32ELi8ELc78ELc67ELc76ELb0ELb0EfPKfS1_PfEviT_T9_T10_S3_lS5_S3_lS4_T11_S3_li.has_indirect_call, 0
	.section	.AMDGPU.csdata,"",@progbits
; Kernel info:
; codeLenInByte = 1600
; TotalNumSgprs: 37
; NumVgprs: 54
; ScratchSize: 0
; MemoryBound: 0
; FloatMode: 240
; IeeeMode: 1
; LDSByteSize: 2048 bytes/workgroup (compile time only)
; SGPRBlocks: 0
; VGPRBlocks: 3
; NumSGPRsForWavesPerEU: 37
; NumVGPRsForWavesPerEU: 54
; NamedBarCnt: 0
; Occupancy: 16
; WaveLimiterHint : 0
; COMPUTE_PGM_RSRC2:SCRATCH_EN: 0
; COMPUTE_PGM_RSRC2:USER_SGPR: 2
; COMPUTE_PGM_RSRC2:TRAP_HANDLER: 0
; COMPUTE_PGM_RSRC2:TGID_X_EN: 1
; COMPUTE_PGM_RSRC2:TGID_Y_EN: 1
; COMPUTE_PGM_RSRC2:TGID_Z_EN: 1
; COMPUTE_PGM_RSRC2:TIDIG_COMP_CNT: 1
	.section	.text._ZL29rocblas_internal_gemmt_kernelIlLi16ELi32ELi8ELc84ELc78ELc76ELb0ELb0EfPKfS1_PfEviT_T9_T10_S3_lS5_S3_lS4_T11_S3_li,"axG",@progbits,_ZL29rocblas_internal_gemmt_kernelIlLi16ELi32ELi8ELc84ELc78ELc76ELb0ELb0EfPKfS1_PfEviT_T9_T10_S3_lS5_S3_lS4_T11_S3_li,comdat
	.globl	_ZL29rocblas_internal_gemmt_kernelIlLi16ELi32ELi8ELc84ELc78ELc76ELb0ELb0EfPKfS1_PfEviT_T9_T10_S3_lS5_S3_lS4_T11_S3_li ; -- Begin function _ZL29rocblas_internal_gemmt_kernelIlLi16ELi32ELi8ELc84ELc78ELc76ELb0ELb0EfPKfS1_PfEviT_T9_T10_S3_lS5_S3_lS4_T11_S3_li
	.p2align	8
	.type	_ZL29rocblas_internal_gemmt_kernelIlLi16ELi32ELi8ELc84ELc78ELc76ELb0ELb0EfPKfS1_PfEviT_T9_T10_S3_lS5_S3_lS4_T11_S3_li,@function
_ZL29rocblas_internal_gemmt_kernelIlLi16ELi32ELi8ELc84ELc78ELc76ELb0ELb0EfPKfS1_PfEviT_T9_T10_S3_lS5_S3_lS4_T11_S3_li: ; @_ZL29rocblas_internal_gemmt_kernelIlLi16ELi32ELi8ELc84ELc78ELc76ELb0ELb0EfPKfS1_PfEviT_T9_T10_S3_lS5_S3_lS4_T11_S3_li
; %bb.0:
	s_clause 0x1
	s_load_b256 s[24:31], s[0:1], 0x48
	s_load_b512 s[8:23], s[0:1], 0x8
	s_wait_kmcnt 0x0
	s_load_b32 s33, s[24:25], 0x0
	s_load_b32 s34, s[10:11], 0x0
	s_wait_kmcnt 0x0
	s_cmp_neq_f32 s33, 1.0
	s_cselect_b32 s2, -1, 0
	s_delay_alu instid0(SALU_CYCLE_1)
	s_and_b32 vcc_lo, exec_lo, s2
	s_cbranch_vccnz .LBB156_2
; %bb.1:
	s_cmp_lg_u64 s[8:9], 0
	s_cselect_b32 s2, -1, 0
	s_cmp_neq_f32 s34, 0
	s_cselect_b32 s3, -1, 0
	s_delay_alu instid0(SALU_CYCLE_1)
	s_and_b32 s2, s2, s3
.LBB156_2:
	s_delay_alu instid0(SALU_CYCLE_1)
	s_and_not1_b32 vcc_lo, exec_lo, s2
	s_cbranch_vccnz .LBB156_35
; %bb.3:
	s_load_b32 s10, s[0:1], 0x68
	s_bfe_u32 s2, ttmp6, 0x40014
	s_lshr_b32 s3, ttmp7, 16
	s_add_co_i32 s2, s2, 1
	s_bfe_u32 s5, ttmp6, 0x40008
	s_mul_i32 s4, s3, s2
	s_getreg_b32 s2, hwreg(HW_REG_IB_STS2, 6, 4)
	s_add_co_i32 s5, s5, s4
	s_cmp_eq_u32 s2, 0
	s_mov_b32 s7, 0
	s_cselect_b32 s6, s3, s5
	s_wait_kmcnt 0x0
	s_cmp_ge_u32 s6, s10
	s_cbranch_scc1 .LBB156_35
; %bb.4:
	v_and_b32_e32 v8, 0x3ff, v0
	v_bfe_u32 v2, v0, 10, 10
	s_bfe_u32 s4, ttmp6, 0x4000c
	s_bfe_u32 s11, ttmp6, 0x40010
	s_and_b32 s5, ttmp7, 0xffff
	s_add_co_i32 s4, s4, 1
	s_add_co_i32 s11, s11, 1
	v_lshl_add_u32 v6, v2, 4, v8
	s_and_b32 s3, ttmp6, 15
	s_mul_i32 s4, ttmp9, s4
	s_mul_i32 s11, s5, s11
	s_bfe_u32 s24, ttmp6, 0x40004
	s_add_co_i32 s3, s3, s4
	s_add_co_i32 s24, s24, s11
	s_cmp_eq_u32 s2, 0
	v_dual_lshrrev_b32 v9, 3, v6 :: v_dual_bitop2_b32 v10, 31, v6 bitop3:0x40
	s_cselect_b32 s2, ttmp9, s3
	s_cselect_b32 s3, s5, s24
	s_lshl_b32 s2, s2, 5
	s_lshl_b32 s3, s3, 5
	s_delay_alu instid0(SALU_CYCLE_1) | instskip(SKIP_2) | instid1(VALU_DEP_2)
	v_dual_add_nc_u32 v14, s3, v9 :: v_dual_bitop2_b32 v12, s2, v10 bitop3:0x54
	v_dual_add_nc_u32 v16, s3, v2 :: v_dual_bitop2_b32 v0, 7, v0 bitop3:0x40
	s_load_b32 s3, s[0:1], 0x0
	v_dual_ashrrev_i32 v13, 31, v12 :: v_dual_ashrrev_i32 v15, 31, v14
	s_delay_alu instid0(VALU_DEP_2) | instskip(NEXT) | instid1(VALU_DEP_3)
	v_dual_add_nc_u32 v22, 16, v16 :: v_dual_ashrrev_i32 v17, 31, v16
	v_lshlrev_b32_e32 v11, 2, v0
	s_delay_alu instid0(VALU_DEP_3) | instskip(NEXT) | instid1(VALU_DEP_4)
	v_mul_u64_e32 v[18:19], s[14:15], v[12:13]
	v_mul_u64_e32 v[20:21], s[20:21], v[14:15]
	s_delay_alu instid0(VALU_DEP_4) | instskip(SKIP_3) | instid1(VALU_DEP_4)
	v_ashrrev_i32_e32 v23, 31, v22
	v_lshl_add_u32 v7, v2, 5, 0x400
	v_mul_u64_e32 v[2:3], s[28:29], v[16:17]
	v_dual_lshlrev_b32 v1, 2, v8 :: v_dual_lshrrev_b32 v6, 5, v6
	v_mul_u64_e32 v[4:5], s[28:29], v[22:23]
	v_dual_add_nc_u32 v8, s2, v8 :: v_dual_lshlrev_b32 v13, 2, v10
	s_cmp_neq_f32 s34, 0
	v_lshl_or_b32 v11, v9, 5, v11
	v_cmp_gt_i64_e64 s15, s[8:9], 0
	s_delay_alu instid0(VALU_DEP_3)
	v_cmp_le_i32_e32 vcc_lo, v16, v8
	v_dual_ashrrev_i32 v9, 31, v8 :: v_dual_add_nc_u32 v10, 16, v8
	s_wait_kmcnt 0x0
	v_cmp_gt_i32_e64 s2, s3, v8
	s_cselect_b32 s20, -1, 0
	s_cmp_neq_f32 s33, 0
	v_cmp_gt_i32_e64 s0, s3, v12
	v_cmp_gt_i32_e64 s1, s3, v14
	v_cmp_gt_i32_e64 s3, s3, v10
	s_cselect_b32 s11, -1, 0
	s_and_b32 s14, vcc_lo, s2
	v_cmp_le_i32_e32 vcc_lo, v16, v10
	v_cmp_le_i32_e64 s4, v22, v8
	v_cmp_le_i32_e64 s5, v22, v10
	v_lshl_or_b32 v26, v6, 7, v13
	v_add_nc_u32_e32 v27, 0x400, v11
	v_dual_ashrrev_i32 v11, 31, v10 :: v_dual_mov_b32 v17, 0
	s_and_b32 s4, s4, s2
	v_lshl_add_u64 v[12:13], v[18:19], 2, s[12:13]
	v_lshl_add_u64 v[14:15], v[20:21], 2, s[18:19]
	s_and_b32 s12, s20, s15
	s_and_b32 s13, vcc_lo, s3
	s_and_b32 s5, s5, s3
	s_branch .LBB156_6
.LBB156_5:                              ;   in Loop: Header=BB156_6 Depth=1
	s_wait_xcnt 0x0
	s_or_b32 exec_lo, exec_lo, s2
	s_add_co_i32 s6, s6, 0x10000
	s_delay_alu instid0(SALU_CYCLE_1)
	s_cmp_lt_u32 s6, s10
	s_cbranch_scc0 .LBB156_35
.LBB156_6:                              ; =>This Loop Header: Depth=1
                                        ;     Child Loop BB156_9 Depth 2
	v_dual_mov_b32 v25, v17 :: v_dual_mov_b32 v24, v17
	v_dual_mov_b32 v19, v17 :: v_dual_mov_b32 v18, v17
	s_and_not1_b32 vcc_lo, exec_lo, s12
	s_cbranch_vccnz .LBB156_15
; %bb.7:                                ;   in Loop: Header=BB156_6 Depth=1
	v_mov_b32_e32 v18, 0
	s_mul_u64 s[2:3], s[16:17], s[6:7]
	s_mul_u64 s[18:19], s[22:23], s[6:7]
	v_lshl_add_u64 v[20:21], s[2:3], 2, v[12:13]
	v_lshl_add_u64 v[22:23], s[18:19], 2, v[14:15]
	v_dual_mov_b32 v19, v18 :: v_dual_mov_b32 v24, v18
	v_mov_b32_e32 v25, v18
	s_mov_b64 s[2:3], 0
	s_branch .LBB156_9
.LBB156_8:                              ;   in Loop: Header=BB156_9 Depth=2
	s_wait_xcnt 0x0
	s_or_b32 exec_lo, exec_lo, s15
	s_wait_loadcnt 0x0
	ds_store_b32 v27, v29
	s_wait_dscnt 0x0
	s_barrier_signal -1
	s_barrier_wait -1
	ds_load_b128 v[28:31], v7
	ds_load_2addr_b32 v[44:45], v1 offset1:16
	ds_load_b128 v[32:35], v7 offset:512
	ds_load_2addr_b32 v[46:47], v1 offset0:32 offset1:48
	ds_load_2addr_b32 v[48:49], v1 offset0:64 offset1:80
	;; [unrolled: 1-line block ×3, first 2 shown]
	ds_load_b128 v[36:39], v7 offset:16
	ds_load_2addr_b32 v[52:53], v1 offset0:128 offset1:144
	ds_load_b128 v[40:43], v7 offset:528
	s_add_nc_u64 s[2:3], s[2:3], 8
	s_delay_alu instid0(SALU_CYCLE_1)
	v_cmp_gt_i64_e64 s15, s[8:9], s[2:3]
	s_and_b32 vcc_lo, exec_lo, s15
	s_wait_dscnt 0x8
	v_mov_b32_e32 v16, v31
	s_wait_dscnt 0x7
	v_pk_fma_f32 v[24:25], v[44:45], v[28:29], v[24:25] op_sel_hi:[1,0,1]
	s_wait_dscnt 0x6
	v_pk_fma_f32 v[18:19], v[44:45], v[32:33], v[18:19] op_sel_hi:[1,0,1]
	ds_load_2addr_b32 v[44:45], v1 offset0:160 offset1:176
	s_wait_dscnt 0x6
	v_pk_fma_f32 v[24:25], v[46:47], v[28:29], v[24:25] op_sel:[0,1,0]
	v_pk_fma_f32 v[18:19], v[46:47], v[32:33], v[18:19] op_sel:[0,1,0]
	ds_load_2addr_b32 v[28:29], v1 offset0:192 offset1:208
	v_mov_b32_e32 v32, v35
	s_wait_dscnt 0x6
	v_pk_fma_f32 v[24:25], v[48:49], v[30:31], v[24:25] op_sel_hi:[1,0,1]
	v_pk_fma_f32 v[18:19], v[48:49], v[34:35], v[18:19] op_sel_hi:[1,0,1]
	ds_load_2addr_b32 v[30:31], v1 offset0:224 offset1:240
	s_wait_dscnt 0x0
	s_barrier_signal -1
	v_pk_fma_f32 v[24:25], v[50:51], v[16:17], v[24:25] op_sel_hi:[1,0,1]
	v_pk_fma_f32 v[18:19], v[50:51], v[32:33], v[18:19] op_sel_hi:[1,0,1]
	v_dual_mov_b32 v16, v39 :: v_dual_mov_b32 v32, v43
	s_barrier_wait -1
	s_delay_alu instid0(VALU_DEP_3) | instskip(NEXT) | instid1(VALU_DEP_3)
	v_pk_fma_f32 v[24:25], v[52:53], v[36:37], v[24:25] op_sel_hi:[1,0,1]
	v_pk_fma_f32 v[18:19], v[52:53], v[40:41], v[18:19] op_sel_hi:[1,0,1]
	s_delay_alu instid0(VALU_DEP_2) | instskip(NEXT) | instid1(VALU_DEP_2)
	v_pk_fma_f32 v[24:25], v[44:45], v[36:37], v[24:25] op_sel:[0,1,0]
	v_pk_fma_f32 v[18:19], v[44:45], v[40:41], v[18:19] op_sel:[0,1,0]
	s_delay_alu instid0(VALU_DEP_2) | instskip(NEXT) | instid1(VALU_DEP_2)
	v_pk_fma_f32 v[24:25], v[28:29], v[38:39], v[24:25] op_sel_hi:[1,0,1]
	v_pk_fma_f32 v[18:19], v[28:29], v[42:43], v[18:19] op_sel_hi:[1,0,1]
	s_delay_alu instid0(VALU_DEP_2) | instskip(NEXT) | instid1(VALU_DEP_2)
	v_pk_fma_f32 v[24:25], v[30:31], v[16:17], v[24:25] op_sel_hi:[1,0,1]
	v_pk_fma_f32 v[18:19], v[30:31], v[32:33], v[18:19] op_sel_hi:[1,0,1]
	s_cbranch_vccz .LBB156_15
.LBB156_9:                              ;   Parent Loop BB156_6 Depth=1
                                        ; =>  This Inner Loop Header: Depth=2
	v_mov_b32_e32 v28, 0
	s_and_saveexec_b32 s15, s0
	s_cbranch_execz .LBB156_13
; %bb.10:                               ;   in Loop: Header=BB156_9 Depth=2
	v_dual_add_nc_u32 v16, s2, v6 :: v_dual_mov_b32 v28, 0
	s_mov_b32 s18, exec_lo
	s_delay_alu instid0(VALU_DEP_1)
	v_cmpx_gt_u64_e64 s[8:9], v[16:17]
	s_cbranch_execz .LBB156_12
; %bb.11:                               ;   in Loop: Header=BB156_9 Depth=2
	v_lshl_add_u64 v[28:29], v[16:17], 2, v[20:21]
	global_load_b32 v28, v[28:29], off
.LBB156_12:                             ;   in Loop: Header=BB156_9 Depth=2
	s_wait_xcnt 0x0
	s_or_b32 exec_lo, exec_lo, s18
.LBB156_13:                             ;   in Loop: Header=BB156_9 Depth=2
	s_delay_alu instid0(SALU_CYCLE_1)
	s_or_b32 exec_lo, exec_lo, s15
	v_dual_mov_b32 v29, 0 :: v_dual_add_nc_u32 v16, s2, v0
	s_wait_loadcnt 0x0
	ds_store_b32 v26, v28
	v_cmp_gt_u64_e32 vcc_lo, s[8:9], v[16:17]
	s_and_b32 s18, vcc_lo, s1
	s_delay_alu instid0(SALU_CYCLE_1)
	s_and_saveexec_b32 s15, s18
	s_cbranch_execz .LBB156_8
; %bb.14:                               ;   in Loop: Header=BB156_9 Depth=2
	v_lshl_add_u64 v[28:29], v[16:17], 2, v[22:23]
	global_load_b32 v29, v[28:29], off
	s_branch .LBB156_8
.LBB156_15:                             ;   in Loop: Header=BB156_6 Depth=1
	s_mul_u64 s[2:3], s[30:31], s[6:7]
	s_delay_alu instid0(SALU_CYCLE_1) | instskip(NEXT) | instid1(SALU_CYCLE_1)
	s_lshl_b64 s[2:3], s[2:3], 2
	s_add_nc_u64 s[2:3], s[26:27], s[2:3]
	s_delay_alu instid0(SALU_CYCLE_1)
	v_lshl_add_u64 v[20:21], v[2:3], 2, s[2:3]
	s_and_saveexec_b32 s15, s14
	s_cbranch_execz .LBB156_19
; %bb.16:                               ;   in Loop: Header=BB156_6 Depth=1
	v_mul_f32_e32 v16, s34, v24
	s_delay_alu instid0(VALU_DEP_2)
	v_lshl_add_u64 v[22:23], v[8:9], 2, v[20:21]
	s_and_b32 vcc_lo, exec_lo, s11
	s_cbranch_vccz .LBB156_30
; %bb.17:                               ;   in Loop: Header=BB156_6 Depth=1
	global_load_b32 v24, v[22:23], off
	s_wait_loadcnt 0x0
	v_fma_f32 v24, s33, v24, v16
	global_store_b32 v[22:23], v24, off
	s_cbranch_execnz .LBB156_19
.LBB156_18:                             ;   in Loop: Header=BB156_6 Depth=1
	global_store_b32 v[22:23], v16, off
.LBB156_19:                             ;   in Loop: Header=BB156_6 Depth=1
	s_wait_xcnt 0x0
	s_or_b32 exec_lo, exec_lo, s15
	s_and_saveexec_b32 s15, s13
	s_cbranch_execz .LBB156_23
; %bb.20:                               ;   in Loop: Header=BB156_6 Depth=1
	v_mul_f32_e32 v16, s34, v25
	v_lshl_add_u64 v[20:21], v[10:11], 2, v[20:21]
	s_and_not1_b32 vcc_lo, exec_lo, s11
	s_cbranch_vccnz .LBB156_31
; %bb.21:                               ;   in Loop: Header=BB156_6 Depth=1
	global_load_b32 v22, v[20:21], off
	s_wait_loadcnt 0x0
	v_fma_f32 v22, s33, v22, v16
	global_store_b32 v[20:21], v22, off
	s_cbranch_execnz .LBB156_23
.LBB156_22:                             ;   in Loop: Header=BB156_6 Depth=1
	global_store_b32 v[20:21], v16, off
.LBB156_23:                             ;   in Loop: Header=BB156_6 Depth=1
	s_wait_xcnt 0x0
	s_or_b32 exec_lo, exec_lo, s15
	v_lshl_add_u64 v[20:21], v[4:5], 2, s[2:3]
	s_and_saveexec_b32 s2, s4
	s_cbranch_execz .LBB156_27
; %bb.24:                               ;   in Loop: Header=BB156_6 Depth=1
	v_mul_f32_e32 v16, s34, v18
	s_delay_alu instid0(VALU_DEP_2)
	v_lshl_add_u64 v[22:23], v[8:9], 2, v[20:21]
	s_and_not1_b32 vcc_lo, exec_lo, s11
	s_cbranch_vccnz .LBB156_32
; %bb.25:                               ;   in Loop: Header=BB156_6 Depth=1
	global_load_b32 v18, v[22:23], off
	s_wait_loadcnt 0x0
	v_fma_f32 v18, s33, v18, v16
	global_store_b32 v[22:23], v18, off
	s_cbranch_execnz .LBB156_27
.LBB156_26:                             ;   in Loop: Header=BB156_6 Depth=1
	global_store_b32 v[22:23], v16, off
.LBB156_27:                             ;   in Loop: Header=BB156_6 Depth=1
	s_wait_xcnt 0x0
	s_or_b32 exec_lo, exec_lo, s2
	s_and_saveexec_b32 s2, s5
	s_cbranch_execz .LBB156_5
; %bb.28:                               ;   in Loop: Header=BB156_6 Depth=1
	v_mul_f32_e32 v16, s34, v19
	v_lshl_add_u64 v[18:19], v[10:11], 2, v[20:21]
	s_and_not1_b32 vcc_lo, exec_lo, s11
	s_cbranch_vccnz .LBB156_33
; %bb.29:                               ;   in Loop: Header=BB156_6 Depth=1
	global_load_b32 v20, v[18:19], off
	s_wait_loadcnt 0x0
	v_fma_f32 v20, s33, v20, v16
	global_store_b32 v[18:19], v20, off
	s_cbranch_execnz .LBB156_5
	s_branch .LBB156_34
.LBB156_30:                             ;   in Loop: Header=BB156_6 Depth=1
	s_branch .LBB156_18
.LBB156_31:                             ;   in Loop: Header=BB156_6 Depth=1
	s_branch .LBB156_22
.LBB156_32:                             ;   in Loop: Header=BB156_6 Depth=1
	s_branch .LBB156_26
.LBB156_33:                             ;   in Loop: Header=BB156_6 Depth=1
.LBB156_34:                             ;   in Loop: Header=BB156_6 Depth=1
	global_store_b32 v[18:19], v16, off
	s_branch .LBB156_5
.LBB156_35:
	s_endpgm
	.section	.rodata,"a",@progbits
	.p2align	6, 0x0
	.amdhsa_kernel _ZL29rocblas_internal_gemmt_kernelIlLi16ELi32ELi8ELc84ELc78ELc76ELb0ELb0EfPKfS1_PfEviT_T9_T10_S3_lS5_S3_lS4_T11_S3_li
		.amdhsa_group_segment_fixed_size 2048
		.amdhsa_private_segment_fixed_size 0
		.amdhsa_kernarg_size 108
		.amdhsa_user_sgpr_count 2
		.amdhsa_user_sgpr_dispatch_ptr 0
		.amdhsa_user_sgpr_queue_ptr 0
		.amdhsa_user_sgpr_kernarg_segment_ptr 1
		.amdhsa_user_sgpr_dispatch_id 0
		.amdhsa_user_sgpr_kernarg_preload_length 0
		.amdhsa_user_sgpr_kernarg_preload_offset 0
		.amdhsa_user_sgpr_private_segment_size 0
		.amdhsa_wavefront_size32 1
		.amdhsa_uses_dynamic_stack 0
		.amdhsa_enable_private_segment 0
		.amdhsa_system_sgpr_workgroup_id_x 1
		.amdhsa_system_sgpr_workgroup_id_y 1
		.amdhsa_system_sgpr_workgroup_id_z 1
		.amdhsa_system_sgpr_workgroup_info 0
		.amdhsa_system_vgpr_workitem_id 1
		.amdhsa_next_free_vgpr 54
		.amdhsa_next_free_sgpr 35
		.amdhsa_named_barrier_count 0
		.amdhsa_reserve_vcc 1
		.amdhsa_float_round_mode_32 0
		.amdhsa_float_round_mode_16_64 0
		.amdhsa_float_denorm_mode_32 3
		.amdhsa_float_denorm_mode_16_64 3
		.amdhsa_fp16_overflow 0
		.amdhsa_memory_ordered 1
		.amdhsa_forward_progress 1
		.amdhsa_inst_pref_size 13
		.amdhsa_round_robin_scheduling 0
		.amdhsa_exception_fp_ieee_invalid_op 0
		.amdhsa_exception_fp_denorm_src 0
		.amdhsa_exception_fp_ieee_div_zero 0
		.amdhsa_exception_fp_ieee_overflow 0
		.amdhsa_exception_fp_ieee_underflow 0
		.amdhsa_exception_fp_ieee_inexact 0
		.amdhsa_exception_int_div_zero 0
	.end_amdhsa_kernel
	.section	.text._ZL29rocblas_internal_gemmt_kernelIlLi16ELi32ELi8ELc84ELc78ELc76ELb0ELb0EfPKfS1_PfEviT_T9_T10_S3_lS5_S3_lS4_T11_S3_li,"axG",@progbits,_ZL29rocblas_internal_gemmt_kernelIlLi16ELi32ELi8ELc84ELc78ELc76ELb0ELb0EfPKfS1_PfEviT_T9_T10_S3_lS5_S3_lS4_T11_S3_li,comdat
.Lfunc_end156:
	.size	_ZL29rocblas_internal_gemmt_kernelIlLi16ELi32ELi8ELc84ELc78ELc76ELb0ELb0EfPKfS1_PfEviT_T9_T10_S3_lS5_S3_lS4_T11_S3_li, .Lfunc_end156-_ZL29rocblas_internal_gemmt_kernelIlLi16ELi32ELi8ELc84ELc78ELc76ELb0ELb0EfPKfS1_PfEviT_T9_T10_S3_lS5_S3_lS4_T11_S3_li
                                        ; -- End function
	.set _ZL29rocblas_internal_gemmt_kernelIlLi16ELi32ELi8ELc84ELc78ELc76ELb0ELb0EfPKfS1_PfEviT_T9_T10_S3_lS5_S3_lS4_T11_S3_li.num_vgpr, 54
	.set _ZL29rocblas_internal_gemmt_kernelIlLi16ELi32ELi8ELc84ELc78ELc76ELb0ELb0EfPKfS1_PfEviT_T9_T10_S3_lS5_S3_lS4_T11_S3_li.num_agpr, 0
	.set _ZL29rocblas_internal_gemmt_kernelIlLi16ELi32ELi8ELc84ELc78ELc76ELb0ELb0EfPKfS1_PfEviT_T9_T10_S3_lS5_S3_lS4_T11_S3_li.numbered_sgpr, 35
	.set _ZL29rocblas_internal_gemmt_kernelIlLi16ELi32ELi8ELc84ELc78ELc76ELb0ELb0EfPKfS1_PfEviT_T9_T10_S3_lS5_S3_lS4_T11_S3_li.num_named_barrier, 0
	.set _ZL29rocblas_internal_gemmt_kernelIlLi16ELi32ELi8ELc84ELc78ELc76ELb0ELb0EfPKfS1_PfEviT_T9_T10_S3_lS5_S3_lS4_T11_S3_li.private_seg_size, 0
	.set _ZL29rocblas_internal_gemmt_kernelIlLi16ELi32ELi8ELc84ELc78ELc76ELb0ELb0EfPKfS1_PfEviT_T9_T10_S3_lS5_S3_lS4_T11_S3_li.uses_vcc, 1
	.set _ZL29rocblas_internal_gemmt_kernelIlLi16ELi32ELi8ELc84ELc78ELc76ELb0ELb0EfPKfS1_PfEviT_T9_T10_S3_lS5_S3_lS4_T11_S3_li.uses_flat_scratch, 0
	.set _ZL29rocblas_internal_gemmt_kernelIlLi16ELi32ELi8ELc84ELc78ELc76ELb0ELb0EfPKfS1_PfEviT_T9_T10_S3_lS5_S3_lS4_T11_S3_li.has_dyn_sized_stack, 0
	.set _ZL29rocblas_internal_gemmt_kernelIlLi16ELi32ELi8ELc84ELc78ELc76ELb0ELb0EfPKfS1_PfEviT_T9_T10_S3_lS5_S3_lS4_T11_S3_li.has_recursion, 0
	.set _ZL29rocblas_internal_gemmt_kernelIlLi16ELi32ELi8ELc84ELc78ELc76ELb0ELb0EfPKfS1_PfEviT_T9_T10_S3_lS5_S3_lS4_T11_S3_li.has_indirect_call, 0
	.section	.AMDGPU.csdata,"",@progbits
; Kernel info:
; codeLenInByte = 1596
; TotalNumSgprs: 37
; NumVgprs: 54
; ScratchSize: 0
; MemoryBound: 0
; FloatMode: 240
; IeeeMode: 1
; LDSByteSize: 2048 bytes/workgroup (compile time only)
; SGPRBlocks: 0
; VGPRBlocks: 3
; NumSGPRsForWavesPerEU: 37
; NumVGPRsForWavesPerEU: 54
; NamedBarCnt: 0
; Occupancy: 16
; WaveLimiterHint : 0
; COMPUTE_PGM_RSRC2:SCRATCH_EN: 0
; COMPUTE_PGM_RSRC2:USER_SGPR: 2
; COMPUTE_PGM_RSRC2:TRAP_HANDLER: 0
; COMPUTE_PGM_RSRC2:TGID_X_EN: 1
; COMPUTE_PGM_RSRC2:TGID_Y_EN: 1
; COMPUTE_PGM_RSRC2:TGID_Z_EN: 1
; COMPUTE_PGM_RSRC2:TIDIG_COMP_CNT: 1
	.section	.text._ZL29rocblas_internal_gemmt_kernelIlLi16ELi32ELi8ELc84ELc84ELc76ELb0ELb0EfPKfS1_PfEviT_T9_T10_S3_lS5_S3_lS4_T11_S3_li,"axG",@progbits,_ZL29rocblas_internal_gemmt_kernelIlLi16ELi32ELi8ELc84ELc84ELc76ELb0ELb0EfPKfS1_PfEviT_T9_T10_S3_lS5_S3_lS4_T11_S3_li,comdat
	.globl	_ZL29rocblas_internal_gemmt_kernelIlLi16ELi32ELi8ELc84ELc84ELc76ELb0ELb0EfPKfS1_PfEviT_T9_T10_S3_lS5_S3_lS4_T11_S3_li ; -- Begin function _ZL29rocblas_internal_gemmt_kernelIlLi16ELi32ELi8ELc84ELc84ELc76ELb0ELb0EfPKfS1_PfEviT_T9_T10_S3_lS5_S3_lS4_T11_S3_li
	.p2align	8
	.type	_ZL29rocblas_internal_gemmt_kernelIlLi16ELi32ELi8ELc84ELc84ELc76ELb0ELb0EfPKfS1_PfEviT_T9_T10_S3_lS5_S3_lS4_T11_S3_li,@function
_ZL29rocblas_internal_gemmt_kernelIlLi16ELi32ELi8ELc84ELc84ELc76ELb0ELb0EfPKfS1_PfEviT_T9_T10_S3_lS5_S3_lS4_T11_S3_li: ; @_ZL29rocblas_internal_gemmt_kernelIlLi16ELi32ELi8ELc84ELc84ELc76ELb0ELb0EfPKfS1_PfEviT_T9_T10_S3_lS5_S3_lS4_T11_S3_li
; %bb.0:
	s_clause 0x1
	s_load_b256 s[24:31], s[0:1], 0x48
	s_load_b512 s[8:23], s[0:1], 0x8
	s_wait_kmcnt 0x0
	s_load_b32 s33, s[24:25], 0x0
	s_load_b32 s34, s[10:11], 0x0
	s_wait_kmcnt 0x0
	s_cmp_neq_f32 s33, 1.0
	s_cselect_b32 s2, -1, 0
	s_delay_alu instid0(SALU_CYCLE_1)
	s_and_b32 vcc_lo, exec_lo, s2
	s_cbranch_vccnz .LBB157_2
; %bb.1:
	s_cmp_lg_u64 s[8:9], 0
	s_cselect_b32 s2, -1, 0
	s_cmp_neq_f32 s34, 0
	s_cselect_b32 s3, -1, 0
	s_delay_alu instid0(SALU_CYCLE_1)
	s_and_b32 s2, s2, s3
.LBB157_2:
	s_delay_alu instid0(SALU_CYCLE_1)
	s_and_not1_b32 vcc_lo, exec_lo, s2
	s_cbranch_vccnz .LBB157_35
; %bb.3:
	s_load_b32 s10, s[0:1], 0x68
	s_bfe_u32 s2, ttmp6, 0x40014
	s_lshr_b32 s3, ttmp7, 16
	s_add_co_i32 s2, s2, 1
	s_bfe_u32 s5, ttmp6, 0x40008
	s_mul_i32 s4, s3, s2
	s_getreg_b32 s2, hwreg(HW_REG_IB_STS2, 6, 4)
	s_add_co_i32 s5, s5, s4
	s_cmp_eq_u32 s2, 0
	s_mov_b32 s7, 0
	s_cselect_b32 s6, s3, s5
	s_wait_kmcnt 0x0
	s_cmp_ge_u32 s6, s10
	s_cbranch_scc1 .LBB157_35
; %bb.4:
	s_bfe_u32 s3, ttmp6, 0x4000c
	s_bfe_u32 s5, ttmp6, 0x40010
	v_and_b32_e32 v8, 0x3ff, v0
	v_bfe_u32 v2, v0, 10, 10
	s_add_co_i32 s3, s3, 1
	s_and_b32 s11, ttmp7, 0xffff
	s_add_co_i32 s5, s5, 1
	s_and_b32 s4, ttmp6, 15
	s_mul_i32 s3, ttmp9, s3
	s_mul_i32 s5, s11, s5
	s_bfe_u32 s24, ttmp6, 0x40004
	v_lshl_add_u32 v4, v2, 4, v8
	s_add_co_i32 s4, s4, s3
	s_add_co_i32 s24, s24, s5
	s_cmp_eq_u32 s2, 0
	v_lshl_add_u32 v3, v2, 5, 0x400
	s_cselect_b32 s3, s11, s24
	s_cselect_b32 s2, ttmp9, s4
	s_lshl_b32 s3, s3, 5
	s_delay_alu instid0(SALU_CYCLE_1) | instskip(SKIP_3) | instid1(VALU_DEP_2)
	v_dual_add_nc_u32 v14, s3, v2 :: v_dual_bitop2_b32 v9, 31, v4 bitop3:0x40
	s_lshl_b32 s2, s2, 5
	s_load_b32 s4, s[0:1], 0x0
	v_dual_lshrrev_b32 v2, 5, v4 :: v_dual_lshrrev_b32 v11, 3, v4
	v_dual_add_nc_u32 v18, 16, v14 :: v_dual_bitop2_b32 v12, s2, v9 bitop3:0x54
	v_dual_ashrrev_i32 v15, 31, v14 :: v_dual_bitop2_b32 v0, 7, v0 bitop3:0x40
	v_dual_lshlrev_b32 v1, 2, v8 :: v_dual_add_nc_u32 v8, s2, v8
	s_delay_alu instid0(VALU_DEP_3) | instskip(NEXT) | instid1(VALU_DEP_3)
	v_dual_ashrrev_i32 v13, 31, v12 :: v_dual_ashrrev_i32 v19, 31, v18
	v_mul_u64_e32 v[4:5], s[28:29], v[14:15]
	s_delay_alu instid0(VALU_DEP_4) | instskip(NEXT) | instid1(VALU_DEP_3)
	v_dual_lshlrev_b32 v10, 2, v0 :: v_dual_add_nc_u32 v20, s3, v11
	v_mul_u64_e32 v[16:17], s[14:15], v[12:13]
	s_delay_alu instid0(VALU_DEP_4) | instskip(SKIP_1) | instid1(VALU_DEP_3)
	v_mul_u64_e32 v[6:7], s[28:29], v[18:19]
	s_cmp_neq_f32 s34, 0
	v_lshl_or_b32 v11, v11, 5, v10
	v_add_nc_u32_e32 v10, 16, v8
	v_cmp_le_i32_e32 vcc_lo, v14, v8
	s_wait_kmcnt 0x0
	v_cmp_gt_i32_e64 s2, s4, v8
	s_cselect_b32 s24, -1, 0
	s_cmp_neq_f32 s33, 0
	v_dual_lshlrev_b32 v13, 2, v9 :: v_dual_ashrrev_i32 v9, 31, v8
	v_cmp_le_i32_e64 s3, v14, v10
	v_cmp_gt_i64_e64 s15, s[8:9], 0
	v_cmp_gt_i32_e64 s0, s4, v12
	v_cmp_gt_i32_e64 s1, s4, v20
	s_cselect_b32 s11, -1, 0
	s_and_b32 s14, vcc_lo, s2
	v_lshl_or_b32 v26, v2, 7, v13
	v_add_nc_u32_e32 v27, 0x400, v11
	v_lshl_add_u64 v[14:15], v[16:17], 2, s[12:13]
	v_dual_mov_b32 v17, 0 :: v_dual_ashrrev_i32 v21, 31, v20
	v_ashrrev_i32_e32 v11, 31, v10
	v_cmp_gt_i32_e32 vcc_lo, s4, v10
	v_cmp_le_i32_e64 s4, v18, v8
	v_cmp_le_i32_e64 s5, v18, v10
	v_lshl_add_u64 v[12:13], v[20:21], 2, s[18:19]
	s_and_b32 s12, s24, s15
	s_and_b32 s13, s3, vcc_lo
	s_and_b32 s4, s4, s2
	s_and_b32 s5, s5, vcc_lo
	s_branch .LBB157_6
.LBB157_5:                              ;   in Loop: Header=BB157_6 Depth=1
	s_wait_xcnt 0x0
	s_or_b32 exec_lo, exec_lo, s2
	s_add_co_i32 s6, s6, 0x10000
	s_delay_alu instid0(SALU_CYCLE_1)
	s_cmp_lt_u32 s6, s10
	s_cbranch_scc0 .LBB157_35
.LBB157_6:                              ; =>This Loop Header: Depth=1
                                        ;     Child Loop BB157_9 Depth 2
	v_dual_mov_b32 v25, v17 :: v_dual_mov_b32 v24, v17
	v_dual_mov_b32 v19, v17 :: v_dual_mov_b32 v18, v17
	s_and_not1_b32 vcc_lo, exec_lo, s12
	s_cbranch_vccnz .LBB157_15
; %bb.7:                                ;   in Loop: Header=BB157_6 Depth=1
	v_mov_b32_e32 v18, 0
	s_mul_u64 s[2:3], s[16:17], s[6:7]
	s_mul_u64 s[18:19], s[22:23], s[6:7]
	v_lshl_add_u64 v[20:21], s[2:3], 2, v[14:15]
	v_lshl_add_u64 v[22:23], s[18:19], 2, v[12:13]
	v_dual_mov_b32 v19, v18 :: v_dual_mov_b32 v24, v18
	v_mov_b32_e32 v25, v18
	s_mov_b64 s[2:3], 0
	s_branch .LBB157_9
.LBB157_8:                              ;   in Loop: Header=BB157_9 Depth=2
	s_wait_xcnt 0x0
	s_or_b32 exec_lo, exec_lo, s15
	s_wait_loadcnt 0x0
	ds_store_b32 v27, v29
	s_wait_dscnt 0x0
	s_barrier_signal -1
	s_barrier_wait -1
	ds_load_b128 v[28:31], v3
	ds_load_2addr_b32 v[44:45], v1 offset1:16
	ds_load_b128 v[32:35], v3 offset:512
	ds_load_2addr_b32 v[46:47], v1 offset0:32 offset1:48
	ds_load_2addr_b32 v[48:49], v1 offset0:64 offset1:80
	;; [unrolled: 1-line block ×3, first 2 shown]
	ds_load_b128 v[36:39], v3 offset:16
	ds_load_2addr_b32 v[52:53], v1 offset0:128 offset1:144
	ds_load_b128 v[40:43], v3 offset:528
	s_add_nc_u64 s[2:3], s[2:3], 8
	s_delay_alu instid0(SALU_CYCLE_1)
	v_cmp_gt_i64_e64 s15, s[8:9], s[2:3]
	s_and_b32 vcc_lo, exec_lo, s15
	s_wait_dscnt 0x8
	v_mov_b32_e32 v16, v31
	s_wait_dscnt 0x7
	v_pk_fma_f32 v[24:25], v[44:45], v[28:29], v[24:25] op_sel_hi:[1,0,1]
	s_wait_dscnt 0x6
	v_pk_fma_f32 v[18:19], v[44:45], v[32:33], v[18:19] op_sel_hi:[1,0,1]
	ds_load_2addr_b32 v[44:45], v1 offset0:160 offset1:176
	s_wait_dscnt 0x6
	v_pk_fma_f32 v[24:25], v[46:47], v[28:29], v[24:25] op_sel:[0,1,0]
	v_pk_fma_f32 v[18:19], v[46:47], v[32:33], v[18:19] op_sel:[0,1,0]
	ds_load_2addr_b32 v[28:29], v1 offset0:192 offset1:208
	v_mov_b32_e32 v32, v35
	s_wait_dscnt 0x6
	v_pk_fma_f32 v[24:25], v[48:49], v[30:31], v[24:25] op_sel_hi:[1,0,1]
	v_pk_fma_f32 v[18:19], v[48:49], v[34:35], v[18:19] op_sel_hi:[1,0,1]
	ds_load_2addr_b32 v[30:31], v1 offset0:224 offset1:240
	s_wait_dscnt 0x0
	s_barrier_signal -1
	v_pk_fma_f32 v[24:25], v[50:51], v[16:17], v[24:25] op_sel_hi:[1,0,1]
	v_pk_fma_f32 v[18:19], v[50:51], v[32:33], v[18:19] op_sel_hi:[1,0,1]
	v_dual_mov_b32 v16, v39 :: v_dual_mov_b32 v32, v43
	s_barrier_wait -1
	s_delay_alu instid0(VALU_DEP_3) | instskip(NEXT) | instid1(VALU_DEP_3)
	v_pk_fma_f32 v[24:25], v[52:53], v[36:37], v[24:25] op_sel_hi:[1,0,1]
	v_pk_fma_f32 v[18:19], v[52:53], v[40:41], v[18:19] op_sel_hi:[1,0,1]
	s_delay_alu instid0(VALU_DEP_2) | instskip(NEXT) | instid1(VALU_DEP_2)
	v_pk_fma_f32 v[24:25], v[44:45], v[36:37], v[24:25] op_sel:[0,1,0]
	v_pk_fma_f32 v[18:19], v[44:45], v[40:41], v[18:19] op_sel:[0,1,0]
	s_delay_alu instid0(VALU_DEP_2) | instskip(NEXT) | instid1(VALU_DEP_2)
	v_pk_fma_f32 v[24:25], v[28:29], v[38:39], v[24:25] op_sel_hi:[1,0,1]
	v_pk_fma_f32 v[18:19], v[28:29], v[42:43], v[18:19] op_sel_hi:[1,0,1]
	s_delay_alu instid0(VALU_DEP_2) | instskip(NEXT) | instid1(VALU_DEP_2)
	v_pk_fma_f32 v[24:25], v[30:31], v[16:17], v[24:25] op_sel_hi:[1,0,1]
	v_pk_fma_f32 v[18:19], v[30:31], v[32:33], v[18:19] op_sel_hi:[1,0,1]
	s_cbranch_vccz .LBB157_15
.LBB157_9:                              ;   Parent Loop BB157_6 Depth=1
                                        ; =>  This Inner Loop Header: Depth=2
	v_mov_b32_e32 v28, 0
	s_and_saveexec_b32 s15, s0
	s_cbranch_execz .LBB157_13
; %bb.10:                               ;   in Loop: Header=BB157_9 Depth=2
	v_dual_add_nc_u32 v16, s2, v2 :: v_dual_mov_b32 v28, 0
	s_mov_b32 s18, exec_lo
	s_delay_alu instid0(VALU_DEP_1)
	v_cmpx_gt_u64_e64 s[8:9], v[16:17]
	s_cbranch_execz .LBB157_12
; %bb.11:                               ;   in Loop: Header=BB157_9 Depth=2
	v_lshl_add_u64 v[28:29], v[16:17], 2, v[20:21]
	global_load_b32 v28, v[28:29], off
.LBB157_12:                             ;   in Loop: Header=BB157_9 Depth=2
	s_wait_xcnt 0x0
	s_or_b32 exec_lo, exec_lo, s18
.LBB157_13:                             ;   in Loop: Header=BB157_9 Depth=2
	s_delay_alu instid0(SALU_CYCLE_1)
	s_or_b32 exec_lo, exec_lo, s15
	v_dual_mov_b32 v29, 0 :: v_dual_add_nc_u32 v16, s2, v0
	s_wait_loadcnt 0x0
	ds_store_b32 v26, v28
	v_cmp_gt_u64_e32 vcc_lo, s[8:9], v[16:17]
	s_and_b32 s18, vcc_lo, s1
	s_delay_alu instid0(SALU_CYCLE_1)
	s_and_saveexec_b32 s15, s18
	s_cbranch_execz .LBB157_8
; %bb.14:                               ;   in Loop: Header=BB157_9 Depth=2
	v_mul_u64_e32 v[28:29], s[20:21], v[16:17]
	s_delay_alu instid0(VALU_DEP_1)
	v_lshl_add_u64 v[28:29], v[28:29], 2, v[22:23]
	global_load_b32 v29, v[28:29], off
	s_branch .LBB157_8
.LBB157_15:                             ;   in Loop: Header=BB157_6 Depth=1
	s_mul_u64 s[2:3], s[30:31], s[6:7]
	s_delay_alu instid0(SALU_CYCLE_1) | instskip(NEXT) | instid1(SALU_CYCLE_1)
	s_lshl_b64 s[2:3], s[2:3], 2
	s_add_nc_u64 s[2:3], s[26:27], s[2:3]
	s_delay_alu instid0(SALU_CYCLE_1)
	v_lshl_add_u64 v[20:21], v[4:5], 2, s[2:3]
	s_and_saveexec_b32 s15, s14
	s_cbranch_execz .LBB157_19
; %bb.16:                               ;   in Loop: Header=BB157_6 Depth=1
	v_mul_f32_e32 v16, s34, v24
	s_delay_alu instid0(VALU_DEP_2)
	v_lshl_add_u64 v[22:23], v[8:9], 2, v[20:21]
	s_and_b32 vcc_lo, exec_lo, s11
	s_cbranch_vccz .LBB157_30
; %bb.17:                               ;   in Loop: Header=BB157_6 Depth=1
	global_load_b32 v24, v[22:23], off
	s_wait_loadcnt 0x0
	v_fma_f32 v24, s33, v24, v16
	global_store_b32 v[22:23], v24, off
	s_cbranch_execnz .LBB157_19
.LBB157_18:                             ;   in Loop: Header=BB157_6 Depth=1
	global_store_b32 v[22:23], v16, off
.LBB157_19:                             ;   in Loop: Header=BB157_6 Depth=1
	s_wait_xcnt 0x0
	s_or_b32 exec_lo, exec_lo, s15
	s_and_saveexec_b32 s15, s13
	s_cbranch_execz .LBB157_23
; %bb.20:                               ;   in Loop: Header=BB157_6 Depth=1
	v_mul_f32_e32 v16, s34, v25
	v_lshl_add_u64 v[20:21], v[10:11], 2, v[20:21]
	s_and_not1_b32 vcc_lo, exec_lo, s11
	s_cbranch_vccnz .LBB157_31
; %bb.21:                               ;   in Loop: Header=BB157_6 Depth=1
	global_load_b32 v22, v[20:21], off
	s_wait_loadcnt 0x0
	v_fma_f32 v22, s33, v22, v16
	global_store_b32 v[20:21], v22, off
	s_cbranch_execnz .LBB157_23
.LBB157_22:                             ;   in Loop: Header=BB157_6 Depth=1
	global_store_b32 v[20:21], v16, off
.LBB157_23:                             ;   in Loop: Header=BB157_6 Depth=1
	s_wait_xcnt 0x0
	s_or_b32 exec_lo, exec_lo, s15
	v_lshl_add_u64 v[20:21], v[6:7], 2, s[2:3]
	s_and_saveexec_b32 s2, s4
	s_cbranch_execz .LBB157_27
; %bb.24:                               ;   in Loop: Header=BB157_6 Depth=1
	v_mul_f32_e32 v16, s34, v18
	s_delay_alu instid0(VALU_DEP_2)
	v_lshl_add_u64 v[22:23], v[8:9], 2, v[20:21]
	s_and_not1_b32 vcc_lo, exec_lo, s11
	s_cbranch_vccnz .LBB157_32
; %bb.25:                               ;   in Loop: Header=BB157_6 Depth=1
	global_load_b32 v18, v[22:23], off
	s_wait_loadcnt 0x0
	v_fma_f32 v18, s33, v18, v16
	global_store_b32 v[22:23], v18, off
	s_cbranch_execnz .LBB157_27
.LBB157_26:                             ;   in Loop: Header=BB157_6 Depth=1
	global_store_b32 v[22:23], v16, off
.LBB157_27:                             ;   in Loop: Header=BB157_6 Depth=1
	s_wait_xcnt 0x0
	s_or_b32 exec_lo, exec_lo, s2
	s_and_saveexec_b32 s2, s5
	s_cbranch_execz .LBB157_5
; %bb.28:                               ;   in Loop: Header=BB157_6 Depth=1
	v_mul_f32_e32 v16, s34, v19
	v_lshl_add_u64 v[18:19], v[10:11], 2, v[20:21]
	s_and_not1_b32 vcc_lo, exec_lo, s11
	s_cbranch_vccnz .LBB157_33
; %bb.29:                               ;   in Loop: Header=BB157_6 Depth=1
	global_load_b32 v20, v[18:19], off
	s_wait_loadcnt 0x0
	v_fma_f32 v20, s33, v20, v16
	global_store_b32 v[18:19], v20, off
	s_cbranch_execnz .LBB157_5
	s_branch .LBB157_34
.LBB157_30:                             ;   in Loop: Header=BB157_6 Depth=1
	s_branch .LBB157_18
.LBB157_31:                             ;   in Loop: Header=BB157_6 Depth=1
	s_branch .LBB157_22
.LBB157_32:                             ;   in Loop: Header=BB157_6 Depth=1
	s_branch .LBB157_26
.LBB157_33:                             ;   in Loop: Header=BB157_6 Depth=1
.LBB157_34:                             ;   in Loop: Header=BB157_6 Depth=1
	global_store_b32 v[18:19], v16, off
	s_branch .LBB157_5
.LBB157_35:
	s_endpgm
	.section	.rodata,"a",@progbits
	.p2align	6, 0x0
	.amdhsa_kernel _ZL29rocblas_internal_gemmt_kernelIlLi16ELi32ELi8ELc84ELc84ELc76ELb0ELb0EfPKfS1_PfEviT_T9_T10_S3_lS5_S3_lS4_T11_S3_li
		.amdhsa_group_segment_fixed_size 2048
		.amdhsa_private_segment_fixed_size 0
		.amdhsa_kernarg_size 108
		.amdhsa_user_sgpr_count 2
		.amdhsa_user_sgpr_dispatch_ptr 0
		.amdhsa_user_sgpr_queue_ptr 0
		.amdhsa_user_sgpr_kernarg_segment_ptr 1
		.amdhsa_user_sgpr_dispatch_id 0
		.amdhsa_user_sgpr_kernarg_preload_length 0
		.amdhsa_user_sgpr_kernarg_preload_offset 0
		.amdhsa_user_sgpr_private_segment_size 0
		.amdhsa_wavefront_size32 1
		.amdhsa_uses_dynamic_stack 0
		.amdhsa_enable_private_segment 0
		.amdhsa_system_sgpr_workgroup_id_x 1
		.amdhsa_system_sgpr_workgroup_id_y 1
		.amdhsa_system_sgpr_workgroup_id_z 1
		.amdhsa_system_sgpr_workgroup_info 0
		.amdhsa_system_vgpr_workitem_id 1
		.amdhsa_next_free_vgpr 54
		.amdhsa_next_free_sgpr 35
		.amdhsa_named_barrier_count 0
		.amdhsa_reserve_vcc 1
		.amdhsa_float_round_mode_32 0
		.amdhsa_float_round_mode_16_64 0
		.amdhsa_float_denorm_mode_32 3
		.amdhsa_float_denorm_mode_16_64 3
		.amdhsa_fp16_overflow 0
		.amdhsa_memory_ordered 1
		.amdhsa_forward_progress 1
		.amdhsa_inst_pref_size 13
		.amdhsa_round_robin_scheduling 0
		.amdhsa_exception_fp_ieee_invalid_op 0
		.amdhsa_exception_fp_denorm_src 0
		.amdhsa_exception_fp_ieee_div_zero 0
		.amdhsa_exception_fp_ieee_overflow 0
		.amdhsa_exception_fp_ieee_underflow 0
		.amdhsa_exception_fp_ieee_inexact 0
		.amdhsa_exception_int_div_zero 0
	.end_amdhsa_kernel
	.section	.text._ZL29rocblas_internal_gemmt_kernelIlLi16ELi32ELi8ELc84ELc84ELc76ELb0ELb0EfPKfS1_PfEviT_T9_T10_S3_lS5_S3_lS4_T11_S3_li,"axG",@progbits,_ZL29rocblas_internal_gemmt_kernelIlLi16ELi32ELi8ELc84ELc84ELc76ELb0ELb0EfPKfS1_PfEviT_T9_T10_S3_lS5_S3_lS4_T11_S3_li,comdat
.Lfunc_end157:
	.size	_ZL29rocblas_internal_gemmt_kernelIlLi16ELi32ELi8ELc84ELc84ELc76ELb0ELb0EfPKfS1_PfEviT_T9_T10_S3_lS5_S3_lS4_T11_S3_li, .Lfunc_end157-_ZL29rocblas_internal_gemmt_kernelIlLi16ELi32ELi8ELc84ELc84ELc76ELb0ELb0EfPKfS1_PfEviT_T9_T10_S3_lS5_S3_lS4_T11_S3_li
                                        ; -- End function
	.set _ZL29rocblas_internal_gemmt_kernelIlLi16ELi32ELi8ELc84ELc84ELc76ELb0ELb0EfPKfS1_PfEviT_T9_T10_S3_lS5_S3_lS4_T11_S3_li.num_vgpr, 54
	.set _ZL29rocblas_internal_gemmt_kernelIlLi16ELi32ELi8ELc84ELc84ELc76ELb0ELb0EfPKfS1_PfEviT_T9_T10_S3_lS5_S3_lS4_T11_S3_li.num_agpr, 0
	.set _ZL29rocblas_internal_gemmt_kernelIlLi16ELi32ELi8ELc84ELc84ELc76ELb0ELb0EfPKfS1_PfEviT_T9_T10_S3_lS5_S3_lS4_T11_S3_li.numbered_sgpr, 35
	.set _ZL29rocblas_internal_gemmt_kernelIlLi16ELi32ELi8ELc84ELc84ELc76ELb0ELb0EfPKfS1_PfEviT_T9_T10_S3_lS5_S3_lS4_T11_S3_li.num_named_barrier, 0
	.set _ZL29rocblas_internal_gemmt_kernelIlLi16ELi32ELi8ELc84ELc84ELc76ELb0ELb0EfPKfS1_PfEviT_T9_T10_S3_lS5_S3_lS4_T11_S3_li.private_seg_size, 0
	.set _ZL29rocblas_internal_gemmt_kernelIlLi16ELi32ELi8ELc84ELc84ELc76ELb0ELb0EfPKfS1_PfEviT_T9_T10_S3_lS5_S3_lS4_T11_S3_li.uses_vcc, 1
	.set _ZL29rocblas_internal_gemmt_kernelIlLi16ELi32ELi8ELc84ELc84ELc76ELb0ELb0EfPKfS1_PfEviT_T9_T10_S3_lS5_S3_lS4_T11_S3_li.uses_flat_scratch, 0
	.set _ZL29rocblas_internal_gemmt_kernelIlLi16ELi32ELi8ELc84ELc84ELc76ELb0ELb0EfPKfS1_PfEviT_T9_T10_S3_lS5_S3_lS4_T11_S3_li.has_dyn_sized_stack, 0
	.set _ZL29rocblas_internal_gemmt_kernelIlLi16ELi32ELi8ELc84ELc84ELc76ELb0ELb0EfPKfS1_PfEviT_T9_T10_S3_lS5_S3_lS4_T11_S3_li.has_recursion, 0
	.set _ZL29rocblas_internal_gemmt_kernelIlLi16ELi32ELi8ELc84ELc84ELc76ELb0ELb0EfPKfS1_PfEviT_T9_T10_S3_lS5_S3_lS4_T11_S3_li.has_indirect_call, 0
	.section	.AMDGPU.csdata,"",@progbits
; Kernel info:
; codeLenInByte = 1596
; TotalNumSgprs: 37
; NumVgprs: 54
; ScratchSize: 0
; MemoryBound: 0
; FloatMode: 240
; IeeeMode: 1
; LDSByteSize: 2048 bytes/workgroup (compile time only)
; SGPRBlocks: 0
; VGPRBlocks: 3
; NumSGPRsForWavesPerEU: 37
; NumVGPRsForWavesPerEU: 54
; NamedBarCnt: 0
; Occupancy: 16
; WaveLimiterHint : 0
; COMPUTE_PGM_RSRC2:SCRATCH_EN: 0
; COMPUTE_PGM_RSRC2:USER_SGPR: 2
; COMPUTE_PGM_RSRC2:TRAP_HANDLER: 0
; COMPUTE_PGM_RSRC2:TGID_X_EN: 1
; COMPUTE_PGM_RSRC2:TGID_Y_EN: 1
; COMPUTE_PGM_RSRC2:TGID_Z_EN: 1
; COMPUTE_PGM_RSRC2:TIDIG_COMP_CNT: 1
	.section	.text._ZL29rocblas_internal_gemmt_kernelIlLi16ELi32ELi8ELc84ELc67ELc76ELb0ELb0EfPKfS1_PfEviT_T9_T10_S3_lS5_S3_lS4_T11_S3_li,"axG",@progbits,_ZL29rocblas_internal_gemmt_kernelIlLi16ELi32ELi8ELc84ELc67ELc76ELb0ELb0EfPKfS1_PfEviT_T9_T10_S3_lS5_S3_lS4_T11_S3_li,comdat
	.globl	_ZL29rocblas_internal_gemmt_kernelIlLi16ELi32ELi8ELc84ELc67ELc76ELb0ELb0EfPKfS1_PfEviT_T9_T10_S3_lS5_S3_lS4_T11_S3_li ; -- Begin function _ZL29rocblas_internal_gemmt_kernelIlLi16ELi32ELi8ELc84ELc67ELc76ELb0ELb0EfPKfS1_PfEviT_T9_T10_S3_lS5_S3_lS4_T11_S3_li
	.p2align	8
	.type	_ZL29rocblas_internal_gemmt_kernelIlLi16ELi32ELi8ELc84ELc67ELc76ELb0ELb0EfPKfS1_PfEviT_T9_T10_S3_lS5_S3_lS4_T11_S3_li,@function
_ZL29rocblas_internal_gemmt_kernelIlLi16ELi32ELi8ELc84ELc67ELc76ELb0ELb0EfPKfS1_PfEviT_T9_T10_S3_lS5_S3_lS4_T11_S3_li: ; @_ZL29rocblas_internal_gemmt_kernelIlLi16ELi32ELi8ELc84ELc67ELc76ELb0ELb0EfPKfS1_PfEviT_T9_T10_S3_lS5_S3_lS4_T11_S3_li
; %bb.0:
	s_clause 0x1
	s_load_b256 s[24:31], s[0:1], 0x48
	s_load_b512 s[8:23], s[0:1], 0x8
	s_wait_kmcnt 0x0
	s_load_b32 s33, s[24:25], 0x0
	s_load_b32 s34, s[10:11], 0x0
	s_wait_kmcnt 0x0
	s_cmp_neq_f32 s33, 1.0
	s_cselect_b32 s2, -1, 0
	s_delay_alu instid0(SALU_CYCLE_1)
	s_and_b32 vcc_lo, exec_lo, s2
	s_cbranch_vccnz .LBB158_2
; %bb.1:
	s_cmp_lg_u64 s[8:9], 0
	s_cselect_b32 s2, -1, 0
	s_cmp_neq_f32 s34, 0
	s_cselect_b32 s3, -1, 0
	s_delay_alu instid0(SALU_CYCLE_1)
	s_and_b32 s2, s2, s3
.LBB158_2:
	s_delay_alu instid0(SALU_CYCLE_1)
	s_and_not1_b32 vcc_lo, exec_lo, s2
	s_cbranch_vccnz .LBB158_35
; %bb.3:
	s_load_b32 s10, s[0:1], 0x68
	s_bfe_u32 s2, ttmp6, 0x40014
	s_lshr_b32 s3, ttmp7, 16
	s_add_co_i32 s2, s2, 1
	s_bfe_u32 s5, ttmp6, 0x40008
	s_mul_i32 s4, s3, s2
	s_getreg_b32 s2, hwreg(HW_REG_IB_STS2, 6, 4)
	s_add_co_i32 s5, s5, s4
	s_cmp_eq_u32 s2, 0
	s_mov_b32 s7, 0
	s_cselect_b32 s6, s3, s5
	s_wait_kmcnt 0x0
	s_cmp_ge_u32 s6, s10
	s_cbranch_scc1 .LBB158_35
; %bb.4:
	s_bfe_u32 s3, ttmp6, 0x4000c
	s_bfe_u32 s5, ttmp6, 0x40010
	v_and_b32_e32 v8, 0x3ff, v0
	v_bfe_u32 v2, v0, 10, 10
	s_add_co_i32 s3, s3, 1
	s_and_b32 s11, ttmp7, 0xffff
	s_add_co_i32 s5, s5, 1
	s_and_b32 s4, ttmp6, 15
	s_mul_i32 s3, ttmp9, s3
	s_mul_i32 s5, s11, s5
	s_bfe_u32 s24, ttmp6, 0x40004
	v_lshl_add_u32 v4, v2, 4, v8
	s_add_co_i32 s4, s4, s3
	s_add_co_i32 s24, s24, s5
	s_cmp_eq_u32 s2, 0
	v_lshl_add_u32 v3, v2, 5, 0x400
	s_cselect_b32 s3, s11, s24
	s_cselect_b32 s2, ttmp9, s4
	s_lshl_b32 s3, s3, 5
	s_delay_alu instid0(SALU_CYCLE_1) | instskip(SKIP_3) | instid1(VALU_DEP_2)
	v_dual_add_nc_u32 v14, s3, v2 :: v_dual_bitop2_b32 v9, 31, v4 bitop3:0x40
	s_lshl_b32 s2, s2, 5
	s_load_b32 s4, s[0:1], 0x0
	v_dual_lshrrev_b32 v2, 5, v4 :: v_dual_lshrrev_b32 v11, 3, v4
	v_dual_add_nc_u32 v18, 16, v14 :: v_dual_bitop2_b32 v12, s2, v9 bitop3:0x54
	v_dual_ashrrev_i32 v15, 31, v14 :: v_dual_bitop2_b32 v0, 7, v0 bitop3:0x40
	v_dual_lshlrev_b32 v1, 2, v8 :: v_dual_add_nc_u32 v8, s2, v8
	s_delay_alu instid0(VALU_DEP_3) | instskip(NEXT) | instid1(VALU_DEP_3)
	v_dual_ashrrev_i32 v13, 31, v12 :: v_dual_ashrrev_i32 v19, 31, v18
	v_mul_u64_e32 v[4:5], s[28:29], v[14:15]
	s_delay_alu instid0(VALU_DEP_4) | instskip(NEXT) | instid1(VALU_DEP_3)
	v_dual_lshlrev_b32 v10, 2, v0 :: v_dual_add_nc_u32 v20, s3, v11
	v_mul_u64_e32 v[16:17], s[14:15], v[12:13]
	s_delay_alu instid0(VALU_DEP_4) | instskip(SKIP_1) | instid1(VALU_DEP_3)
	v_mul_u64_e32 v[6:7], s[28:29], v[18:19]
	s_cmp_neq_f32 s34, 0
	v_lshl_or_b32 v11, v11, 5, v10
	v_add_nc_u32_e32 v10, 16, v8
	v_cmp_le_i32_e32 vcc_lo, v14, v8
	s_wait_kmcnt 0x0
	v_cmp_gt_i32_e64 s2, s4, v8
	s_cselect_b32 s24, -1, 0
	s_cmp_neq_f32 s33, 0
	v_dual_lshlrev_b32 v13, 2, v9 :: v_dual_ashrrev_i32 v9, 31, v8
	v_cmp_le_i32_e64 s3, v14, v10
	v_cmp_gt_i64_e64 s15, s[8:9], 0
	v_cmp_gt_i32_e64 s0, s4, v12
	v_cmp_gt_i32_e64 s1, s4, v20
	s_cselect_b32 s11, -1, 0
	s_and_b32 s14, vcc_lo, s2
	v_lshl_or_b32 v26, v2, 7, v13
	v_add_nc_u32_e32 v27, 0x400, v11
	v_lshl_add_u64 v[14:15], v[16:17], 2, s[12:13]
	v_dual_mov_b32 v17, 0 :: v_dual_ashrrev_i32 v21, 31, v20
	v_ashrrev_i32_e32 v11, 31, v10
	v_cmp_gt_i32_e32 vcc_lo, s4, v10
	v_cmp_le_i32_e64 s4, v18, v8
	v_cmp_le_i32_e64 s5, v18, v10
	v_lshl_add_u64 v[12:13], v[20:21], 2, s[18:19]
	s_and_b32 s12, s24, s15
	s_and_b32 s13, s3, vcc_lo
	s_and_b32 s4, s4, s2
	s_and_b32 s5, s5, vcc_lo
	s_branch .LBB158_6
.LBB158_5:                              ;   in Loop: Header=BB158_6 Depth=1
	s_wait_xcnt 0x0
	s_or_b32 exec_lo, exec_lo, s2
	s_add_co_i32 s6, s6, 0x10000
	s_delay_alu instid0(SALU_CYCLE_1)
	s_cmp_lt_u32 s6, s10
	s_cbranch_scc0 .LBB158_35
.LBB158_6:                              ; =>This Loop Header: Depth=1
                                        ;     Child Loop BB158_9 Depth 2
	v_dual_mov_b32 v25, v17 :: v_dual_mov_b32 v24, v17
	v_dual_mov_b32 v19, v17 :: v_dual_mov_b32 v18, v17
	s_and_not1_b32 vcc_lo, exec_lo, s12
	s_cbranch_vccnz .LBB158_15
; %bb.7:                                ;   in Loop: Header=BB158_6 Depth=1
	v_mov_b32_e32 v18, 0
	s_mul_u64 s[2:3], s[16:17], s[6:7]
	s_mul_u64 s[18:19], s[22:23], s[6:7]
	v_lshl_add_u64 v[20:21], s[2:3], 2, v[14:15]
	v_lshl_add_u64 v[22:23], s[18:19], 2, v[12:13]
	v_dual_mov_b32 v19, v18 :: v_dual_mov_b32 v24, v18
	v_mov_b32_e32 v25, v18
	s_mov_b64 s[2:3], 0
	s_branch .LBB158_9
.LBB158_8:                              ;   in Loop: Header=BB158_9 Depth=2
	s_wait_xcnt 0x0
	s_or_b32 exec_lo, exec_lo, s15
	s_wait_loadcnt 0x0
	ds_store_b32 v27, v29
	s_wait_dscnt 0x0
	s_barrier_signal -1
	s_barrier_wait -1
	ds_load_b128 v[28:31], v3
	ds_load_2addr_b32 v[44:45], v1 offset1:16
	ds_load_b128 v[32:35], v3 offset:512
	ds_load_2addr_b32 v[46:47], v1 offset0:32 offset1:48
	ds_load_2addr_b32 v[48:49], v1 offset0:64 offset1:80
	;; [unrolled: 1-line block ×3, first 2 shown]
	ds_load_b128 v[36:39], v3 offset:16
	ds_load_2addr_b32 v[52:53], v1 offset0:128 offset1:144
	ds_load_b128 v[40:43], v3 offset:528
	s_add_nc_u64 s[2:3], s[2:3], 8
	s_delay_alu instid0(SALU_CYCLE_1)
	v_cmp_gt_i64_e64 s15, s[8:9], s[2:3]
	s_and_b32 vcc_lo, exec_lo, s15
	s_wait_dscnt 0x8
	v_mov_b32_e32 v16, v31
	s_wait_dscnt 0x7
	v_pk_fma_f32 v[24:25], v[44:45], v[28:29], v[24:25] op_sel_hi:[1,0,1]
	s_wait_dscnt 0x6
	v_pk_fma_f32 v[18:19], v[44:45], v[32:33], v[18:19] op_sel_hi:[1,0,1]
	ds_load_2addr_b32 v[44:45], v1 offset0:160 offset1:176
	s_wait_dscnt 0x6
	v_pk_fma_f32 v[24:25], v[46:47], v[28:29], v[24:25] op_sel:[0,1,0]
	v_pk_fma_f32 v[18:19], v[46:47], v[32:33], v[18:19] op_sel:[0,1,0]
	ds_load_2addr_b32 v[28:29], v1 offset0:192 offset1:208
	v_mov_b32_e32 v32, v35
	s_wait_dscnt 0x6
	v_pk_fma_f32 v[24:25], v[48:49], v[30:31], v[24:25] op_sel_hi:[1,0,1]
	v_pk_fma_f32 v[18:19], v[48:49], v[34:35], v[18:19] op_sel_hi:[1,0,1]
	ds_load_2addr_b32 v[30:31], v1 offset0:224 offset1:240
	s_wait_dscnt 0x0
	s_barrier_signal -1
	v_pk_fma_f32 v[24:25], v[50:51], v[16:17], v[24:25] op_sel_hi:[1,0,1]
	v_pk_fma_f32 v[18:19], v[50:51], v[32:33], v[18:19] op_sel_hi:[1,0,1]
	v_dual_mov_b32 v16, v39 :: v_dual_mov_b32 v32, v43
	s_barrier_wait -1
	s_delay_alu instid0(VALU_DEP_3) | instskip(NEXT) | instid1(VALU_DEP_3)
	v_pk_fma_f32 v[24:25], v[52:53], v[36:37], v[24:25] op_sel_hi:[1,0,1]
	v_pk_fma_f32 v[18:19], v[52:53], v[40:41], v[18:19] op_sel_hi:[1,0,1]
	s_delay_alu instid0(VALU_DEP_2) | instskip(NEXT) | instid1(VALU_DEP_2)
	v_pk_fma_f32 v[24:25], v[44:45], v[36:37], v[24:25] op_sel:[0,1,0]
	v_pk_fma_f32 v[18:19], v[44:45], v[40:41], v[18:19] op_sel:[0,1,0]
	s_delay_alu instid0(VALU_DEP_2) | instskip(NEXT) | instid1(VALU_DEP_2)
	v_pk_fma_f32 v[24:25], v[28:29], v[38:39], v[24:25] op_sel_hi:[1,0,1]
	v_pk_fma_f32 v[18:19], v[28:29], v[42:43], v[18:19] op_sel_hi:[1,0,1]
	s_delay_alu instid0(VALU_DEP_2) | instskip(NEXT) | instid1(VALU_DEP_2)
	v_pk_fma_f32 v[24:25], v[30:31], v[16:17], v[24:25] op_sel_hi:[1,0,1]
	v_pk_fma_f32 v[18:19], v[30:31], v[32:33], v[18:19] op_sel_hi:[1,0,1]
	s_cbranch_vccz .LBB158_15
.LBB158_9:                              ;   Parent Loop BB158_6 Depth=1
                                        ; =>  This Inner Loop Header: Depth=2
	v_mov_b32_e32 v28, 0
	s_and_saveexec_b32 s15, s0
	s_cbranch_execz .LBB158_13
; %bb.10:                               ;   in Loop: Header=BB158_9 Depth=2
	v_dual_add_nc_u32 v16, s2, v2 :: v_dual_mov_b32 v28, 0
	s_mov_b32 s18, exec_lo
	s_delay_alu instid0(VALU_DEP_1)
	v_cmpx_gt_u64_e64 s[8:9], v[16:17]
	s_cbranch_execz .LBB158_12
; %bb.11:                               ;   in Loop: Header=BB158_9 Depth=2
	v_lshl_add_u64 v[28:29], v[16:17], 2, v[20:21]
	global_load_b32 v28, v[28:29], off
.LBB158_12:                             ;   in Loop: Header=BB158_9 Depth=2
	s_wait_xcnt 0x0
	s_or_b32 exec_lo, exec_lo, s18
.LBB158_13:                             ;   in Loop: Header=BB158_9 Depth=2
	s_delay_alu instid0(SALU_CYCLE_1)
	s_or_b32 exec_lo, exec_lo, s15
	v_dual_mov_b32 v29, 0 :: v_dual_add_nc_u32 v16, s2, v0
	s_wait_loadcnt 0x0
	ds_store_b32 v26, v28
	v_cmp_gt_u64_e32 vcc_lo, s[8:9], v[16:17]
	s_and_b32 s18, vcc_lo, s1
	s_delay_alu instid0(SALU_CYCLE_1)
	s_and_saveexec_b32 s15, s18
	s_cbranch_execz .LBB158_8
; %bb.14:                               ;   in Loop: Header=BB158_9 Depth=2
	v_mul_u64_e32 v[28:29], s[20:21], v[16:17]
	s_delay_alu instid0(VALU_DEP_1)
	v_lshl_add_u64 v[28:29], v[28:29], 2, v[22:23]
	global_load_b32 v29, v[28:29], off
	s_branch .LBB158_8
.LBB158_15:                             ;   in Loop: Header=BB158_6 Depth=1
	s_mul_u64 s[2:3], s[30:31], s[6:7]
	s_delay_alu instid0(SALU_CYCLE_1) | instskip(NEXT) | instid1(SALU_CYCLE_1)
	s_lshl_b64 s[2:3], s[2:3], 2
	s_add_nc_u64 s[2:3], s[26:27], s[2:3]
	s_delay_alu instid0(SALU_CYCLE_1)
	v_lshl_add_u64 v[20:21], v[4:5], 2, s[2:3]
	s_and_saveexec_b32 s15, s14
	s_cbranch_execz .LBB158_19
; %bb.16:                               ;   in Loop: Header=BB158_6 Depth=1
	v_mul_f32_e32 v16, s34, v24
	s_delay_alu instid0(VALU_DEP_2)
	v_lshl_add_u64 v[22:23], v[8:9], 2, v[20:21]
	s_and_b32 vcc_lo, exec_lo, s11
	s_cbranch_vccz .LBB158_30
; %bb.17:                               ;   in Loop: Header=BB158_6 Depth=1
	global_load_b32 v24, v[22:23], off
	s_wait_loadcnt 0x0
	v_fma_f32 v24, s33, v24, v16
	global_store_b32 v[22:23], v24, off
	s_cbranch_execnz .LBB158_19
.LBB158_18:                             ;   in Loop: Header=BB158_6 Depth=1
	global_store_b32 v[22:23], v16, off
.LBB158_19:                             ;   in Loop: Header=BB158_6 Depth=1
	s_wait_xcnt 0x0
	s_or_b32 exec_lo, exec_lo, s15
	s_and_saveexec_b32 s15, s13
	s_cbranch_execz .LBB158_23
; %bb.20:                               ;   in Loop: Header=BB158_6 Depth=1
	v_mul_f32_e32 v16, s34, v25
	v_lshl_add_u64 v[20:21], v[10:11], 2, v[20:21]
	s_and_not1_b32 vcc_lo, exec_lo, s11
	s_cbranch_vccnz .LBB158_31
; %bb.21:                               ;   in Loop: Header=BB158_6 Depth=1
	global_load_b32 v22, v[20:21], off
	s_wait_loadcnt 0x0
	v_fma_f32 v22, s33, v22, v16
	global_store_b32 v[20:21], v22, off
	s_cbranch_execnz .LBB158_23
.LBB158_22:                             ;   in Loop: Header=BB158_6 Depth=1
	global_store_b32 v[20:21], v16, off
.LBB158_23:                             ;   in Loop: Header=BB158_6 Depth=1
	s_wait_xcnt 0x0
	s_or_b32 exec_lo, exec_lo, s15
	v_lshl_add_u64 v[20:21], v[6:7], 2, s[2:3]
	s_and_saveexec_b32 s2, s4
	s_cbranch_execz .LBB158_27
; %bb.24:                               ;   in Loop: Header=BB158_6 Depth=1
	v_mul_f32_e32 v16, s34, v18
	s_delay_alu instid0(VALU_DEP_2)
	v_lshl_add_u64 v[22:23], v[8:9], 2, v[20:21]
	s_and_not1_b32 vcc_lo, exec_lo, s11
	s_cbranch_vccnz .LBB158_32
; %bb.25:                               ;   in Loop: Header=BB158_6 Depth=1
	global_load_b32 v18, v[22:23], off
	s_wait_loadcnt 0x0
	v_fma_f32 v18, s33, v18, v16
	global_store_b32 v[22:23], v18, off
	s_cbranch_execnz .LBB158_27
.LBB158_26:                             ;   in Loop: Header=BB158_6 Depth=1
	global_store_b32 v[22:23], v16, off
.LBB158_27:                             ;   in Loop: Header=BB158_6 Depth=1
	s_wait_xcnt 0x0
	s_or_b32 exec_lo, exec_lo, s2
	s_and_saveexec_b32 s2, s5
	s_cbranch_execz .LBB158_5
; %bb.28:                               ;   in Loop: Header=BB158_6 Depth=1
	v_mul_f32_e32 v16, s34, v19
	v_lshl_add_u64 v[18:19], v[10:11], 2, v[20:21]
	s_and_not1_b32 vcc_lo, exec_lo, s11
	s_cbranch_vccnz .LBB158_33
; %bb.29:                               ;   in Loop: Header=BB158_6 Depth=1
	global_load_b32 v20, v[18:19], off
	s_wait_loadcnt 0x0
	v_fma_f32 v20, s33, v20, v16
	global_store_b32 v[18:19], v20, off
	s_cbranch_execnz .LBB158_5
	s_branch .LBB158_34
.LBB158_30:                             ;   in Loop: Header=BB158_6 Depth=1
	s_branch .LBB158_18
.LBB158_31:                             ;   in Loop: Header=BB158_6 Depth=1
	s_branch .LBB158_22
.LBB158_32:                             ;   in Loop: Header=BB158_6 Depth=1
	s_branch .LBB158_26
.LBB158_33:                             ;   in Loop: Header=BB158_6 Depth=1
.LBB158_34:                             ;   in Loop: Header=BB158_6 Depth=1
	global_store_b32 v[18:19], v16, off
	s_branch .LBB158_5
.LBB158_35:
	s_endpgm
	.section	.rodata,"a",@progbits
	.p2align	6, 0x0
	.amdhsa_kernel _ZL29rocblas_internal_gemmt_kernelIlLi16ELi32ELi8ELc84ELc67ELc76ELb0ELb0EfPKfS1_PfEviT_T9_T10_S3_lS5_S3_lS4_T11_S3_li
		.amdhsa_group_segment_fixed_size 2048
		.amdhsa_private_segment_fixed_size 0
		.amdhsa_kernarg_size 108
		.amdhsa_user_sgpr_count 2
		.amdhsa_user_sgpr_dispatch_ptr 0
		.amdhsa_user_sgpr_queue_ptr 0
		.amdhsa_user_sgpr_kernarg_segment_ptr 1
		.amdhsa_user_sgpr_dispatch_id 0
		.amdhsa_user_sgpr_kernarg_preload_length 0
		.amdhsa_user_sgpr_kernarg_preload_offset 0
		.amdhsa_user_sgpr_private_segment_size 0
		.amdhsa_wavefront_size32 1
		.amdhsa_uses_dynamic_stack 0
		.amdhsa_enable_private_segment 0
		.amdhsa_system_sgpr_workgroup_id_x 1
		.amdhsa_system_sgpr_workgroup_id_y 1
		.amdhsa_system_sgpr_workgroup_id_z 1
		.amdhsa_system_sgpr_workgroup_info 0
		.amdhsa_system_vgpr_workitem_id 1
		.amdhsa_next_free_vgpr 54
		.amdhsa_next_free_sgpr 35
		.amdhsa_named_barrier_count 0
		.amdhsa_reserve_vcc 1
		.amdhsa_float_round_mode_32 0
		.amdhsa_float_round_mode_16_64 0
		.amdhsa_float_denorm_mode_32 3
		.amdhsa_float_denorm_mode_16_64 3
		.amdhsa_fp16_overflow 0
		.amdhsa_memory_ordered 1
		.amdhsa_forward_progress 1
		.amdhsa_inst_pref_size 13
		.amdhsa_round_robin_scheduling 0
		.amdhsa_exception_fp_ieee_invalid_op 0
		.amdhsa_exception_fp_denorm_src 0
		.amdhsa_exception_fp_ieee_div_zero 0
		.amdhsa_exception_fp_ieee_overflow 0
		.amdhsa_exception_fp_ieee_underflow 0
		.amdhsa_exception_fp_ieee_inexact 0
		.amdhsa_exception_int_div_zero 0
	.end_amdhsa_kernel
	.section	.text._ZL29rocblas_internal_gemmt_kernelIlLi16ELi32ELi8ELc84ELc67ELc76ELb0ELb0EfPKfS1_PfEviT_T9_T10_S3_lS5_S3_lS4_T11_S3_li,"axG",@progbits,_ZL29rocblas_internal_gemmt_kernelIlLi16ELi32ELi8ELc84ELc67ELc76ELb0ELb0EfPKfS1_PfEviT_T9_T10_S3_lS5_S3_lS4_T11_S3_li,comdat
.Lfunc_end158:
	.size	_ZL29rocblas_internal_gemmt_kernelIlLi16ELi32ELi8ELc84ELc67ELc76ELb0ELb0EfPKfS1_PfEviT_T9_T10_S3_lS5_S3_lS4_T11_S3_li, .Lfunc_end158-_ZL29rocblas_internal_gemmt_kernelIlLi16ELi32ELi8ELc84ELc67ELc76ELb0ELb0EfPKfS1_PfEviT_T9_T10_S3_lS5_S3_lS4_T11_S3_li
                                        ; -- End function
	.set _ZL29rocblas_internal_gemmt_kernelIlLi16ELi32ELi8ELc84ELc67ELc76ELb0ELb0EfPKfS1_PfEviT_T9_T10_S3_lS5_S3_lS4_T11_S3_li.num_vgpr, 54
	.set _ZL29rocblas_internal_gemmt_kernelIlLi16ELi32ELi8ELc84ELc67ELc76ELb0ELb0EfPKfS1_PfEviT_T9_T10_S3_lS5_S3_lS4_T11_S3_li.num_agpr, 0
	.set _ZL29rocblas_internal_gemmt_kernelIlLi16ELi32ELi8ELc84ELc67ELc76ELb0ELb0EfPKfS1_PfEviT_T9_T10_S3_lS5_S3_lS4_T11_S3_li.numbered_sgpr, 35
	.set _ZL29rocblas_internal_gemmt_kernelIlLi16ELi32ELi8ELc84ELc67ELc76ELb0ELb0EfPKfS1_PfEviT_T9_T10_S3_lS5_S3_lS4_T11_S3_li.num_named_barrier, 0
	.set _ZL29rocblas_internal_gemmt_kernelIlLi16ELi32ELi8ELc84ELc67ELc76ELb0ELb0EfPKfS1_PfEviT_T9_T10_S3_lS5_S3_lS4_T11_S3_li.private_seg_size, 0
	.set _ZL29rocblas_internal_gemmt_kernelIlLi16ELi32ELi8ELc84ELc67ELc76ELb0ELb0EfPKfS1_PfEviT_T9_T10_S3_lS5_S3_lS4_T11_S3_li.uses_vcc, 1
	.set _ZL29rocblas_internal_gemmt_kernelIlLi16ELi32ELi8ELc84ELc67ELc76ELb0ELb0EfPKfS1_PfEviT_T9_T10_S3_lS5_S3_lS4_T11_S3_li.uses_flat_scratch, 0
	.set _ZL29rocblas_internal_gemmt_kernelIlLi16ELi32ELi8ELc84ELc67ELc76ELb0ELb0EfPKfS1_PfEviT_T9_T10_S3_lS5_S3_lS4_T11_S3_li.has_dyn_sized_stack, 0
	.set _ZL29rocblas_internal_gemmt_kernelIlLi16ELi32ELi8ELc84ELc67ELc76ELb0ELb0EfPKfS1_PfEviT_T9_T10_S3_lS5_S3_lS4_T11_S3_li.has_recursion, 0
	.set _ZL29rocblas_internal_gemmt_kernelIlLi16ELi32ELi8ELc84ELc67ELc76ELb0ELb0EfPKfS1_PfEviT_T9_T10_S3_lS5_S3_lS4_T11_S3_li.has_indirect_call, 0
	.section	.AMDGPU.csdata,"",@progbits
; Kernel info:
; codeLenInByte = 1596
; TotalNumSgprs: 37
; NumVgprs: 54
; ScratchSize: 0
; MemoryBound: 0
; FloatMode: 240
; IeeeMode: 1
; LDSByteSize: 2048 bytes/workgroup (compile time only)
; SGPRBlocks: 0
; VGPRBlocks: 3
; NumSGPRsForWavesPerEU: 37
; NumVGPRsForWavesPerEU: 54
; NamedBarCnt: 0
; Occupancy: 16
; WaveLimiterHint : 0
; COMPUTE_PGM_RSRC2:SCRATCH_EN: 0
; COMPUTE_PGM_RSRC2:USER_SGPR: 2
; COMPUTE_PGM_RSRC2:TRAP_HANDLER: 0
; COMPUTE_PGM_RSRC2:TGID_X_EN: 1
; COMPUTE_PGM_RSRC2:TGID_Y_EN: 1
; COMPUTE_PGM_RSRC2:TGID_Z_EN: 1
; COMPUTE_PGM_RSRC2:TIDIG_COMP_CNT: 1
	.section	.text._ZL29rocblas_internal_gemmt_kernelIlLi16ELi32ELi8ELc67ELc78ELc76ELb0ELb0EfPKfS1_PfEviT_T9_T10_S3_lS5_S3_lS4_T11_S3_li,"axG",@progbits,_ZL29rocblas_internal_gemmt_kernelIlLi16ELi32ELi8ELc67ELc78ELc76ELb0ELb0EfPKfS1_PfEviT_T9_T10_S3_lS5_S3_lS4_T11_S3_li,comdat
	.globl	_ZL29rocblas_internal_gemmt_kernelIlLi16ELi32ELi8ELc67ELc78ELc76ELb0ELb0EfPKfS1_PfEviT_T9_T10_S3_lS5_S3_lS4_T11_S3_li ; -- Begin function _ZL29rocblas_internal_gemmt_kernelIlLi16ELi32ELi8ELc67ELc78ELc76ELb0ELb0EfPKfS1_PfEviT_T9_T10_S3_lS5_S3_lS4_T11_S3_li
	.p2align	8
	.type	_ZL29rocblas_internal_gemmt_kernelIlLi16ELi32ELi8ELc67ELc78ELc76ELb0ELb0EfPKfS1_PfEviT_T9_T10_S3_lS5_S3_lS4_T11_S3_li,@function
_ZL29rocblas_internal_gemmt_kernelIlLi16ELi32ELi8ELc67ELc78ELc76ELb0ELb0EfPKfS1_PfEviT_T9_T10_S3_lS5_S3_lS4_T11_S3_li: ; @_ZL29rocblas_internal_gemmt_kernelIlLi16ELi32ELi8ELc67ELc78ELc76ELb0ELb0EfPKfS1_PfEviT_T9_T10_S3_lS5_S3_lS4_T11_S3_li
; %bb.0:
	s_clause 0x1
	s_load_b256 s[24:31], s[0:1], 0x48
	s_load_b512 s[8:23], s[0:1], 0x8
	s_wait_kmcnt 0x0
	s_load_b32 s33, s[24:25], 0x0
	s_load_b32 s34, s[10:11], 0x0
	s_wait_kmcnt 0x0
	s_cmp_neq_f32 s33, 1.0
	s_cselect_b32 s2, -1, 0
	s_delay_alu instid0(SALU_CYCLE_1)
	s_and_b32 vcc_lo, exec_lo, s2
	s_cbranch_vccnz .LBB159_2
; %bb.1:
	s_cmp_lg_u64 s[8:9], 0
	s_cselect_b32 s2, -1, 0
	s_cmp_neq_f32 s34, 0
	s_cselect_b32 s3, -1, 0
	s_delay_alu instid0(SALU_CYCLE_1)
	s_and_b32 s2, s2, s3
.LBB159_2:
	s_delay_alu instid0(SALU_CYCLE_1)
	s_and_not1_b32 vcc_lo, exec_lo, s2
	s_cbranch_vccnz .LBB159_35
; %bb.3:
	s_load_b32 s10, s[0:1], 0x68
	s_bfe_u32 s2, ttmp6, 0x40014
	s_lshr_b32 s3, ttmp7, 16
	s_add_co_i32 s2, s2, 1
	s_bfe_u32 s5, ttmp6, 0x40008
	s_mul_i32 s4, s3, s2
	s_getreg_b32 s2, hwreg(HW_REG_IB_STS2, 6, 4)
	s_add_co_i32 s5, s5, s4
	s_cmp_eq_u32 s2, 0
	s_mov_b32 s7, 0
	s_cselect_b32 s6, s3, s5
	s_wait_kmcnt 0x0
	s_cmp_ge_u32 s6, s10
	s_cbranch_scc1 .LBB159_35
; %bb.4:
	v_and_b32_e32 v8, 0x3ff, v0
	v_bfe_u32 v2, v0, 10, 10
	s_bfe_u32 s4, ttmp6, 0x4000c
	s_bfe_u32 s11, ttmp6, 0x40010
	s_and_b32 s5, ttmp7, 0xffff
	s_add_co_i32 s4, s4, 1
	s_add_co_i32 s11, s11, 1
	v_lshl_add_u32 v6, v2, 4, v8
	s_and_b32 s3, ttmp6, 15
	s_mul_i32 s4, ttmp9, s4
	s_mul_i32 s11, s5, s11
	s_bfe_u32 s24, ttmp6, 0x40004
	s_add_co_i32 s3, s3, s4
	s_add_co_i32 s24, s24, s11
	s_cmp_eq_u32 s2, 0
	v_dual_lshrrev_b32 v9, 3, v6 :: v_dual_bitop2_b32 v10, 31, v6 bitop3:0x40
	s_cselect_b32 s2, ttmp9, s3
	s_cselect_b32 s3, s5, s24
	s_lshl_b32 s2, s2, 5
	s_lshl_b32 s3, s3, 5
	s_delay_alu instid0(SALU_CYCLE_1) | instskip(SKIP_2) | instid1(VALU_DEP_2)
	v_dual_add_nc_u32 v14, s3, v9 :: v_dual_bitop2_b32 v12, s2, v10 bitop3:0x54
	v_dual_add_nc_u32 v16, s3, v2 :: v_dual_bitop2_b32 v0, 7, v0 bitop3:0x40
	s_load_b32 s3, s[0:1], 0x0
	v_dual_ashrrev_i32 v13, 31, v12 :: v_dual_ashrrev_i32 v15, 31, v14
	s_delay_alu instid0(VALU_DEP_2) | instskip(NEXT) | instid1(VALU_DEP_3)
	v_dual_add_nc_u32 v22, 16, v16 :: v_dual_ashrrev_i32 v17, 31, v16
	v_lshlrev_b32_e32 v11, 2, v0
	s_delay_alu instid0(VALU_DEP_3) | instskip(NEXT) | instid1(VALU_DEP_4)
	v_mul_u64_e32 v[18:19], s[14:15], v[12:13]
	v_mul_u64_e32 v[20:21], s[20:21], v[14:15]
	s_delay_alu instid0(VALU_DEP_4) | instskip(SKIP_3) | instid1(VALU_DEP_4)
	v_ashrrev_i32_e32 v23, 31, v22
	v_lshl_add_u32 v7, v2, 5, 0x400
	v_mul_u64_e32 v[2:3], s[28:29], v[16:17]
	v_dual_lshlrev_b32 v1, 2, v8 :: v_dual_lshrrev_b32 v6, 5, v6
	v_mul_u64_e32 v[4:5], s[28:29], v[22:23]
	v_dual_add_nc_u32 v8, s2, v8 :: v_dual_lshlrev_b32 v13, 2, v10
	s_cmp_neq_f32 s34, 0
	v_lshl_or_b32 v11, v9, 5, v11
	v_cmp_gt_i64_e64 s15, s[8:9], 0
	s_delay_alu instid0(VALU_DEP_3)
	v_cmp_le_i32_e32 vcc_lo, v16, v8
	v_dual_ashrrev_i32 v9, 31, v8 :: v_dual_add_nc_u32 v10, 16, v8
	s_wait_kmcnt 0x0
	v_cmp_gt_i32_e64 s2, s3, v8
	s_cselect_b32 s20, -1, 0
	s_cmp_neq_f32 s33, 0
	v_cmp_gt_i32_e64 s0, s3, v12
	v_cmp_gt_i32_e64 s1, s3, v14
	;; [unrolled: 1-line block ×3, first 2 shown]
	s_cselect_b32 s11, -1, 0
	s_and_b32 s14, vcc_lo, s2
	v_cmp_le_i32_e32 vcc_lo, v16, v10
	v_cmp_le_i32_e64 s4, v22, v8
	v_cmp_le_i32_e64 s5, v22, v10
	v_lshl_or_b32 v26, v6, 7, v13
	v_add_nc_u32_e32 v27, 0x400, v11
	v_dual_ashrrev_i32 v11, 31, v10 :: v_dual_mov_b32 v17, 0
	s_and_b32 s4, s4, s2
	v_lshl_add_u64 v[12:13], v[18:19], 2, s[12:13]
	v_lshl_add_u64 v[14:15], v[20:21], 2, s[18:19]
	s_and_b32 s12, s20, s15
	s_and_b32 s13, vcc_lo, s3
	s_and_b32 s5, s5, s3
	s_branch .LBB159_6
.LBB159_5:                              ;   in Loop: Header=BB159_6 Depth=1
	s_wait_xcnt 0x0
	s_or_b32 exec_lo, exec_lo, s2
	s_add_co_i32 s6, s6, 0x10000
	s_delay_alu instid0(SALU_CYCLE_1)
	s_cmp_lt_u32 s6, s10
	s_cbranch_scc0 .LBB159_35
.LBB159_6:                              ; =>This Loop Header: Depth=1
                                        ;     Child Loop BB159_9 Depth 2
	v_dual_mov_b32 v25, v17 :: v_dual_mov_b32 v24, v17
	v_dual_mov_b32 v19, v17 :: v_dual_mov_b32 v18, v17
	s_and_not1_b32 vcc_lo, exec_lo, s12
	s_cbranch_vccnz .LBB159_15
; %bb.7:                                ;   in Loop: Header=BB159_6 Depth=1
	v_mov_b32_e32 v18, 0
	s_mul_u64 s[2:3], s[16:17], s[6:7]
	s_mul_u64 s[18:19], s[22:23], s[6:7]
	v_lshl_add_u64 v[20:21], s[2:3], 2, v[12:13]
	v_lshl_add_u64 v[22:23], s[18:19], 2, v[14:15]
	v_dual_mov_b32 v19, v18 :: v_dual_mov_b32 v24, v18
	v_mov_b32_e32 v25, v18
	s_mov_b64 s[2:3], 0
	s_branch .LBB159_9
.LBB159_8:                              ;   in Loop: Header=BB159_9 Depth=2
	s_wait_xcnt 0x0
	s_or_b32 exec_lo, exec_lo, s15
	s_wait_loadcnt 0x0
	ds_store_b32 v27, v29
	s_wait_dscnt 0x0
	s_barrier_signal -1
	s_barrier_wait -1
	ds_load_b128 v[28:31], v7
	ds_load_2addr_b32 v[44:45], v1 offset1:16
	ds_load_b128 v[32:35], v7 offset:512
	ds_load_2addr_b32 v[46:47], v1 offset0:32 offset1:48
	ds_load_2addr_b32 v[48:49], v1 offset0:64 offset1:80
	;; [unrolled: 1-line block ×3, first 2 shown]
	ds_load_b128 v[36:39], v7 offset:16
	ds_load_2addr_b32 v[52:53], v1 offset0:128 offset1:144
	ds_load_b128 v[40:43], v7 offset:528
	s_add_nc_u64 s[2:3], s[2:3], 8
	s_delay_alu instid0(SALU_CYCLE_1)
	v_cmp_gt_i64_e64 s15, s[8:9], s[2:3]
	s_and_b32 vcc_lo, exec_lo, s15
	s_wait_dscnt 0x8
	v_mov_b32_e32 v16, v31
	s_wait_dscnt 0x7
	v_pk_fma_f32 v[24:25], v[44:45], v[28:29], v[24:25] op_sel_hi:[1,0,1]
	s_wait_dscnt 0x6
	v_pk_fma_f32 v[18:19], v[44:45], v[32:33], v[18:19] op_sel_hi:[1,0,1]
	ds_load_2addr_b32 v[44:45], v1 offset0:160 offset1:176
	s_wait_dscnt 0x6
	v_pk_fma_f32 v[24:25], v[46:47], v[28:29], v[24:25] op_sel:[0,1,0]
	v_pk_fma_f32 v[18:19], v[46:47], v[32:33], v[18:19] op_sel:[0,1,0]
	ds_load_2addr_b32 v[28:29], v1 offset0:192 offset1:208
	v_mov_b32_e32 v32, v35
	s_wait_dscnt 0x6
	v_pk_fma_f32 v[24:25], v[48:49], v[30:31], v[24:25] op_sel_hi:[1,0,1]
	v_pk_fma_f32 v[18:19], v[48:49], v[34:35], v[18:19] op_sel_hi:[1,0,1]
	ds_load_2addr_b32 v[30:31], v1 offset0:224 offset1:240
	s_wait_dscnt 0x0
	s_barrier_signal -1
	v_pk_fma_f32 v[24:25], v[50:51], v[16:17], v[24:25] op_sel_hi:[1,0,1]
	v_pk_fma_f32 v[18:19], v[50:51], v[32:33], v[18:19] op_sel_hi:[1,0,1]
	v_dual_mov_b32 v16, v39 :: v_dual_mov_b32 v32, v43
	s_barrier_wait -1
	s_delay_alu instid0(VALU_DEP_3) | instskip(NEXT) | instid1(VALU_DEP_3)
	v_pk_fma_f32 v[24:25], v[52:53], v[36:37], v[24:25] op_sel_hi:[1,0,1]
	v_pk_fma_f32 v[18:19], v[52:53], v[40:41], v[18:19] op_sel_hi:[1,0,1]
	s_delay_alu instid0(VALU_DEP_2) | instskip(NEXT) | instid1(VALU_DEP_2)
	v_pk_fma_f32 v[24:25], v[44:45], v[36:37], v[24:25] op_sel:[0,1,0]
	v_pk_fma_f32 v[18:19], v[44:45], v[40:41], v[18:19] op_sel:[0,1,0]
	s_delay_alu instid0(VALU_DEP_2) | instskip(NEXT) | instid1(VALU_DEP_2)
	v_pk_fma_f32 v[24:25], v[28:29], v[38:39], v[24:25] op_sel_hi:[1,0,1]
	v_pk_fma_f32 v[18:19], v[28:29], v[42:43], v[18:19] op_sel_hi:[1,0,1]
	s_delay_alu instid0(VALU_DEP_2) | instskip(NEXT) | instid1(VALU_DEP_2)
	v_pk_fma_f32 v[24:25], v[30:31], v[16:17], v[24:25] op_sel_hi:[1,0,1]
	v_pk_fma_f32 v[18:19], v[30:31], v[32:33], v[18:19] op_sel_hi:[1,0,1]
	s_cbranch_vccz .LBB159_15
.LBB159_9:                              ;   Parent Loop BB159_6 Depth=1
                                        ; =>  This Inner Loop Header: Depth=2
	v_mov_b32_e32 v28, 0
	s_and_saveexec_b32 s15, s0
	s_cbranch_execz .LBB159_13
; %bb.10:                               ;   in Loop: Header=BB159_9 Depth=2
	v_dual_add_nc_u32 v16, s2, v6 :: v_dual_mov_b32 v28, 0
	s_mov_b32 s18, exec_lo
	s_delay_alu instid0(VALU_DEP_1)
	v_cmpx_gt_u64_e64 s[8:9], v[16:17]
	s_cbranch_execz .LBB159_12
; %bb.11:                               ;   in Loop: Header=BB159_9 Depth=2
	v_lshl_add_u64 v[28:29], v[16:17], 2, v[20:21]
	global_load_b32 v28, v[28:29], off
.LBB159_12:                             ;   in Loop: Header=BB159_9 Depth=2
	s_wait_xcnt 0x0
	s_or_b32 exec_lo, exec_lo, s18
.LBB159_13:                             ;   in Loop: Header=BB159_9 Depth=2
	s_delay_alu instid0(SALU_CYCLE_1)
	s_or_b32 exec_lo, exec_lo, s15
	v_dual_mov_b32 v29, 0 :: v_dual_add_nc_u32 v16, s2, v0
	s_wait_loadcnt 0x0
	ds_store_b32 v26, v28
	v_cmp_gt_u64_e32 vcc_lo, s[8:9], v[16:17]
	s_and_b32 s18, vcc_lo, s1
	s_delay_alu instid0(SALU_CYCLE_1)
	s_and_saveexec_b32 s15, s18
	s_cbranch_execz .LBB159_8
; %bb.14:                               ;   in Loop: Header=BB159_9 Depth=2
	v_lshl_add_u64 v[28:29], v[16:17], 2, v[22:23]
	global_load_b32 v29, v[28:29], off
	s_branch .LBB159_8
.LBB159_15:                             ;   in Loop: Header=BB159_6 Depth=1
	s_mul_u64 s[2:3], s[30:31], s[6:7]
	s_delay_alu instid0(SALU_CYCLE_1) | instskip(NEXT) | instid1(SALU_CYCLE_1)
	s_lshl_b64 s[2:3], s[2:3], 2
	s_add_nc_u64 s[2:3], s[26:27], s[2:3]
	s_delay_alu instid0(SALU_CYCLE_1)
	v_lshl_add_u64 v[20:21], v[2:3], 2, s[2:3]
	s_and_saveexec_b32 s15, s14
	s_cbranch_execz .LBB159_19
; %bb.16:                               ;   in Loop: Header=BB159_6 Depth=1
	v_mul_f32_e32 v16, s34, v24
	s_delay_alu instid0(VALU_DEP_2)
	v_lshl_add_u64 v[22:23], v[8:9], 2, v[20:21]
	s_and_b32 vcc_lo, exec_lo, s11
	s_cbranch_vccz .LBB159_30
; %bb.17:                               ;   in Loop: Header=BB159_6 Depth=1
	global_load_b32 v24, v[22:23], off
	s_wait_loadcnt 0x0
	v_fma_f32 v24, s33, v24, v16
	global_store_b32 v[22:23], v24, off
	s_cbranch_execnz .LBB159_19
.LBB159_18:                             ;   in Loop: Header=BB159_6 Depth=1
	global_store_b32 v[22:23], v16, off
.LBB159_19:                             ;   in Loop: Header=BB159_6 Depth=1
	s_wait_xcnt 0x0
	s_or_b32 exec_lo, exec_lo, s15
	s_and_saveexec_b32 s15, s13
	s_cbranch_execz .LBB159_23
; %bb.20:                               ;   in Loop: Header=BB159_6 Depth=1
	v_mul_f32_e32 v16, s34, v25
	v_lshl_add_u64 v[20:21], v[10:11], 2, v[20:21]
	s_and_not1_b32 vcc_lo, exec_lo, s11
	s_cbranch_vccnz .LBB159_31
; %bb.21:                               ;   in Loop: Header=BB159_6 Depth=1
	global_load_b32 v22, v[20:21], off
	s_wait_loadcnt 0x0
	v_fma_f32 v22, s33, v22, v16
	global_store_b32 v[20:21], v22, off
	s_cbranch_execnz .LBB159_23
.LBB159_22:                             ;   in Loop: Header=BB159_6 Depth=1
	global_store_b32 v[20:21], v16, off
.LBB159_23:                             ;   in Loop: Header=BB159_6 Depth=1
	s_wait_xcnt 0x0
	s_or_b32 exec_lo, exec_lo, s15
	v_lshl_add_u64 v[20:21], v[4:5], 2, s[2:3]
	s_and_saveexec_b32 s2, s4
	s_cbranch_execz .LBB159_27
; %bb.24:                               ;   in Loop: Header=BB159_6 Depth=1
	v_mul_f32_e32 v16, s34, v18
	s_delay_alu instid0(VALU_DEP_2)
	v_lshl_add_u64 v[22:23], v[8:9], 2, v[20:21]
	s_and_not1_b32 vcc_lo, exec_lo, s11
	s_cbranch_vccnz .LBB159_32
; %bb.25:                               ;   in Loop: Header=BB159_6 Depth=1
	global_load_b32 v18, v[22:23], off
	s_wait_loadcnt 0x0
	v_fma_f32 v18, s33, v18, v16
	global_store_b32 v[22:23], v18, off
	s_cbranch_execnz .LBB159_27
.LBB159_26:                             ;   in Loop: Header=BB159_6 Depth=1
	global_store_b32 v[22:23], v16, off
.LBB159_27:                             ;   in Loop: Header=BB159_6 Depth=1
	s_wait_xcnt 0x0
	s_or_b32 exec_lo, exec_lo, s2
	s_and_saveexec_b32 s2, s5
	s_cbranch_execz .LBB159_5
; %bb.28:                               ;   in Loop: Header=BB159_6 Depth=1
	v_mul_f32_e32 v16, s34, v19
	v_lshl_add_u64 v[18:19], v[10:11], 2, v[20:21]
	s_and_not1_b32 vcc_lo, exec_lo, s11
	s_cbranch_vccnz .LBB159_33
; %bb.29:                               ;   in Loop: Header=BB159_6 Depth=1
	global_load_b32 v20, v[18:19], off
	s_wait_loadcnt 0x0
	v_fma_f32 v20, s33, v20, v16
	global_store_b32 v[18:19], v20, off
	s_cbranch_execnz .LBB159_5
	s_branch .LBB159_34
.LBB159_30:                             ;   in Loop: Header=BB159_6 Depth=1
	s_branch .LBB159_18
.LBB159_31:                             ;   in Loop: Header=BB159_6 Depth=1
	s_branch .LBB159_22
.LBB159_32:                             ;   in Loop: Header=BB159_6 Depth=1
	s_branch .LBB159_26
.LBB159_33:                             ;   in Loop: Header=BB159_6 Depth=1
.LBB159_34:                             ;   in Loop: Header=BB159_6 Depth=1
	global_store_b32 v[18:19], v16, off
	s_branch .LBB159_5
.LBB159_35:
	s_endpgm
	.section	.rodata,"a",@progbits
	.p2align	6, 0x0
	.amdhsa_kernel _ZL29rocblas_internal_gemmt_kernelIlLi16ELi32ELi8ELc67ELc78ELc76ELb0ELb0EfPKfS1_PfEviT_T9_T10_S3_lS5_S3_lS4_T11_S3_li
		.amdhsa_group_segment_fixed_size 2048
		.amdhsa_private_segment_fixed_size 0
		.amdhsa_kernarg_size 108
		.amdhsa_user_sgpr_count 2
		.amdhsa_user_sgpr_dispatch_ptr 0
		.amdhsa_user_sgpr_queue_ptr 0
		.amdhsa_user_sgpr_kernarg_segment_ptr 1
		.amdhsa_user_sgpr_dispatch_id 0
		.amdhsa_user_sgpr_kernarg_preload_length 0
		.amdhsa_user_sgpr_kernarg_preload_offset 0
		.amdhsa_user_sgpr_private_segment_size 0
		.amdhsa_wavefront_size32 1
		.amdhsa_uses_dynamic_stack 0
		.amdhsa_enable_private_segment 0
		.amdhsa_system_sgpr_workgroup_id_x 1
		.amdhsa_system_sgpr_workgroup_id_y 1
		.amdhsa_system_sgpr_workgroup_id_z 1
		.amdhsa_system_sgpr_workgroup_info 0
		.amdhsa_system_vgpr_workitem_id 1
		.amdhsa_next_free_vgpr 54
		.amdhsa_next_free_sgpr 35
		.amdhsa_named_barrier_count 0
		.amdhsa_reserve_vcc 1
		.amdhsa_float_round_mode_32 0
		.amdhsa_float_round_mode_16_64 0
		.amdhsa_float_denorm_mode_32 3
		.amdhsa_float_denorm_mode_16_64 3
		.amdhsa_fp16_overflow 0
		.amdhsa_memory_ordered 1
		.amdhsa_forward_progress 1
		.amdhsa_inst_pref_size 13
		.amdhsa_round_robin_scheduling 0
		.amdhsa_exception_fp_ieee_invalid_op 0
		.amdhsa_exception_fp_denorm_src 0
		.amdhsa_exception_fp_ieee_div_zero 0
		.amdhsa_exception_fp_ieee_overflow 0
		.amdhsa_exception_fp_ieee_underflow 0
		.amdhsa_exception_fp_ieee_inexact 0
		.amdhsa_exception_int_div_zero 0
	.end_amdhsa_kernel
	.section	.text._ZL29rocblas_internal_gemmt_kernelIlLi16ELi32ELi8ELc67ELc78ELc76ELb0ELb0EfPKfS1_PfEviT_T9_T10_S3_lS5_S3_lS4_T11_S3_li,"axG",@progbits,_ZL29rocblas_internal_gemmt_kernelIlLi16ELi32ELi8ELc67ELc78ELc76ELb0ELb0EfPKfS1_PfEviT_T9_T10_S3_lS5_S3_lS4_T11_S3_li,comdat
.Lfunc_end159:
	.size	_ZL29rocblas_internal_gemmt_kernelIlLi16ELi32ELi8ELc67ELc78ELc76ELb0ELb0EfPKfS1_PfEviT_T9_T10_S3_lS5_S3_lS4_T11_S3_li, .Lfunc_end159-_ZL29rocblas_internal_gemmt_kernelIlLi16ELi32ELi8ELc67ELc78ELc76ELb0ELb0EfPKfS1_PfEviT_T9_T10_S3_lS5_S3_lS4_T11_S3_li
                                        ; -- End function
	.set _ZL29rocblas_internal_gemmt_kernelIlLi16ELi32ELi8ELc67ELc78ELc76ELb0ELb0EfPKfS1_PfEviT_T9_T10_S3_lS5_S3_lS4_T11_S3_li.num_vgpr, 54
	.set _ZL29rocblas_internal_gemmt_kernelIlLi16ELi32ELi8ELc67ELc78ELc76ELb0ELb0EfPKfS1_PfEviT_T9_T10_S3_lS5_S3_lS4_T11_S3_li.num_agpr, 0
	.set _ZL29rocblas_internal_gemmt_kernelIlLi16ELi32ELi8ELc67ELc78ELc76ELb0ELb0EfPKfS1_PfEviT_T9_T10_S3_lS5_S3_lS4_T11_S3_li.numbered_sgpr, 35
	.set _ZL29rocblas_internal_gemmt_kernelIlLi16ELi32ELi8ELc67ELc78ELc76ELb0ELb0EfPKfS1_PfEviT_T9_T10_S3_lS5_S3_lS4_T11_S3_li.num_named_barrier, 0
	.set _ZL29rocblas_internal_gemmt_kernelIlLi16ELi32ELi8ELc67ELc78ELc76ELb0ELb0EfPKfS1_PfEviT_T9_T10_S3_lS5_S3_lS4_T11_S3_li.private_seg_size, 0
	.set _ZL29rocblas_internal_gemmt_kernelIlLi16ELi32ELi8ELc67ELc78ELc76ELb0ELb0EfPKfS1_PfEviT_T9_T10_S3_lS5_S3_lS4_T11_S3_li.uses_vcc, 1
	.set _ZL29rocblas_internal_gemmt_kernelIlLi16ELi32ELi8ELc67ELc78ELc76ELb0ELb0EfPKfS1_PfEviT_T9_T10_S3_lS5_S3_lS4_T11_S3_li.uses_flat_scratch, 0
	.set _ZL29rocblas_internal_gemmt_kernelIlLi16ELi32ELi8ELc67ELc78ELc76ELb0ELb0EfPKfS1_PfEviT_T9_T10_S3_lS5_S3_lS4_T11_S3_li.has_dyn_sized_stack, 0
	.set _ZL29rocblas_internal_gemmt_kernelIlLi16ELi32ELi8ELc67ELc78ELc76ELb0ELb0EfPKfS1_PfEviT_T9_T10_S3_lS5_S3_lS4_T11_S3_li.has_recursion, 0
	.set _ZL29rocblas_internal_gemmt_kernelIlLi16ELi32ELi8ELc67ELc78ELc76ELb0ELb0EfPKfS1_PfEviT_T9_T10_S3_lS5_S3_lS4_T11_S3_li.has_indirect_call, 0
	.section	.AMDGPU.csdata,"",@progbits
; Kernel info:
; codeLenInByte = 1596
; TotalNumSgprs: 37
; NumVgprs: 54
; ScratchSize: 0
; MemoryBound: 0
; FloatMode: 240
; IeeeMode: 1
; LDSByteSize: 2048 bytes/workgroup (compile time only)
; SGPRBlocks: 0
; VGPRBlocks: 3
; NumSGPRsForWavesPerEU: 37
; NumVGPRsForWavesPerEU: 54
; NamedBarCnt: 0
; Occupancy: 16
; WaveLimiterHint : 0
; COMPUTE_PGM_RSRC2:SCRATCH_EN: 0
; COMPUTE_PGM_RSRC2:USER_SGPR: 2
; COMPUTE_PGM_RSRC2:TRAP_HANDLER: 0
; COMPUTE_PGM_RSRC2:TGID_X_EN: 1
; COMPUTE_PGM_RSRC2:TGID_Y_EN: 1
; COMPUTE_PGM_RSRC2:TGID_Z_EN: 1
; COMPUTE_PGM_RSRC2:TIDIG_COMP_CNT: 1
	.section	.text._ZL29rocblas_internal_gemmt_kernelIlLi16ELi32ELi8ELc67ELc84ELc76ELb0ELb0EfPKfS1_PfEviT_T9_T10_S3_lS5_S3_lS4_T11_S3_li,"axG",@progbits,_ZL29rocblas_internal_gemmt_kernelIlLi16ELi32ELi8ELc67ELc84ELc76ELb0ELb0EfPKfS1_PfEviT_T9_T10_S3_lS5_S3_lS4_T11_S3_li,comdat
	.globl	_ZL29rocblas_internal_gemmt_kernelIlLi16ELi32ELi8ELc67ELc84ELc76ELb0ELb0EfPKfS1_PfEviT_T9_T10_S3_lS5_S3_lS4_T11_S3_li ; -- Begin function _ZL29rocblas_internal_gemmt_kernelIlLi16ELi32ELi8ELc67ELc84ELc76ELb0ELb0EfPKfS1_PfEviT_T9_T10_S3_lS5_S3_lS4_T11_S3_li
	.p2align	8
	.type	_ZL29rocblas_internal_gemmt_kernelIlLi16ELi32ELi8ELc67ELc84ELc76ELb0ELb0EfPKfS1_PfEviT_T9_T10_S3_lS5_S3_lS4_T11_S3_li,@function
_ZL29rocblas_internal_gemmt_kernelIlLi16ELi32ELi8ELc67ELc84ELc76ELb0ELb0EfPKfS1_PfEviT_T9_T10_S3_lS5_S3_lS4_T11_S3_li: ; @_ZL29rocblas_internal_gemmt_kernelIlLi16ELi32ELi8ELc67ELc84ELc76ELb0ELb0EfPKfS1_PfEviT_T9_T10_S3_lS5_S3_lS4_T11_S3_li
; %bb.0:
	s_clause 0x1
	s_load_b256 s[24:31], s[0:1], 0x48
	s_load_b512 s[8:23], s[0:1], 0x8
	s_wait_kmcnt 0x0
	s_load_b32 s33, s[24:25], 0x0
	s_load_b32 s34, s[10:11], 0x0
	s_wait_kmcnt 0x0
	s_cmp_neq_f32 s33, 1.0
	s_cselect_b32 s2, -1, 0
	s_delay_alu instid0(SALU_CYCLE_1)
	s_and_b32 vcc_lo, exec_lo, s2
	s_cbranch_vccnz .LBB160_2
; %bb.1:
	s_cmp_lg_u64 s[8:9], 0
	s_cselect_b32 s2, -1, 0
	s_cmp_neq_f32 s34, 0
	s_cselect_b32 s3, -1, 0
	s_delay_alu instid0(SALU_CYCLE_1)
	s_and_b32 s2, s2, s3
.LBB160_2:
	s_delay_alu instid0(SALU_CYCLE_1)
	s_and_not1_b32 vcc_lo, exec_lo, s2
	s_cbranch_vccnz .LBB160_35
; %bb.3:
	s_load_b32 s10, s[0:1], 0x68
	s_bfe_u32 s2, ttmp6, 0x40014
	s_lshr_b32 s3, ttmp7, 16
	s_add_co_i32 s2, s2, 1
	s_bfe_u32 s5, ttmp6, 0x40008
	s_mul_i32 s4, s3, s2
	s_getreg_b32 s2, hwreg(HW_REG_IB_STS2, 6, 4)
	s_add_co_i32 s5, s5, s4
	s_cmp_eq_u32 s2, 0
	s_mov_b32 s7, 0
	s_cselect_b32 s6, s3, s5
	s_wait_kmcnt 0x0
	s_cmp_ge_u32 s6, s10
	s_cbranch_scc1 .LBB160_35
; %bb.4:
	s_bfe_u32 s3, ttmp6, 0x4000c
	s_bfe_u32 s5, ttmp6, 0x40010
	v_and_b32_e32 v8, 0x3ff, v0
	v_bfe_u32 v2, v0, 10, 10
	s_add_co_i32 s3, s3, 1
	s_and_b32 s11, ttmp7, 0xffff
	s_add_co_i32 s5, s5, 1
	s_and_b32 s4, ttmp6, 15
	s_mul_i32 s3, ttmp9, s3
	s_mul_i32 s5, s11, s5
	s_bfe_u32 s24, ttmp6, 0x40004
	v_lshl_add_u32 v4, v2, 4, v8
	s_add_co_i32 s4, s4, s3
	s_add_co_i32 s24, s24, s5
	s_cmp_eq_u32 s2, 0
	v_lshl_add_u32 v3, v2, 5, 0x400
	s_cselect_b32 s3, s11, s24
	s_cselect_b32 s2, ttmp9, s4
	s_lshl_b32 s3, s3, 5
	s_delay_alu instid0(SALU_CYCLE_1) | instskip(SKIP_3) | instid1(VALU_DEP_2)
	v_dual_add_nc_u32 v14, s3, v2 :: v_dual_bitop2_b32 v9, 31, v4 bitop3:0x40
	s_lshl_b32 s2, s2, 5
	s_load_b32 s4, s[0:1], 0x0
	v_dual_lshrrev_b32 v2, 5, v4 :: v_dual_lshrrev_b32 v11, 3, v4
	v_dual_add_nc_u32 v18, 16, v14 :: v_dual_bitop2_b32 v12, s2, v9 bitop3:0x54
	v_dual_ashrrev_i32 v15, 31, v14 :: v_dual_bitop2_b32 v0, 7, v0 bitop3:0x40
	v_dual_lshlrev_b32 v1, 2, v8 :: v_dual_add_nc_u32 v8, s2, v8
	s_delay_alu instid0(VALU_DEP_3) | instskip(NEXT) | instid1(VALU_DEP_3)
	v_dual_ashrrev_i32 v13, 31, v12 :: v_dual_ashrrev_i32 v19, 31, v18
	v_mul_u64_e32 v[4:5], s[28:29], v[14:15]
	s_delay_alu instid0(VALU_DEP_4) | instskip(NEXT) | instid1(VALU_DEP_3)
	v_dual_lshlrev_b32 v10, 2, v0 :: v_dual_add_nc_u32 v20, s3, v11
	v_mul_u64_e32 v[16:17], s[14:15], v[12:13]
	s_delay_alu instid0(VALU_DEP_4) | instskip(SKIP_1) | instid1(VALU_DEP_3)
	v_mul_u64_e32 v[6:7], s[28:29], v[18:19]
	s_cmp_neq_f32 s34, 0
	v_lshl_or_b32 v11, v11, 5, v10
	v_add_nc_u32_e32 v10, 16, v8
	v_cmp_le_i32_e32 vcc_lo, v14, v8
	s_wait_kmcnt 0x0
	v_cmp_gt_i32_e64 s2, s4, v8
	s_cselect_b32 s24, -1, 0
	s_cmp_neq_f32 s33, 0
	v_dual_lshlrev_b32 v13, 2, v9 :: v_dual_ashrrev_i32 v9, 31, v8
	v_cmp_le_i32_e64 s3, v14, v10
	v_cmp_gt_i64_e64 s15, s[8:9], 0
	v_cmp_gt_i32_e64 s0, s4, v12
	v_cmp_gt_i32_e64 s1, s4, v20
	s_cselect_b32 s11, -1, 0
	s_and_b32 s14, vcc_lo, s2
	v_lshl_or_b32 v26, v2, 7, v13
	v_add_nc_u32_e32 v27, 0x400, v11
	v_lshl_add_u64 v[14:15], v[16:17], 2, s[12:13]
	v_dual_mov_b32 v17, 0 :: v_dual_ashrrev_i32 v21, 31, v20
	v_ashrrev_i32_e32 v11, 31, v10
	v_cmp_gt_i32_e32 vcc_lo, s4, v10
	v_cmp_le_i32_e64 s4, v18, v8
	v_cmp_le_i32_e64 s5, v18, v10
	v_lshl_add_u64 v[12:13], v[20:21], 2, s[18:19]
	s_and_b32 s12, s24, s15
	s_and_b32 s13, s3, vcc_lo
	s_and_b32 s4, s4, s2
	s_and_b32 s5, s5, vcc_lo
	s_branch .LBB160_6
.LBB160_5:                              ;   in Loop: Header=BB160_6 Depth=1
	s_wait_xcnt 0x0
	s_or_b32 exec_lo, exec_lo, s2
	s_add_co_i32 s6, s6, 0x10000
	s_delay_alu instid0(SALU_CYCLE_1)
	s_cmp_lt_u32 s6, s10
	s_cbranch_scc0 .LBB160_35
.LBB160_6:                              ; =>This Loop Header: Depth=1
                                        ;     Child Loop BB160_9 Depth 2
	v_dual_mov_b32 v25, v17 :: v_dual_mov_b32 v24, v17
	v_dual_mov_b32 v19, v17 :: v_dual_mov_b32 v18, v17
	s_and_not1_b32 vcc_lo, exec_lo, s12
	s_cbranch_vccnz .LBB160_15
; %bb.7:                                ;   in Loop: Header=BB160_6 Depth=1
	v_mov_b32_e32 v18, 0
	s_mul_u64 s[2:3], s[16:17], s[6:7]
	s_mul_u64 s[18:19], s[22:23], s[6:7]
	v_lshl_add_u64 v[20:21], s[2:3], 2, v[14:15]
	v_lshl_add_u64 v[22:23], s[18:19], 2, v[12:13]
	v_dual_mov_b32 v19, v18 :: v_dual_mov_b32 v24, v18
	v_mov_b32_e32 v25, v18
	s_mov_b64 s[2:3], 0
	s_branch .LBB160_9
.LBB160_8:                              ;   in Loop: Header=BB160_9 Depth=2
	s_wait_xcnt 0x0
	s_or_b32 exec_lo, exec_lo, s15
	s_wait_loadcnt 0x0
	ds_store_b32 v27, v29
	s_wait_dscnt 0x0
	s_barrier_signal -1
	s_barrier_wait -1
	ds_load_b128 v[28:31], v3
	ds_load_2addr_b32 v[44:45], v1 offset1:16
	ds_load_b128 v[32:35], v3 offset:512
	ds_load_2addr_b32 v[46:47], v1 offset0:32 offset1:48
	ds_load_2addr_b32 v[48:49], v1 offset0:64 offset1:80
	;; [unrolled: 1-line block ×3, first 2 shown]
	ds_load_b128 v[36:39], v3 offset:16
	ds_load_2addr_b32 v[52:53], v1 offset0:128 offset1:144
	ds_load_b128 v[40:43], v3 offset:528
	s_add_nc_u64 s[2:3], s[2:3], 8
	s_delay_alu instid0(SALU_CYCLE_1)
	v_cmp_gt_i64_e64 s15, s[8:9], s[2:3]
	s_and_b32 vcc_lo, exec_lo, s15
	s_wait_dscnt 0x8
	v_mov_b32_e32 v16, v31
	s_wait_dscnt 0x7
	v_pk_fma_f32 v[24:25], v[44:45], v[28:29], v[24:25] op_sel_hi:[1,0,1]
	s_wait_dscnt 0x6
	v_pk_fma_f32 v[18:19], v[44:45], v[32:33], v[18:19] op_sel_hi:[1,0,1]
	ds_load_2addr_b32 v[44:45], v1 offset0:160 offset1:176
	s_wait_dscnt 0x6
	v_pk_fma_f32 v[24:25], v[46:47], v[28:29], v[24:25] op_sel:[0,1,0]
	v_pk_fma_f32 v[18:19], v[46:47], v[32:33], v[18:19] op_sel:[0,1,0]
	ds_load_2addr_b32 v[28:29], v1 offset0:192 offset1:208
	v_mov_b32_e32 v32, v35
	s_wait_dscnt 0x6
	v_pk_fma_f32 v[24:25], v[48:49], v[30:31], v[24:25] op_sel_hi:[1,0,1]
	v_pk_fma_f32 v[18:19], v[48:49], v[34:35], v[18:19] op_sel_hi:[1,0,1]
	ds_load_2addr_b32 v[30:31], v1 offset0:224 offset1:240
	s_wait_dscnt 0x0
	s_barrier_signal -1
	v_pk_fma_f32 v[24:25], v[50:51], v[16:17], v[24:25] op_sel_hi:[1,0,1]
	v_pk_fma_f32 v[18:19], v[50:51], v[32:33], v[18:19] op_sel_hi:[1,0,1]
	v_dual_mov_b32 v16, v39 :: v_dual_mov_b32 v32, v43
	s_barrier_wait -1
	s_delay_alu instid0(VALU_DEP_3) | instskip(NEXT) | instid1(VALU_DEP_3)
	v_pk_fma_f32 v[24:25], v[52:53], v[36:37], v[24:25] op_sel_hi:[1,0,1]
	v_pk_fma_f32 v[18:19], v[52:53], v[40:41], v[18:19] op_sel_hi:[1,0,1]
	s_delay_alu instid0(VALU_DEP_2) | instskip(NEXT) | instid1(VALU_DEP_2)
	v_pk_fma_f32 v[24:25], v[44:45], v[36:37], v[24:25] op_sel:[0,1,0]
	v_pk_fma_f32 v[18:19], v[44:45], v[40:41], v[18:19] op_sel:[0,1,0]
	s_delay_alu instid0(VALU_DEP_2) | instskip(NEXT) | instid1(VALU_DEP_2)
	v_pk_fma_f32 v[24:25], v[28:29], v[38:39], v[24:25] op_sel_hi:[1,0,1]
	v_pk_fma_f32 v[18:19], v[28:29], v[42:43], v[18:19] op_sel_hi:[1,0,1]
	s_delay_alu instid0(VALU_DEP_2) | instskip(NEXT) | instid1(VALU_DEP_2)
	v_pk_fma_f32 v[24:25], v[30:31], v[16:17], v[24:25] op_sel_hi:[1,0,1]
	v_pk_fma_f32 v[18:19], v[30:31], v[32:33], v[18:19] op_sel_hi:[1,0,1]
	s_cbranch_vccz .LBB160_15
.LBB160_9:                              ;   Parent Loop BB160_6 Depth=1
                                        ; =>  This Inner Loop Header: Depth=2
	v_mov_b32_e32 v28, 0
	s_and_saveexec_b32 s15, s0
	s_cbranch_execz .LBB160_13
; %bb.10:                               ;   in Loop: Header=BB160_9 Depth=2
	v_dual_add_nc_u32 v16, s2, v2 :: v_dual_mov_b32 v28, 0
	s_mov_b32 s18, exec_lo
	s_delay_alu instid0(VALU_DEP_1)
	v_cmpx_gt_u64_e64 s[8:9], v[16:17]
	s_cbranch_execz .LBB160_12
; %bb.11:                               ;   in Loop: Header=BB160_9 Depth=2
	v_lshl_add_u64 v[28:29], v[16:17], 2, v[20:21]
	global_load_b32 v28, v[28:29], off
.LBB160_12:                             ;   in Loop: Header=BB160_9 Depth=2
	s_wait_xcnt 0x0
	s_or_b32 exec_lo, exec_lo, s18
.LBB160_13:                             ;   in Loop: Header=BB160_9 Depth=2
	s_delay_alu instid0(SALU_CYCLE_1)
	s_or_b32 exec_lo, exec_lo, s15
	v_dual_mov_b32 v29, 0 :: v_dual_add_nc_u32 v16, s2, v0
	s_wait_loadcnt 0x0
	ds_store_b32 v26, v28
	v_cmp_gt_u64_e32 vcc_lo, s[8:9], v[16:17]
	s_and_b32 s18, vcc_lo, s1
	s_delay_alu instid0(SALU_CYCLE_1)
	s_and_saveexec_b32 s15, s18
	s_cbranch_execz .LBB160_8
; %bb.14:                               ;   in Loop: Header=BB160_9 Depth=2
	v_mul_u64_e32 v[28:29], s[20:21], v[16:17]
	s_delay_alu instid0(VALU_DEP_1)
	v_lshl_add_u64 v[28:29], v[28:29], 2, v[22:23]
	global_load_b32 v29, v[28:29], off
	s_branch .LBB160_8
.LBB160_15:                             ;   in Loop: Header=BB160_6 Depth=1
	s_mul_u64 s[2:3], s[30:31], s[6:7]
	s_delay_alu instid0(SALU_CYCLE_1) | instskip(NEXT) | instid1(SALU_CYCLE_1)
	s_lshl_b64 s[2:3], s[2:3], 2
	s_add_nc_u64 s[2:3], s[26:27], s[2:3]
	s_delay_alu instid0(SALU_CYCLE_1)
	v_lshl_add_u64 v[20:21], v[4:5], 2, s[2:3]
	s_and_saveexec_b32 s15, s14
	s_cbranch_execz .LBB160_19
; %bb.16:                               ;   in Loop: Header=BB160_6 Depth=1
	v_mul_f32_e32 v16, s34, v24
	s_delay_alu instid0(VALU_DEP_2)
	v_lshl_add_u64 v[22:23], v[8:9], 2, v[20:21]
	s_and_b32 vcc_lo, exec_lo, s11
	s_cbranch_vccz .LBB160_30
; %bb.17:                               ;   in Loop: Header=BB160_6 Depth=1
	global_load_b32 v24, v[22:23], off
	s_wait_loadcnt 0x0
	v_fma_f32 v24, s33, v24, v16
	global_store_b32 v[22:23], v24, off
	s_cbranch_execnz .LBB160_19
.LBB160_18:                             ;   in Loop: Header=BB160_6 Depth=1
	global_store_b32 v[22:23], v16, off
.LBB160_19:                             ;   in Loop: Header=BB160_6 Depth=1
	s_wait_xcnt 0x0
	s_or_b32 exec_lo, exec_lo, s15
	s_and_saveexec_b32 s15, s13
	s_cbranch_execz .LBB160_23
; %bb.20:                               ;   in Loop: Header=BB160_6 Depth=1
	v_mul_f32_e32 v16, s34, v25
	v_lshl_add_u64 v[20:21], v[10:11], 2, v[20:21]
	s_and_not1_b32 vcc_lo, exec_lo, s11
	s_cbranch_vccnz .LBB160_31
; %bb.21:                               ;   in Loop: Header=BB160_6 Depth=1
	global_load_b32 v22, v[20:21], off
	s_wait_loadcnt 0x0
	v_fma_f32 v22, s33, v22, v16
	global_store_b32 v[20:21], v22, off
	s_cbranch_execnz .LBB160_23
.LBB160_22:                             ;   in Loop: Header=BB160_6 Depth=1
	global_store_b32 v[20:21], v16, off
.LBB160_23:                             ;   in Loop: Header=BB160_6 Depth=1
	s_wait_xcnt 0x0
	s_or_b32 exec_lo, exec_lo, s15
	v_lshl_add_u64 v[20:21], v[6:7], 2, s[2:3]
	s_and_saveexec_b32 s2, s4
	s_cbranch_execz .LBB160_27
; %bb.24:                               ;   in Loop: Header=BB160_6 Depth=1
	v_mul_f32_e32 v16, s34, v18
	s_delay_alu instid0(VALU_DEP_2)
	v_lshl_add_u64 v[22:23], v[8:9], 2, v[20:21]
	s_and_not1_b32 vcc_lo, exec_lo, s11
	s_cbranch_vccnz .LBB160_32
; %bb.25:                               ;   in Loop: Header=BB160_6 Depth=1
	global_load_b32 v18, v[22:23], off
	s_wait_loadcnt 0x0
	v_fma_f32 v18, s33, v18, v16
	global_store_b32 v[22:23], v18, off
	s_cbranch_execnz .LBB160_27
.LBB160_26:                             ;   in Loop: Header=BB160_6 Depth=1
	global_store_b32 v[22:23], v16, off
.LBB160_27:                             ;   in Loop: Header=BB160_6 Depth=1
	s_wait_xcnt 0x0
	s_or_b32 exec_lo, exec_lo, s2
	s_and_saveexec_b32 s2, s5
	s_cbranch_execz .LBB160_5
; %bb.28:                               ;   in Loop: Header=BB160_6 Depth=1
	v_mul_f32_e32 v16, s34, v19
	v_lshl_add_u64 v[18:19], v[10:11], 2, v[20:21]
	s_and_not1_b32 vcc_lo, exec_lo, s11
	s_cbranch_vccnz .LBB160_33
; %bb.29:                               ;   in Loop: Header=BB160_6 Depth=1
	global_load_b32 v20, v[18:19], off
	s_wait_loadcnt 0x0
	v_fma_f32 v20, s33, v20, v16
	global_store_b32 v[18:19], v20, off
	s_cbranch_execnz .LBB160_5
	s_branch .LBB160_34
.LBB160_30:                             ;   in Loop: Header=BB160_6 Depth=1
	s_branch .LBB160_18
.LBB160_31:                             ;   in Loop: Header=BB160_6 Depth=1
	s_branch .LBB160_22
.LBB160_32:                             ;   in Loop: Header=BB160_6 Depth=1
	s_branch .LBB160_26
.LBB160_33:                             ;   in Loop: Header=BB160_6 Depth=1
.LBB160_34:                             ;   in Loop: Header=BB160_6 Depth=1
	global_store_b32 v[18:19], v16, off
	s_branch .LBB160_5
.LBB160_35:
	s_endpgm
	.section	.rodata,"a",@progbits
	.p2align	6, 0x0
	.amdhsa_kernel _ZL29rocblas_internal_gemmt_kernelIlLi16ELi32ELi8ELc67ELc84ELc76ELb0ELb0EfPKfS1_PfEviT_T9_T10_S3_lS5_S3_lS4_T11_S3_li
		.amdhsa_group_segment_fixed_size 2048
		.amdhsa_private_segment_fixed_size 0
		.amdhsa_kernarg_size 108
		.amdhsa_user_sgpr_count 2
		.amdhsa_user_sgpr_dispatch_ptr 0
		.amdhsa_user_sgpr_queue_ptr 0
		.amdhsa_user_sgpr_kernarg_segment_ptr 1
		.amdhsa_user_sgpr_dispatch_id 0
		.amdhsa_user_sgpr_kernarg_preload_length 0
		.amdhsa_user_sgpr_kernarg_preload_offset 0
		.amdhsa_user_sgpr_private_segment_size 0
		.amdhsa_wavefront_size32 1
		.amdhsa_uses_dynamic_stack 0
		.amdhsa_enable_private_segment 0
		.amdhsa_system_sgpr_workgroup_id_x 1
		.amdhsa_system_sgpr_workgroup_id_y 1
		.amdhsa_system_sgpr_workgroup_id_z 1
		.amdhsa_system_sgpr_workgroup_info 0
		.amdhsa_system_vgpr_workitem_id 1
		.amdhsa_next_free_vgpr 54
		.amdhsa_next_free_sgpr 35
		.amdhsa_named_barrier_count 0
		.amdhsa_reserve_vcc 1
		.amdhsa_float_round_mode_32 0
		.amdhsa_float_round_mode_16_64 0
		.amdhsa_float_denorm_mode_32 3
		.amdhsa_float_denorm_mode_16_64 3
		.amdhsa_fp16_overflow 0
		.amdhsa_memory_ordered 1
		.amdhsa_forward_progress 1
		.amdhsa_inst_pref_size 13
		.amdhsa_round_robin_scheduling 0
		.amdhsa_exception_fp_ieee_invalid_op 0
		.amdhsa_exception_fp_denorm_src 0
		.amdhsa_exception_fp_ieee_div_zero 0
		.amdhsa_exception_fp_ieee_overflow 0
		.amdhsa_exception_fp_ieee_underflow 0
		.amdhsa_exception_fp_ieee_inexact 0
		.amdhsa_exception_int_div_zero 0
	.end_amdhsa_kernel
	.section	.text._ZL29rocblas_internal_gemmt_kernelIlLi16ELi32ELi8ELc67ELc84ELc76ELb0ELb0EfPKfS1_PfEviT_T9_T10_S3_lS5_S3_lS4_T11_S3_li,"axG",@progbits,_ZL29rocblas_internal_gemmt_kernelIlLi16ELi32ELi8ELc67ELc84ELc76ELb0ELb0EfPKfS1_PfEviT_T9_T10_S3_lS5_S3_lS4_T11_S3_li,comdat
.Lfunc_end160:
	.size	_ZL29rocblas_internal_gemmt_kernelIlLi16ELi32ELi8ELc67ELc84ELc76ELb0ELb0EfPKfS1_PfEviT_T9_T10_S3_lS5_S3_lS4_T11_S3_li, .Lfunc_end160-_ZL29rocblas_internal_gemmt_kernelIlLi16ELi32ELi8ELc67ELc84ELc76ELb0ELb0EfPKfS1_PfEviT_T9_T10_S3_lS5_S3_lS4_T11_S3_li
                                        ; -- End function
	.set _ZL29rocblas_internal_gemmt_kernelIlLi16ELi32ELi8ELc67ELc84ELc76ELb0ELb0EfPKfS1_PfEviT_T9_T10_S3_lS5_S3_lS4_T11_S3_li.num_vgpr, 54
	.set _ZL29rocblas_internal_gemmt_kernelIlLi16ELi32ELi8ELc67ELc84ELc76ELb0ELb0EfPKfS1_PfEviT_T9_T10_S3_lS5_S3_lS4_T11_S3_li.num_agpr, 0
	.set _ZL29rocblas_internal_gemmt_kernelIlLi16ELi32ELi8ELc67ELc84ELc76ELb0ELb0EfPKfS1_PfEviT_T9_T10_S3_lS5_S3_lS4_T11_S3_li.numbered_sgpr, 35
	.set _ZL29rocblas_internal_gemmt_kernelIlLi16ELi32ELi8ELc67ELc84ELc76ELb0ELb0EfPKfS1_PfEviT_T9_T10_S3_lS5_S3_lS4_T11_S3_li.num_named_barrier, 0
	.set _ZL29rocblas_internal_gemmt_kernelIlLi16ELi32ELi8ELc67ELc84ELc76ELb0ELb0EfPKfS1_PfEviT_T9_T10_S3_lS5_S3_lS4_T11_S3_li.private_seg_size, 0
	.set _ZL29rocblas_internal_gemmt_kernelIlLi16ELi32ELi8ELc67ELc84ELc76ELb0ELb0EfPKfS1_PfEviT_T9_T10_S3_lS5_S3_lS4_T11_S3_li.uses_vcc, 1
	.set _ZL29rocblas_internal_gemmt_kernelIlLi16ELi32ELi8ELc67ELc84ELc76ELb0ELb0EfPKfS1_PfEviT_T9_T10_S3_lS5_S3_lS4_T11_S3_li.uses_flat_scratch, 0
	.set _ZL29rocblas_internal_gemmt_kernelIlLi16ELi32ELi8ELc67ELc84ELc76ELb0ELb0EfPKfS1_PfEviT_T9_T10_S3_lS5_S3_lS4_T11_S3_li.has_dyn_sized_stack, 0
	.set _ZL29rocblas_internal_gemmt_kernelIlLi16ELi32ELi8ELc67ELc84ELc76ELb0ELb0EfPKfS1_PfEviT_T9_T10_S3_lS5_S3_lS4_T11_S3_li.has_recursion, 0
	.set _ZL29rocblas_internal_gemmt_kernelIlLi16ELi32ELi8ELc67ELc84ELc76ELb0ELb0EfPKfS1_PfEviT_T9_T10_S3_lS5_S3_lS4_T11_S3_li.has_indirect_call, 0
	.section	.AMDGPU.csdata,"",@progbits
; Kernel info:
; codeLenInByte = 1596
; TotalNumSgprs: 37
; NumVgprs: 54
; ScratchSize: 0
; MemoryBound: 0
; FloatMode: 240
; IeeeMode: 1
; LDSByteSize: 2048 bytes/workgroup (compile time only)
; SGPRBlocks: 0
; VGPRBlocks: 3
; NumSGPRsForWavesPerEU: 37
; NumVGPRsForWavesPerEU: 54
; NamedBarCnt: 0
; Occupancy: 16
; WaveLimiterHint : 0
; COMPUTE_PGM_RSRC2:SCRATCH_EN: 0
; COMPUTE_PGM_RSRC2:USER_SGPR: 2
; COMPUTE_PGM_RSRC2:TRAP_HANDLER: 0
; COMPUTE_PGM_RSRC2:TGID_X_EN: 1
; COMPUTE_PGM_RSRC2:TGID_Y_EN: 1
; COMPUTE_PGM_RSRC2:TGID_Z_EN: 1
; COMPUTE_PGM_RSRC2:TIDIG_COMP_CNT: 1
	.section	.text._ZL29rocblas_internal_gemmt_kernelIlLi16ELi32ELi8ELc67ELc67ELc76ELb0ELb0EfPKfS1_PfEviT_T9_T10_S3_lS5_S3_lS4_T11_S3_li,"axG",@progbits,_ZL29rocblas_internal_gemmt_kernelIlLi16ELi32ELi8ELc67ELc67ELc76ELb0ELb0EfPKfS1_PfEviT_T9_T10_S3_lS5_S3_lS4_T11_S3_li,comdat
	.globl	_ZL29rocblas_internal_gemmt_kernelIlLi16ELi32ELi8ELc67ELc67ELc76ELb0ELb0EfPKfS1_PfEviT_T9_T10_S3_lS5_S3_lS4_T11_S3_li ; -- Begin function _ZL29rocblas_internal_gemmt_kernelIlLi16ELi32ELi8ELc67ELc67ELc76ELb0ELb0EfPKfS1_PfEviT_T9_T10_S3_lS5_S3_lS4_T11_S3_li
	.p2align	8
	.type	_ZL29rocblas_internal_gemmt_kernelIlLi16ELi32ELi8ELc67ELc67ELc76ELb0ELb0EfPKfS1_PfEviT_T9_T10_S3_lS5_S3_lS4_T11_S3_li,@function
_ZL29rocblas_internal_gemmt_kernelIlLi16ELi32ELi8ELc67ELc67ELc76ELb0ELb0EfPKfS1_PfEviT_T9_T10_S3_lS5_S3_lS4_T11_S3_li: ; @_ZL29rocblas_internal_gemmt_kernelIlLi16ELi32ELi8ELc67ELc67ELc76ELb0ELb0EfPKfS1_PfEviT_T9_T10_S3_lS5_S3_lS4_T11_S3_li
; %bb.0:
	s_clause 0x1
	s_load_b256 s[24:31], s[0:1], 0x48
	s_load_b512 s[8:23], s[0:1], 0x8
	s_wait_kmcnt 0x0
	s_load_b32 s33, s[24:25], 0x0
	s_load_b32 s34, s[10:11], 0x0
	s_wait_kmcnt 0x0
	s_cmp_neq_f32 s33, 1.0
	s_cselect_b32 s2, -1, 0
	s_delay_alu instid0(SALU_CYCLE_1)
	s_and_b32 vcc_lo, exec_lo, s2
	s_cbranch_vccnz .LBB161_2
; %bb.1:
	s_cmp_lg_u64 s[8:9], 0
	s_cselect_b32 s2, -1, 0
	s_cmp_neq_f32 s34, 0
	s_cselect_b32 s3, -1, 0
	s_delay_alu instid0(SALU_CYCLE_1)
	s_and_b32 s2, s2, s3
.LBB161_2:
	s_delay_alu instid0(SALU_CYCLE_1)
	s_and_not1_b32 vcc_lo, exec_lo, s2
	s_cbranch_vccnz .LBB161_35
; %bb.3:
	s_load_b32 s10, s[0:1], 0x68
	s_bfe_u32 s2, ttmp6, 0x40014
	s_lshr_b32 s3, ttmp7, 16
	s_add_co_i32 s2, s2, 1
	s_bfe_u32 s5, ttmp6, 0x40008
	s_mul_i32 s4, s3, s2
	s_getreg_b32 s2, hwreg(HW_REG_IB_STS2, 6, 4)
	s_add_co_i32 s5, s5, s4
	s_cmp_eq_u32 s2, 0
	s_mov_b32 s7, 0
	s_cselect_b32 s6, s3, s5
	s_wait_kmcnt 0x0
	s_cmp_ge_u32 s6, s10
	s_cbranch_scc1 .LBB161_35
; %bb.4:
	s_bfe_u32 s3, ttmp6, 0x4000c
	s_bfe_u32 s5, ttmp6, 0x40010
	v_and_b32_e32 v8, 0x3ff, v0
	v_bfe_u32 v2, v0, 10, 10
	s_add_co_i32 s3, s3, 1
	s_and_b32 s11, ttmp7, 0xffff
	s_add_co_i32 s5, s5, 1
	s_and_b32 s4, ttmp6, 15
	s_mul_i32 s3, ttmp9, s3
	s_mul_i32 s5, s11, s5
	s_bfe_u32 s24, ttmp6, 0x40004
	v_lshl_add_u32 v4, v2, 4, v8
	s_add_co_i32 s4, s4, s3
	s_add_co_i32 s24, s24, s5
	s_cmp_eq_u32 s2, 0
	v_lshl_add_u32 v3, v2, 5, 0x400
	s_cselect_b32 s3, s11, s24
	s_cselect_b32 s2, ttmp9, s4
	s_lshl_b32 s3, s3, 5
	s_delay_alu instid0(SALU_CYCLE_1) | instskip(SKIP_3) | instid1(VALU_DEP_2)
	v_dual_add_nc_u32 v14, s3, v2 :: v_dual_bitop2_b32 v9, 31, v4 bitop3:0x40
	s_lshl_b32 s2, s2, 5
	s_load_b32 s4, s[0:1], 0x0
	v_dual_lshrrev_b32 v2, 5, v4 :: v_dual_lshrrev_b32 v11, 3, v4
	v_dual_add_nc_u32 v18, 16, v14 :: v_dual_bitop2_b32 v12, s2, v9 bitop3:0x54
	v_dual_ashrrev_i32 v15, 31, v14 :: v_dual_bitop2_b32 v0, 7, v0 bitop3:0x40
	v_dual_lshlrev_b32 v1, 2, v8 :: v_dual_add_nc_u32 v8, s2, v8
	s_delay_alu instid0(VALU_DEP_3) | instskip(NEXT) | instid1(VALU_DEP_3)
	v_dual_ashrrev_i32 v13, 31, v12 :: v_dual_ashrrev_i32 v19, 31, v18
	v_mul_u64_e32 v[4:5], s[28:29], v[14:15]
	s_delay_alu instid0(VALU_DEP_4) | instskip(NEXT) | instid1(VALU_DEP_3)
	v_dual_lshlrev_b32 v10, 2, v0 :: v_dual_add_nc_u32 v20, s3, v11
	v_mul_u64_e32 v[16:17], s[14:15], v[12:13]
	s_delay_alu instid0(VALU_DEP_4) | instskip(SKIP_1) | instid1(VALU_DEP_3)
	v_mul_u64_e32 v[6:7], s[28:29], v[18:19]
	s_cmp_neq_f32 s34, 0
	v_lshl_or_b32 v11, v11, 5, v10
	v_add_nc_u32_e32 v10, 16, v8
	v_cmp_le_i32_e32 vcc_lo, v14, v8
	s_wait_kmcnt 0x0
	v_cmp_gt_i32_e64 s2, s4, v8
	s_cselect_b32 s24, -1, 0
	s_cmp_neq_f32 s33, 0
	v_dual_lshlrev_b32 v13, 2, v9 :: v_dual_ashrrev_i32 v9, 31, v8
	v_cmp_le_i32_e64 s3, v14, v10
	v_cmp_gt_i64_e64 s15, s[8:9], 0
	v_cmp_gt_i32_e64 s0, s4, v12
	v_cmp_gt_i32_e64 s1, s4, v20
	s_cselect_b32 s11, -1, 0
	s_and_b32 s14, vcc_lo, s2
	v_lshl_or_b32 v26, v2, 7, v13
	v_add_nc_u32_e32 v27, 0x400, v11
	v_lshl_add_u64 v[14:15], v[16:17], 2, s[12:13]
	v_dual_mov_b32 v17, 0 :: v_dual_ashrrev_i32 v21, 31, v20
	v_ashrrev_i32_e32 v11, 31, v10
	v_cmp_gt_i32_e32 vcc_lo, s4, v10
	v_cmp_le_i32_e64 s4, v18, v8
	v_cmp_le_i32_e64 s5, v18, v10
	v_lshl_add_u64 v[12:13], v[20:21], 2, s[18:19]
	s_and_b32 s12, s24, s15
	s_and_b32 s13, s3, vcc_lo
	s_and_b32 s4, s4, s2
	s_and_b32 s5, s5, vcc_lo
	s_branch .LBB161_6
.LBB161_5:                              ;   in Loop: Header=BB161_6 Depth=1
	s_wait_xcnt 0x0
	s_or_b32 exec_lo, exec_lo, s2
	s_add_co_i32 s6, s6, 0x10000
	s_delay_alu instid0(SALU_CYCLE_1)
	s_cmp_lt_u32 s6, s10
	s_cbranch_scc0 .LBB161_35
.LBB161_6:                              ; =>This Loop Header: Depth=1
                                        ;     Child Loop BB161_9 Depth 2
	v_dual_mov_b32 v25, v17 :: v_dual_mov_b32 v24, v17
	v_dual_mov_b32 v19, v17 :: v_dual_mov_b32 v18, v17
	s_and_not1_b32 vcc_lo, exec_lo, s12
	s_cbranch_vccnz .LBB161_15
; %bb.7:                                ;   in Loop: Header=BB161_6 Depth=1
	v_mov_b32_e32 v18, 0
	s_mul_u64 s[2:3], s[16:17], s[6:7]
	s_mul_u64 s[18:19], s[22:23], s[6:7]
	v_lshl_add_u64 v[20:21], s[2:3], 2, v[14:15]
	v_lshl_add_u64 v[22:23], s[18:19], 2, v[12:13]
	v_dual_mov_b32 v19, v18 :: v_dual_mov_b32 v24, v18
	v_mov_b32_e32 v25, v18
	s_mov_b64 s[2:3], 0
	s_branch .LBB161_9
.LBB161_8:                              ;   in Loop: Header=BB161_9 Depth=2
	s_wait_xcnt 0x0
	s_or_b32 exec_lo, exec_lo, s15
	s_wait_loadcnt 0x0
	ds_store_b32 v27, v29
	s_wait_dscnt 0x0
	s_barrier_signal -1
	s_barrier_wait -1
	ds_load_b128 v[28:31], v3
	ds_load_2addr_b32 v[44:45], v1 offset1:16
	ds_load_b128 v[32:35], v3 offset:512
	ds_load_2addr_b32 v[46:47], v1 offset0:32 offset1:48
	ds_load_2addr_b32 v[48:49], v1 offset0:64 offset1:80
	;; [unrolled: 1-line block ×3, first 2 shown]
	ds_load_b128 v[36:39], v3 offset:16
	ds_load_2addr_b32 v[52:53], v1 offset0:128 offset1:144
	ds_load_b128 v[40:43], v3 offset:528
	s_add_nc_u64 s[2:3], s[2:3], 8
	s_delay_alu instid0(SALU_CYCLE_1)
	v_cmp_gt_i64_e64 s15, s[8:9], s[2:3]
	s_and_b32 vcc_lo, exec_lo, s15
	s_wait_dscnt 0x8
	v_mov_b32_e32 v16, v31
	s_wait_dscnt 0x7
	v_pk_fma_f32 v[24:25], v[44:45], v[28:29], v[24:25] op_sel_hi:[1,0,1]
	s_wait_dscnt 0x6
	v_pk_fma_f32 v[18:19], v[44:45], v[32:33], v[18:19] op_sel_hi:[1,0,1]
	ds_load_2addr_b32 v[44:45], v1 offset0:160 offset1:176
	s_wait_dscnt 0x6
	v_pk_fma_f32 v[24:25], v[46:47], v[28:29], v[24:25] op_sel:[0,1,0]
	v_pk_fma_f32 v[18:19], v[46:47], v[32:33], v[18:19] op_sel:[0,1,0]
	ds_load_2addr_b32 v[28:29], v1 offset0:192 offset1:208
	v_mov_b32_e32 v32, v35
	s_wait_dscnt 0x6
	v_pk_fma_f32 v[24:25], v[48:49], v[30:31], v[24:25] op_sel_hi:[1,0,1]
	v_pk_fma_f32 v[18:19], v[48:49], v[34:35], v[18:19] op_sel_hi:[1,0,1]
	ds_load_2addr_b32 v[30:31], v1 offset0:224 offset1:240
	s_wait_dscnt 0x0
	s_barrier_signal -1
	v_pk_fma_f32 v[24:25], v[50:51], v[16:17], v[24:25] op_sel_hi:[1,0,1]
	v_pk_fma_f32 v[18:19], v[50:51], v[32:33], v[18:19] op_sel_hi:[1,0,1]
	v_dual_mov_b32 v16, v39 :: v_dual_mov_b32 v32, v43
	s_barrier_wait -1
	s_delay_alu instid0(VALU_DEP_3) | instskip(NEXT) | instid1(VALU_DEP_3)
	v_pk_fma_f32 v[24:25], v[52:53], v[36:37], v[24:25] op_sel_hi:[1,0,1]
	v_pk_fma_f32 v[18:19], v[52:53], v[40:41], v[18:19] op_sel_hi:[1,0,1]
	s_delay_alu instid0(VALU_DEP_2) | instskip(NEXT) | instid1(VALU_DEP_2)
	v_pk_fma_f32 v[24:25], v[44:45], v[36:37], v[24:25] op_sel:[0,1,0]
	v_pk_fma_f32 v[18:19], v[44:45], v[40:41], v[18:19] op_sel:[0,1,0]
	s_delay_alu instid0(VALU_DEP_2) | instskip(NEXT) | instid1(VALU_DEP_2)
	v_pk_fma_f32 v[24:25], v[28:29], v[38:39], v[24:25] op_sel_hi:[1,0,1]
	v_pk_fma_f32 v[18:19], v[28:29], v[42:43], v[18:19] op_sel_hi:[1,0,1]
	s_delay_alu instid0(VALU_DEP_2) | instskip(NEXT) | instid1(VALU_DEP_2)
	v_pk_fma_f32 v[24:25], v[30:31], v[16:17], v[24:25] op_sel_hi:[1,0,1]
	v_pk_fma_f32 v[18:19], v[30:31], v[32:33], v[18:19] op_sel_hi:[1,0,1]
	s_cbranch_vccz .LBB161_15
.LBB161_9:                              ;   Parent Loop BB161_6 Depth=1
                                        ; =>  This Inner Loop Header: Depth=2
	v_mov_b32_e32 v28, 0
	s_and_saveexec_b32 s15, s0
	s_cbranch_execz .LBB161_13
; %bb.10:                               ;   in Loop: Header=BB161_9 Depth=2
	v_dual_add_nc_u32 v16, s2, v2 :: v_dual_mov_b32 v28, 0
	s_mov_b32 s18, exec_lo
	s_delay_alu instid0(VALU_DEP_1)
	v_cmpx_gt_u64_e64 s[8:9], v[16:17]
	s_cbranch_execz .LBB161_12
; %bb.11:                               ;   in Loop: Header=BB161_9 Depth=2
	v_lshl_add_u64 v[28:29], v[16:17], 2, v[20:21]
	global_load_b32 v28, v[28:29], off
.LBB161_12:                             ;   in Loop: Header=BB161_9 Depth=2
	s_wait_xcnt 0x0
	s_or_b32 exec_lo, exec_lo, s18
.LBB161_13:                             ;   in Loop: Header=BB161_9 Depth=2
	s_delay_alu instid0(SALU_CYCLE_1)
	s_or_b32 exec_lo, exec_lo, s15
	v_dual_mov_b32 v29, 0 :: v_dual_add_nc_u32 v16, s2, v0
	s_wait_loadcnt 0x0
	ds_store_b32 v26, v28
	v_cmp_gt_u64_e32 vcc_lo, s[8:9], v[16:17]
	s_and_b32 s18, vcc_lo, s1
	s_delay_alu instid0(SALU_CYCLE_1)
	s_and_saveexec_b32 s15, s18
	s_cbranch_execz .LBB161_8
; %bb.14:                               ;   in Loop: Header=BB161_9 Depth=2
	v_mul_u64_e32 v[28:29], s[20:21], v[16:17]
	s_delay_alu instid0(VALU_DEP_1)
	v_lshl_add_u64 v[28:29], v[28:29], 2, v[22:23]
	global_load_b32 v29, v[28:29], off
	s_branch .LBB161_8
.LBB161_15:                             ;   in Loop: Header=BB161_6 Depth=1
	s_mul_u64 s[2:3], s[30:31], s[6:7]
	s_delay_alu instid0(SALU_CYCLE_1) | instskip(NEXT) | instid1(SALU_CYCLE_1)
	s_lshl_b64 s[2:3], s[2:3], 2
	s_add_nc_u64 s[2:3], s[26:27], s[2:3]
	s_delay_alu instid0(SALU_CYCLE_1)
	v_lshl_add_u64 v[20:21], v[4:5], 2, s[2:3]
	s_and_saveexec_b32 s15, s14
	s_cbranch_execz .LBB161_19
; %bb.16:                               ;   in Loop: Header=BB161_6 Depth=1
	v_mul_f32_e32 v16, s34, v24
	s_delay_alu instid0(VALU_DEP_2)
	v_lshl_add_u64 v[22:23], v[8:9], 2, v[20:21]
	s_and_b32 vcc_lo, exec_lo, s11
	s_cbranch_vccz .LBB161_30
; %bb.17:                               ;   in Loop: Header=BB161_6 Depth=1
	global_load_b32 v24, v[22:23], off
	s_wait_loadcnt 0x0
	v_fma_f32 v24, s33, v24, v16
	global_store_b32 v[22:23], v24, off
	s_cbranch_execnz .LBB161_19
.LBB161_18:                             ;   in Loop: Header=BB161_6 Depth=1
	global_store_b32 v[22:23], v16, off
.LBB161_19:                             ;   in Loop: Header=BB161_6 Depth=1
	s_wait_xcnt 0x0
	s_or_b32 exec_lo, exec_lo, s15
	s_and_saveexec_b32 s15, s13
	s_cbranch_execz .LBB161_23
; %bb.20:                               ;   in Loop: Header=BB161_6 Depth=1
	v_mul_f32_e32 v16, s34, v25
	v_lshl_add_u64 v[20:21], v[10:11], 2, v[20:21]
	s_and_not1_b32 vcc_lo, exec_lo, s11
	s_cbranch_vccnz .LBB161_31
; %bb.21:                               ;   in Loop: Header=BB161_6 Depth=1
	global_load_b32 v22, v[20:21], off
	s_wait_loadcnt 0x0
	v_fma_f32 v22, s33, v22, v16
	global_store_b32 v[20:21], v22, off
	s_cbranch_execnz .LBB161_23
.LBB161_22:                             ;   in Loop: Header=BB161_6 Depth=1
	global_store_b32 v[20:21], v16, off
.LBB161_23:                             ;   in Loop: Header=BB161_6 Depth=1
	s_wait_xcnt 0x0
	s_or_b32 exec_lo, exec_lo, s15
	v_lshl_add_u64 v[20:21], v[6:7], 2, s[2:3]
	s_and_saveexec_b32 s2, s4
	s_cbranch_execz .LBB161_27
; %bb.24:                               ;   in Loop: Header=BB161_6 Depth=1
	v_mul_f32_e32 v16, s34, v18
	s_delay_alu instid0(VALU_DEP_2)
	v_lshl_add_u64 v[22:23], v[8:9], 2, v[20:21]
	s_and_not1_b32 vcc_lo, exec_lo, s11
	s_cbranch_vccnz .LBB161_32
; %bb.25:                               ;   in Loop: Header=BB161_6 Depth=1
	global_load_b32 v18, v[22:23], off
	s_wait_loadcnt 0x0
	v_fma_f32 v18, s33, v18, v16
	global_store_b32 v[22:23], v18, off
	s_cbranch_execnz .LBB161_27
.LBB161_26:                             ;   in Loop: Header=BB161_6 Depth=1
	global_store_b32 v[22:23], v16, off
.LBB161_27:                             ;   in Loop: Header=BB161_6 Depth=1
	s_wait_xcnt 0x0
	s_or_b32 exec_lo, exec_lo, s2
	s_and_saveexec_b32 s2, s5
	s_cbranch_execz .LBB161_5
; %bb.28:                               ;   in Loop: Header=BB161_6 Depth=1
	v_mul_f32_e32 v16, s34, v19
	v_lshl_add_u64 v[18:19], v[10:11], 2, v[20:21]
	s_and_not1_b32 vcc_lo, exec_lo, s11
	s_cbranch_vccnz .LBB161_33
; %bb.29:                               ;   in Loop: Header=BB161_6 Depth=1
	global_load_b32 v20, v[18:19], off
	s_wait_loadcnt 0x0
	v_fma_f32 v20, s33, v20, v16
	global_store_b32 v[18:19], v20, off
	s_cbranch_execnz .LBB161_5
	s_branch .LBB161_34
.LBB161_30:                             ;   in Loop: Header=BB161_6 Depth=1
	s_branch .LBB161_18
.LBB161_31:                             ;   in Loop: Header=BB161_6 Depth=1
	s_branch .LBB161_22
.LBB161_32:                             ;   in Loop: Header=BB161_6 Depth=1
	s_branch .LBB161_26
.LBB161_33:                             ;   in Loop: Header=BB161_6 Depth=1
.LBB161_34:                             ;   in Loop: Header=BB161_6 Depth=1
	global_store_b32 v[18:19], v16, off
	s_branch .LBB161_5
.LBB161_35:
	s_endpgm
	.section	.rodata,"a",@progbits
	.p2align	6, 0x0
	.amdhsa_kernel _ZL29rocblas_internal_gemmt_kernelIlLi16ELi32ELi8ELc67ELc67ELc76ELb0ELb0EfPKfS1_PfEviT_T9_T10_S3_lS5_S3_lS4_T11_S3_li
		.amdhsa_group_segment_fixed_size 2048
		.amdhsa_private_segment_fixed_size 0
		.amdhsa_kernarg_size 108
		.amdhsa_user_sgpr_count 2
		.amdhsa_user_sgpr_dispatch_ptr 0
		.amdhsa_user_sgpr_queue_ptr 0
		.amdhsa_user_sgpr_kernarg_segment_ptr 1
		.amdhsa_user_sgpr_dispatch_id 0
		.amdhsa_user_sgpr_kernarg_preload_length 0
		.amdhsa_user_sgpr_kernarg_preload_offset 0
		.amdhsa_user_sgpr_private_segment_size 0
		.amdhsa_wavefront_size32 1
		.amdhsa_uses_dynamic_stack 0
		.amdhsa_enable_private_segment 0
		.amdhsa_system_sgpr_workgroup_id_x 1
		.amdhsa_system_sgpr_workgroup_id_y 1
		.amdhsa_system_sgpr_workgroup_id_z 1
		.amdhsa_system_sgpr_workgroup_info 0
		.amdhsa_system_vgpr_workitem_id 1
		.amdhsa_next_free_vgpr 54
		.amdhsa_next_free_sgpr 35
		.amdhsa_named_barrier_count 0
		.amdhsa_reserve_vcc 1
		.amdhsa_float_round_mode_32 0
		.amdhsa_float_round_mode_16_64 0
		.amdhsa_float_denorm_mode_32 3
		.amdhsa_float_denorm_mode_16_64 3
		.amdhsa_fp16_overflow 0
		.amdhsa_memory_ordered 1
		.amdhsa_forward_progress 1
		.amdhsa_inst_pref_size 13
		.amdhsa_round_robin_scheduling 0
		.amdhsa_exception_fp_ieee_invalid_op 0
		.amdhsa_exception_fp_denorm_src 0
		.amdhsa_exception_fp_ieee_div_zero 0
		.amdhsa_exception_fp_ieee_overflow 0
		.amdhsa_exception_fp_ieee_underflow 0
		.amdhsa_exception_fp_ieee_inexact 0
		.amdhsa_exception_int_div_zero 0
	.end_amdhsa_kernel
	.section	.text._ZL29rocblas_internal_gemmt_kernelIlLi16ELi32ELi8ELc67ELc67ELc76ELb0ELb0EfPKfS1_PfEviT_T9_T10_S3_lS5_S3_lS4_T11_S3_li,"axG",@progbits,_ZL29rocblas_internal_gemmt_kernelIlLi16ELi32ELi8ELc67ELc67ELc76ELb0ELb0EfPKfS1_PfEviT_T9_T10_S3_lS5_S3_lS4_T11_S3_li,comdat
.Lfunc_end161:
	.size	_ZL29rocblas_internal_gemmt_kernelIlLi16ELi32ELi8ELc67ELc67ELc76ELb0ELb0EfPKfS1_PfEviT_T9_T10_S3_lS5_S3_lS4_T11_S3_li, .Lfunc_end161-_ZL29rocblas_internal_gemmt_kernelIlLi16ELi32ELi8ELc67ELc67ELc76ELb0ELb0EfPKfS1_PfEviT_T9_T10_S3_lS5_S3_lS4_T11_S3_li
                                        ; -- End function
	.set _ZL29rocblas_internal_gemmt_kernelIlLi16ELi32ELi8ELc67ELc67ELc76ELb0ELb0EfPKfS1_PfEviT_T9_T10_S3_lS5_S3_lS4_T11_S3_li.num_vgpr, 54
	.set _ZL29rocblas_internal_gemmt_kernelIlLi16ELi32ELi8ELc67ELc67ELc76ELb0ELb0EfPKfS1_PfEviT_T9_T10_S3_lS5_S3_lS4_T11_S3_li.num_agpr, 0
	.set _ZL29rocblas_internal_gemmt_kernelIlLi16ELi32ELi8ELc67ELc67ELc76ELb0ELb0EfPKfS1_PfEviT_T9_T10_S3_lS5_S3_lS4_T11_S3_li.numbered_sgpr, 35
	.set _ZL29rocblas_internal_gemmt_kernelIlLi16ELi32ELi8ELc67ELc67ELc76ELb0ELb0EfPKfS1_PfEviT_T9_T10_S3_lS5_S3_lS4_T11_S3_li.num_named_barrier, 0
	.set _ZL29rocblas_internal_gemmt_kernelIlLi16ELi32ELi8ELc67ELc67ELc76ELb0ELb0EfPKfS1_PfEviT_T9_T10_S3_lS5_S3_lS4_T11_S3_li.private_seg_size, 0
	.set _ZL29rocblas_internal_gemmt_kernelIlLi16ELi32ELi8ELc67ELc67ELc76ELb0ELb0EfPKfS1_PfEviT_T9_T10_S3_lS5_S3_lS4_T11_S3_li.uses_vcc, 1
	.set _ZL29rocblas_internal_gemmt_kernelIlLi16ELi32ELi8ELc67ELc67ELc76ELb0ELb0EfPKfS1_PfEviT_T9_T10_S3_lS5_S3_lS4_T11_S3_li.uses_flat_scratch, 0
	.set _ZL29rocblas_internal_gemmt_kernelIlLi16ELi32ELi8ELc67ELc67ELc76ELb0ELb0EfPKfS1_PfEviT_T9_T10_S3_lS5_S3_lS4_T11_S3_li.has_dyn_sized_stack, 0
	.set _ZL29rocblas_internal_gemmt_kernelIlLi16ELi32ELi8ELc67ELc67ELc76ELb0ELb0EfPKfS1_PfEviT_T9_T10_S3_lS5_S3_lS4_T11_S3_li.has_recursion, 0
	.set _ZL29rocblas_internal_gemmt_kernelIlLi16ELi32ELi8ELc67ELc67ELc76ELb0ELb0EfPKfS1_PfEviT_T9_T10_S3_lS5_S3_lS4_T11_S3_li.has_indirect_call, 0
	.section	.AMDGPU.csdata,"",@progbits
; Kernel info:
; codeLenInByte = 1596
; TotalNumSgprs: 37
; NumVgprs: 54
; ScratchSize: 0
; MemoryBound: 0
; FloatMode: 240
; IeeeMode: 1
; LDSByteSize: 2048 bytes/workgroup (compile time only)
; SGPRBlocks: 0
; VGPRBlocks: 3
; NumSGPRsForWavesPerEU: 37
; NumVGPRsForWavesPerEU: 54
; NamedBarCnt: 0
; Occupancy: 16
; WaveLimiterHint : 0
; COMPUTE_PGM_RSRC2:SCRATCH_EN: 0
; COMPUTE_PGM_RSRC2:USER_SGPR: 2
; COMPUTE_PGM_RSRC2:TRAP_HANDLER: 0
; COMPUTE_PGM_RSRC2:TGID_X_EN: 1
; COMPUTE_PGM_RSRC2:TGID_Y_EN: 1
; COMPUTE_PGM_RSRC2:TGID_Z_EN: 1
; COMPUTE_PGM_RSRC2:TIDIG_COMP_CNT: 1
	.section	.text._ZL29rocblas_internal_gemmt_kernelIlLi16ELi32ELi8ELc78ELc78ELc85ELb0ELb0EffPKfPfEviT_T9_T10_S3_lS5_S3_lS4_T11_S3_li,"axG",@progbits,_ZL29rocblas_internal_gemmt_kernelIlLi16ELi32ELi8ELc78ELc78ELc85ELb0ELb0EffPKfPfEviT_T9_T10_S3_lS5_S3_lS4_T11_S3_li,comdat
	.globl	_ZL29rocblas_internal_gemmt_kernelIlLi16ELi32ELi8ELc78ELc78ELc85ELb0ELb0EffPKfPfEviT_T9_T10_S3_lS5_S3_lS4_T11_S3_li ; -- Begin function _ZL29rocblas_internal_gemmt_kernelIlLi16ELi32ELi8ELc78ELc78ELc85ELb0ELb0EffPKfPfEviT_T9_T10_S3_lS5_S3_lS4_T11_S3_li
	.p2align	8
	.type	_ZL29rocblas_internal_gemmt_kernelIlLi16ELi32ELi8ELc78ELc78ELc85ELb0ELb0EffPKfPfEviT_T9_T10_S3_lS5_S3_lS4_T11_S3_li,@function
_ZL29rocblas_internal_gemmt_kernelIlLi16ELi32ELi8ELc78ELc78ELc85ELb0ELb0EffPKfPfEviT_T9_T10_S3_lS5_S3_lS4_T11_S3_li: ; @_ZL29rocblas_internal_gemmt_kernelIlLi16ELi32ELi8ELc78ELc78ELc85ELb0ELb0EffPKfPfEviT_T9_T10_S3_lS5_S3_lS4_T11_S3_li
; %bb.0:
	s_clause 0x1
	s_load_b32 s23, s[0:1], 0x48
	s_load_b96 s[20:22], s[0:1], 0x8
	s_wait_kmcnt 0x0
	s_cmp_neq_f32 s23, 1.0
	s_cselect_b32 s2, -1, 0
	s_delay_alu instid0(SALU_CYCLE_1)
	s_and_b32 vcc_lo, exec_lo, s2
	s_cbranch_vccnz .LBB162_2
; %bb.1:
	s_cmp_lg_u64 s[20:21], 0
	s_cselect_b32 s2, -1, 0
	s_cmp_neq_f32 s22, 0
	s_cselect_b32 s3, -1, 0
	s_delay_alu instid0(SALU_CYCLE_1)
	s_and_b32 s2, s2, s3
.LBB162_2:
	s_delay_alu instid0(SALU_CYCLE_1)
	s_and_not1_b32 vcc_lo, exec_lo, s2
	s_cbranch_vccnz .LBB162_35
; %bb.3:
	s_load_b32 s26, s[0:1], 0x68
	s_bfe_u32 s2, ttmp6, 0x40014
	s_lshr_b32 s3, ttmp7, 16
	s_add_co_i32 s2, s2, 1
	s_bfe_u32 s5, ttmp6, 0x40008
	s_mul_i32 s4, s3, s2
	s_getreg_b32 s2, hwreg(HW_REG_IB_STS2, 6, 4)
	s_add_co_i32 s5, s5, s4
	s_cmp_eq_u32 s2, 0
	s_mov_b32 s25, 0
	s_cselect_b32 s24, s3, s5
	s_wait_kmcnt 0x0
	s_cmp_ge_u32 s24, s26
	s_cbranch_scc1 .LBB162_35
; %bb.4:
	s_bfe_u32 s4, ttmp6, 0x4000c
	s_bfe_u32 s5, ttmp6, 0x40010
	v_and_b32_e32 v8, 0x3ff, v0
	v_bfe_u32 v2, v0, 10, 10
	s_add_co_i32 s4, s4, 1
	s_and_b32 s6, ttmp7, 0xffff
	s_add_co_i32 s5, s5, 1
	s_and_b32 s3, ttmp6, 15
	s_mul_i32 s4, ttmp9, s4
	s_mul_i32 s5, s6, s5
	s_bfe_u32 s7, ttmp6, 0x40004
	s_clause 0x1
	s_load_b128 s[12:15], s[0:1], 0x38
	s_load_b32 s27, s[0:1], 0x0
	v_lshl_add_u32 v4, v2, 4, v8
	s_add_co_i32 s3, s3, s4
	s_add_co_i32 s7, s7, s5
	s_cmp_eq_u32 s2, 0
	s_load_b128 s[16:19], s[0:1], 0x50
	s_cselect_b32 s2, s6, s7
	s_cselect_b32 s3, ttmp9, s3
	s_lshl_b32 s2, s2, 5
	s_delay_alu instid0(SALU_CYCLE_1) | instskip(SKIP_3) | instid1(VALU_DEP_4)
	v_dual_lshrrev_b32 v9, 3, v4 :: v_dual_add_nc_u32 v16, s2, v2
	v_and_b32_e32 v0, 7, v0
	v_lshl_add_u32 v3, v2, 5, 0x400
	v_dual_lshrrev_b32 v2, 5, v4 :: v_dual_bitop2_b32 v11, 31, v4 bitop3:0x40
	v_dual_add_nc_u32 v12, s2, v9 :: v_dual_add_nc_u32 v18, 16, v16
	v_ashrrev_i32_e32 v17, 31, v16
	v_cmp_gt_i64_e64 s28, s[20:21], 0
	s_delay_alu instid0(VALU_DEP_3) | instskip(SKIP_2) | instid1(VALU_DEP_2)
	v_dual_ashrrev_i32 v13, 31, v12 :: v_dual_ashrrev_i32 v19, 31, v18
	s_wait_kmcnt 0x0
	v_cmp_gt_i32_e64 s2, s27, v16
	v_mul_u64_e32 v[14:15], s[12:13], v[12:13]
	v_mul_u64_e32 v[4:5], s[18:19], v[16:17]
	;; [unrolled: 1-line block ×3, first 2 shown]
	s_clause 0x1
	s_load_b256 s[4:11], s[0:1], 0x18
	s_load_b64 s[12:13], s[0:1], 0x60
	s_wait_xcnt 0x0
	s_lshl_b32 s0, s3, 5
	s_delay_alu instid0(SALU_CYCLE_1) | instskip(SKIP_3) | instid1(VALU_DEP_3)
	v_dual_lshlrev_b32 v10, 2, v0 :: v_dual_bitop2_b32 v20, s0, v11 bitop3:0x54
	v_dual_lshlrev_b32 v1, 2, v8 :: v_dual_add_nc_u32 v8, s0, v8
	s_cmp_neq_f32 s22, 0
	v_lshlrev_b32_e32 v11, 2, v11
	v_lshl_or_b32 v9, v9, 5, v10
	v_cmp_gt_i32_e64 s1, s27, v12
	v_cmp_le_i32_e32 vcc_lo, v8, v16
	v_add_nc_u32_e32 v10, 16, v8
	v_ashrrev_i32_e32 v21, 31, v20
	s_cselect_b32 s18, -1, 0
	s_cmp_neq_f32 s23, 0
	v_lshl_or_b32 v26, v2, 7, v11
	v_ashrrev_i32_e32 v11, 31, v10
	v_cmp_gt_i32_e64 s3, s27, v18
	v_cmp_gt_i32_e64 s0, s27, v20
	s_wait_kmcnt 0x0
	v_lshl_add_u64 v[12:13], v[20:21], 2, s[4:5]
	v_cmp_le_i32_e64 s4, v8, v18
	v_cmp_le_i32_e64 s5, v10, v18
	v_add_nc_u32_e32 v27, 0x400, v9
	v_dual_ashrrev_i32 v9, 31, v8 :: v_dual_mov_b32 v17, 0
	v_lshl_add_u64 v[14:15], v[14:15], 2, s[10:11]
	s_cselect_b32 s10, -1, 0
	s_and_b32 s11, s2, vcc_lo
	v_cmp_le_i32_e32 vcc_lo, v10, v16
	s_and_b32 s18, s18, s28
	s_and_b32 s4, s3, s4
	;; [unrolled: 1-line block ×3, first 2 shown]
	s_and_b32 s19, s2, vcc_lo
	s_branch .LBB162_6
.LBB162_5:                              ;   in Loop: Header=BB162_6 Depth=1
	s_wait_xcnt 0x0
	s_or_b32 exec_lo, exec_lo, s2
	s_add_co_i32 s24, s24, 0x10000
	s_delay_alu instid0(SALU_CYCLE_1)
	s_cmp_lt_u32 s24, s26
	s_cbranch_scc0 .LBB162_35
.LBB162_6:                              ; =>This Loop Header: Depth=1
                                        ;     Child Loop BB162_9 Depth 2
	v_dual_mov_b32 v25, v17 :: v_dual_mov_b32 v24, v17
	v_dual_mov_b32 v19, v17 :: v_dual_mov_b32 v18, v17
	s_and_not1_b32 vcc_lo, exec_lo, s18
	s_cbranch_vccnz .LBB162_15
; %bb.7:                                ;   in Loop: Header=BB162_6 Depth=1
	v_mov_b32_e32 v18, 0
	s_mul_u64 s[2:3], s[8:9], s[24:25]
	s_mul_u64 s[28:29], s[14:15], s[24:25]
	v_lshl_add_u64 v[20:21], s[2:3], 2, v[12:13]
	v_lshl_add_u64 v[22:23], s[28:29], 2, v[14:15]
	v_dual_mov_b32 v19, v18 :: v_dual_mov_b32 v24, v18
	v_mov_b32_e32 v25, v18
	s_mov_b64 s[2:3], 0
	s_branch .LBB162_9
.LBB162_8:                              ;   in Loop: Header=BB162_9 Depth=2
	s_wait_xcnt 0x0
	s_or_b32 exec_lo, exec_lo, s27
	s_wait_loadcnt 0x0
	ds_store_b32 v27, v29
	s_wait_dscnt 0x0
	s_barrier_signal -1
	s_barrier_wait -1
	ds_load_b128 v[28:31], v3
	ds_load_2addr_b32 v[44:45], v1 offset1:16
	ds_load_b128 v[32:35], v3 offset:512
	ds_load_2addr_b32 v[46:47], v1 offset0:32 offset1:48
	ds_load_2addr_b32 v[48:49], v1 offset0:64 offset1:80
	;; [unrolled: 1-line block ×3, first 2 shown]
	ds_load_b128 v[36:39], v3 offset:16
	ds_load_2addr_b32 v[52:53], v1 offset0:128 offset1:144
	ds_load_b128 v[40:43], v3 offset:528
	s_add_nc_u64 s[2:3], s[2:3], 8
	s_delay_alu instid0(SALU_CYCLE_1)
	v_cmp_gt_i64_e64 s27, s[20:21], s[2:3]
	s_and_b32 vcc_lo, exec_lo, s27
	s_wait_dscnt 0x8
	v_mov_b32_e32 v16, v31
	s_wait_dscnt 0x7
	v_pk_fma_f32 v[24:25], v[44:45], v[28:29], v[24:25] op_sel_hi:[1,0,1]
	s_wait_dscnt 0x6
	v_pk_fma_f32 v[18:19], v[44:45], v[32:33], v[18:19] op_sel_hi:[1,0,1]
	ds_load_2addr_b32 v[44:45], v1 offset0:160 offset1:176
	s_wait_dscnt 0x6
	v_pk_fma_f32 v[24:25], v[46:47], v[28:29], v[24:25] op_sel:[0,1,0]
	v_pk_fma_f32 v[18:19], v[46:47], v[32:33], v[18:19] op_sel:[0,1,0]
	ds_load_2addr_b32 v[28:29], v1 offset0:192 offset1:208
	v_mov_b32_e32 v32, v35
	s_wait_dscnt 0x6
	v_pk_fma_f32 v[24:25], v[48:49], v[30:31], v[24:25] op_sel_hi:[1,0,1]
	v_pk_fma_f32 v[18:19], v[48:49], v[34:35], v[18:19] op_sel_hi:[1,0,1]
	ds_load_2addr_b32 v[30:31], v1 offset0:224 offset1:240
	s_wait_dscnt 0x0
	s_barrier_signal -1
	v_pk_fma_f32 v[24:25], v[50:51], v[16:17], v[24:25] op_sel_hi:[1,0,1]
	v_pk_fma_f32 v[18:19], v[50:51], v[32:33], v[18:19] op_sel_hi:[1,0,1]
	v_dual_mov_b32 v16, v39 :: v_dual_mov_b32 v32, v43
	s_barrier_wait -1
	s_delay_alu instid0(VALU_DEP_3) | instskip(NEXT) | instid1(VALU_DEP_3)
	v_pk_fma_f32 v[24:25], v[52:53], v[36:37], v[24:25] op_sel_hi:[1,0,1]
	v_pk_fma_f32 v[18:19], v[52:53], v[40:41], v[18:19] op_sel_hi:[1,0,1]
	s_delay_alu instid0(VALU_DEP_2) | instskip(NEXT) | instid1(VALU_DEP_2)
	v_pk_fma_f32 v[24:25], v[44:45], v[36:37], v[24:25] op_sel:[0,1,0]
	v_pk_fma_f32 v[18:19], v[44:45], v[40:41], v[18:19] op_sel:[0,1,0]
	s_delay_alu instid0(VALU_DEP_2) | instskip(NEXT) | instid1(VALU_DEP_2)
	v_pk_fma_f32 v[24:25], v[28:29], v[38:39], v[24:25] op_sel_hi:[1,0,1]
	v_pk_fma_f32 v[18:19], v[28:29], v[42:43], v[18:19] op_sel_hi:[1,0,1]
	s_delay_alu instid0(VALU_DEP_2) | instskip(NEXT) | instid1(VALU_DEP_2)
	v_pk_fma_f32 v[24:25], v[30:31], v[16:17], v[24:25] op_sel_hi:[1,0,1]
	v_pk_fma_f32 v[18:19], v[30:31], v[32:33], v[18:19] op_sel_hi:[1,0,1]
	s_cbranch_vccz .LBB162_15
.LBB162_9:                              ;   Parent Loop BB162_6 Depth=1
                                        ; =>  This Inner Loop Header: Depth=2
	v_mov_b32_e32 v28, 0
	s_and_saveexec_b32 s27, s0
	s_cbranch_execz .LBB162_13
; %bb.10:                               ;   in Loop: Header=BB162_9 Depth=2
	v_dual_add_nc_u32 v16, s2, v2 :: v_dual_mov_b32 v28, 0
	s_mov_b32 s28, exec_lo
	s_delay_alu instid0(VALU_DEP_1)
	v_cmpx_gt_u64_e64 s[20:21], v[16:17]
	s_cbranch_execz .LBB162_12
; %bb.11:                               ;   in Loop: Header=BB162_9 Depth=2
	v_mul_u64_e32 v[28:29], s[6:7], v[16:17]
	s_delay_alu instid0(VALU_DEP_1)
	v_lshl_add_u64 v[28:29], v[28:29], 2, v[20:21]
	global_load_b32 v28, v[28:29], off
.LBB162_12:                             ;   in Loop: Header=BB162_9 Depth=2
	s_wait_xcnt 0x0
	s_or_b32 exec_lo, exec_lo, s28
.LBB162_13:                             ;   in Loop: Header=BB162_9 Depth=2
	s_delay_alu instid0(SALU_CYCLE_1)
	s_or_b32 exec_lo, exec_lo, s27
	v_dual_mov_b32 v29, 0 :: v_dual_add_nc_u32 v16, s2, v0
	s_wait_loadcnt 0x0
	ds_store_b32 v26, v28
	v_cmp_gt_u64_e32 vcc_lo, s[20:21], v[16:17]
	s_and_b32 s28, vcc_lo, s1
	s_delay_alu instid0(SALU_CYCLE_1)
	s_and_saveexec_b32 s27, s28
	s_cbranch_execz .LBB162_8
; %bb.14:                               ;   in Loop: Header=BB162_9 Depth=2
	v_lshl_add_u64 v[28:29], v[16:17], 2, v[22:23]
	global_load_b32 v29, v[28:29], off
	s_branch .LBB162_8
.LBB162_15:                             ;   in Loop: Header=BB162_6 Depth=1
	s_mul_u64 s[2:3], s[12:13], s[24:25]
	s_delay_alu instid0(SALU_CYCLE_1) | instskip(NEXT) | instid1(SALU_CYCLE_1)
	s_lshl_b64 s[2:3], s[2:3], 2
	s_add_nc_u64 s[2:3], s[16:17], s[2:3]
	s_delay_alu instid0(SALU_CYCLE_1)
	v_lshl_add_u64 v[20:21], v[4:5], 2, s[2:3]
	s_and_saveexec_b32 s27, s11
	s_cbranch_execz .LBB162_19
; %bb.16:                               ;   in Loop: Header=BB162_6 Depth=1
	v_mul_f32_e32 v16, s22, v24
	s_delay_alu instid0(VALU_DEP_2)
	v_lshl_add_u64 v[22:23], v[8:9], 2, v[20:21]
	s_and_b32 vcc_lo, exec_lo, s10
	s_cbranch_vccz .LBB162_30
; %bb.17:                               ;   in Loop: Header=BB162_6 Depth=1
	global_load_b32 v24, v[22:23], off
	s_wait_loadcnt 0x0
	v_fma_f32 v24, s23, v24, v16
	global_store_b32 v[22:23], v24, off
	s_cbranch_execnz .LBB162_19
.LBB162_18:                             ;   in Loop: Header=BB162_6 Depth=1
	global_store_b32 v[22:23], v16, off
.LBB162_19:                             ;   in Loop: Header=BB162_6 Depth=1
	s_wait_xcnt 0x0
	s_or_b32 exec_lo, exec_lo, s27
	s_and_saveexec_b32 s27, s19
	s_cbranch_execz .LBB162_23
; %bb.20:                               ;   in Loop: Header=BB162_6 Depth=1
	v_mul_f32_e32 v16, s22, v25
	v_lshl_add_u64 v[20:21], v[10:11], 2, v[20:21]
	s_and_not1_b32 vcc_lo, exec_lo, s10
	s_cbranch_vccnz .LBB162_31
; %bb.21:                               ;   in Loop: Header=BB162_6 Depth=1
	global_load_b32 v22, v[20:21], off
	s_wait_loadcnt 0x0
	v_fma_f32 v22, s23, v22, v16
	global_store_b32 v[20:21], v22, off
	s_cbranch_execnz .LBB162_23
.LBB162_22:                             ;   in Loop: Header=BB162_6 Depth=1
	global_store_b32 v[20:21], v16, off
.LBB162_23:                             ;   in Loop: Header=BB162_6 Depth=1
	s_wait_xcnt 0x0
	s_or_b32 exec_lo, exec_lo, s27
	v_lshl_add_u64 v[20:21], v[6:7], 2, s[2:3]
	s_and_saveexec_b32 s2, s4
	s_cbranch_execz .LBB162_27
; %bb.24:                               ;   in Loop: Header=BB162_6 Depth=1
	v_mul_f32_e32 v16, s22, v18
	s_delay_alu instid0(VALU_DEP_2)
	v_lshl_add_u64 v[22:23], v[8:9], 2, v[20:21]
	s_and_not1_b32 vcc_lo, exec_lo, s10
	s_cbranch_vccnz .LBB162_32
; %bb.25:                               ;   in Loop: Header=BB162_6 Depth=1
	global_load_b32 v18, v[22:23], off
	s_wait_loadcnt 0x0
	v_fma_f32 v18, s23, v18, v16
	global_store_b32 v[22:23], v18, off
	s_cbranch_execnz .LBB162_27
.LBB162_26:                             ;   in Loop: Header=BB162_6 Depth=1
	global_store_b32 v[22:23], v16, off
.LBB162_27:                             ;   in Loop: Header=BB162_6 Depth=1
	s_wait_xcnt 0x0
	s_or_b32 exec_lo, exec_lo, s2
	s_and_saveexec_b32 s2, s5
	s_cbranch_execz .LBB162_5
; %bb.28:                               ;   in Loop: Header=BB162_6 Depth=1
	v_mul_f32_e32 v16, s22, v19
	v_lshl_add_u64 v[18:19], v[10:11], 2, v[20:21]
	s_and_not1_b32 vcc_lo, exec_lo, s10
	s_cbranch_vccnz .LBB162_33
; %bb.29:                               ;   in Loop: Header=BB162_6 Depth=1
	global_load_b32 v20, v[18:19], off
	s_wait_loadcnt 0x0
	v_fma_f32 v20, s23, v20, v16
	global_store_b32 v[18:19], v20, off
	s_cbranch_execnz .LBB162_5
	s_branch .LBB162_34
.LBB162_30:                             ;   in Loop: Header=BB162_6 Depth=1
	s_branch .LBB162_18
.LBB162_31:                             ;   in Loop: Header=BB162_6 Depth=1
	s_branch .LBB162_22
.LBB162_32:                             ;   in Loop: Header=BB162_6 Depth=1
	s_branch .LBB162_26
.LBB162_33:                             ;   in Loop: Header=BB162_6 Depth=1
.LBB162_34:                             ;   in Loop: Header=BB162_6 Depth=1
	global_store_b32 v[18:19], v16, off
	s_branch .LBB162_5
.LBB162_35:
	s_endpgm
	.section	.rodata,"a",@progbits
	.p2align	6, 0x0
	.amdhsa_kernel _ZL29rocblas_internal_gemmt_kernelIlLi16ELi32ELi8ELc78ELc78ELc85ELb0ELb0EffPKfPfEviT_T9_T10_S3_lS5_S3_lS4_T11_S3_li
		.amdhsa_group_segment_fixed_size 2048
		.amdhsa_private_segment_fixed_size 0
		.amdhsa_kernarg_size 108
		.amdhsa_user_sgpr_count 2
		.amdhsa_user_sgpr_dispatch_ptr 0
		.amdhsa_user_sgpr_queue_ptr 0
		.amdhsa_user_sgpr_kernarg_segment_ptr 1
		.amdhsa_user_sgpr_dispatch_id 0
		.amdhsa_user_sgpr_kernarg_preload_length 0
		.amdhsa_user_sgpr_kernarg_preload_offset 0
		.amdhsa_user_sgpr_private_segment_size 0
		.amdhsa_wavefront_size32 1
		.amdhsa_uses_dynamic_stack 0
		.amdhsa_enable_private_segment 0
		.amdhsa_system_sgpr_workgroup_id_x 1
		.amdhsa_system_sgpr_workgroup_id_y 1
		.amdhsa_system_sgpr_workgroup_id_z 1
		.amdhsa_system_sgpr_workgroup_info 0
		.amdhsa_system_vgpr_workitem_id 1
		.amdhsa_next_free_vgpr 54
		.amdhsa_next_free_sgpr 30
		.amdhsa_named_barrier_count 0
		.amdhsa_reserve_vcc 1
		.amdhsa_float_round_mode_32 0
		.amdhsa_float_round_mode_16_64 0
		.amdhsa_float_denorm_mode_32 3
		.amdhsa_float_denorm_mode_16_64 3
		.amdhsa_fp16_overflow 0
		.amdhsa_memory_ordered 1
		.amdhsa_forward_progress 1
		.amdhsa_inst_pref_size 13
		.amdhsa_round_robin_scheduling 0
		.amdhsa_exception_fp_ieee_invalid_op 0
		.amdhsa_exception_fp_denorm_src 0
		.amdhsa_exception_fp_ieee_div_zero 0
		.amdhsa_exception_fp_ieee_overflow 0
		.amdhsa_exception_fp_ieee_underflow 0
		.amdhsa_exception_fp_ieee_inexact 0
		.amdhsa_exception_int_div_zero 0
	.end_amdhsa_kernel
	.section	.text._ZL29rocblas_internal_gemmt_kernelIlLi16ELi32ELi8ELc78ELc78ELc85ELb0ELb0EffPKfPfEviT_T9_T10_S3_lS5_S3_lS4_T11_S3_li,"axG",@progbits,_ZL29rocblas_internal_gemmt_kernelIlLi16ELi32ELi8ELc78ELc78ELc85ELb0ELb0EffPKfPfEviT_T9_T10_S3_lS5_S3_lS4_T11_S3_li,comdat
.Lfunc_end162:
	.size	_ZL29rocblas_internal_gemmt_kernelIlLi16ELi32ELi8ELc78ELc78ELc85ELb0ELb0EffPKfPfEviT_T9_T10_S3_lS5_S3_lS4_T11_S3_li, .Lfunc_end162-_ZL29rocblas_internal_gemmt_kernelIlLi16ELi32ELi8ELc78ELc78ELc85ELb0ELb0EffPKfPfEviT_T9_T10_S3_lS5_S3_lS4_T11_S3_li
                                        ; -- End function
	.set _ZL29rocblas_internal_gemmt_kernelIlLi16ELi32ELi8ELc78ELc78ELc85ELb0ELb0EffPKfPfEviT_T9_T10_S3_lS5_S3_lS4_T11_S3_li.num_vgpr, 54
	.set _ZL29rocblas_internal_gemmt_kernelIlLi16ELi32ELi8ELc78ELc78ELc85ELb0ELb0EffPKfPfEviT_T9_T10_S3_lS5_S3_lS4_T11_S3_li.num_agpr, 0
	.set _ZL29rocblas_internal_gemmt_kernelIlLi16ELi32ELi8ELc78ELc78ELc85ELb0ELb0EffPKfPfEviT_T9_T10_S3_lS5_S3_lS4_T11_S3_li.numbered_sgpr, 30
	.set _ZL29rocblas_internal_gemmt_kernelIlLi16ELi32ELi8ELc78ELc78ELc85ELb0ELb0EffPKfPfEviT_T9_T10_S3_lS5_S3_lS4_T11_S3_li.num_named_barrier, 0
	.set _ZL29rocblas_internal_gemmt_kernelIlLi16ELi32ELi8ELc78ELc78ELc85ELb0ELb0EffPKfPfEviT_T9_T10_S3_lS5_S3_lS4_T11_S3_li.private_seg_size, 0
	.set _ZL29rocblas_internal_gemmt_kernelIlLi16ELi32ELi8ELc78ELc78ELc85ELb0ELb0EffPKfPfEviT_T9_T10_S3_lS5_S3_lS4_T11_S3_li.uses_vcc, 1
	.set _ZL29rocblas_internal_gemmt_kernelIlLi16ELi32ELi8ELc78ELc78ELc85ELb0ELb0EffPKfPfEviT_T9_T10_S3_lS5_S3_lS4_T11_S3_li.uses_flat_scratch, 0
	.set _ZL29rocblas_internal_gemmt_kernelIlLi16ELi32ELi8ELc78ELc78ELc85ELb0ELb0EffPKfPfEviT_T9_T10_S3_lS5_S3_lS4_T11_S3_li.has_dyn_sized_stack, 0
	.set _ZL29rocblas_internal_gemmt_kernelIlLi16ELi32ELi8ELc78ELc78ELc85ELb0ELb0EffPKfPfEviT_T9_T10_S3_lS5_S3_lS4_T11_S3_li.has_recursion, 0
	.set _ZL29rocblas_internal_gemmt_kernelIlLi16ELi32ELi8ELc78ELc78ELc85ELb0ELb0EffPKfPfEviT_T9_T10_S3_lS5_S3_lS4_T11_S3_li.has_indirect_call, 0
	.section	.AMDGPU.csdata,"",@progbits
; Kernel info:
; codeLenInByte = 1612
; TotalNumSgprs: 32
; NumVgprs: 54
; ScratchSize: 0
; MemoryBound: 0
; FloatMode: 240
; IeeeMode: 1
; LDSByteSize: 2048 bytes/workgroup (compile time only)
; SGPRBlocks: 0
; VGPRBlocks: 3
; NumSGPRsForWavesPerEU: 32
; NumVGPRsForWavesPerEU: 54
; NamedBarCnt: 0
; Occupancy: 16
; WaveLimiterHint : 0
; COMPUTE_PGM_RSRC2:SCRATCH_EN: 0
; COMPUTE_PGM_RSRC2:USER_SGPR: 2
; COMPUTE_PGM_RSRC2:TRAP_HANDLER: 0
; COMPUTE_PGM_RSRC2:TGID_X_EN: 1
; COMPUTE_PGM_RSRC2:TGID_Y_EN: 1
; COMPUTE_PGM_RSRC2:TGID_Z_EN: 1
; COMPUTE_PGM_RSRC2:TIDIG_COMP_CNT: 1
	.section	.text._ZL29rocblas_internal_gemmt_kernelIlLi16ELi32ELi8ELc78ELc84ELc85ELb0ELb0EffPKfPfEviT_T9_T10_S3_lS5_S3_lS4_T11_S3_li,"axG",@progbits,_ZL29rocblas_internal_gemmt_kernelIlLi16ELi32ELi8ELc78ELc84ELc85ELb0ELb0EffPKfPfEviT_T9_T10_S3_lS5_S3_lS4_T11_S3_li,comdat
	.globl	_ZL29rocblas_internal_gemmt_kernelIlLi16ELi32ELi8ELc78ELc84ELc85ELb0ELb0EffPKfPfEviT_T9_T10_S3_lS5_S3_lS4_T11_S3_li ; -- Begin function _ZL29rocblas_internal_gemmt_kernelIlLi16ELi32ELi8ELc78ELc84ELc85ELb0ELb0EffPKfPfEviT_T9_T10_S3_lS5_S3_lS4_T11_S3_li
	.p2align	8
	.type	_ZL29rocblas_internal_gemmt_kernelIlLi16ELi32ELi8ELc78ELc84ELc85ELb0ELb0EffPKfPfEviT_T9_T10_S3_lS5_S3_lS4_T11_S3_li,@function
_ZL29rocblas_internal_gemmt_kernelIlLi16ELi32ELi8ELc78ELc84ELc85ELb0ELb0EffPKfPfEviT_T9_T10_S3_lS5_S3_lS4_T11_S3_li: ; @_ZL29rocblas_internal_gemmt_kernelIlLi16ELi32ELi8ELc78ELc84ELc85ELb0ELb0EffPKfPfEviT_T9_T10_S3_lS5_S3_lS4_T11_S3_li
; %bb.0:
	s_clause 0x1
	s_load_b32 s23, s[0:1], 0x48
	s_load_b96 s[20:22], s[0:1], 0x8
	s_wait_kmcnt 0x0
	s_cmp_neq_f32 s23, 1.0
	s_cselect_b32 s2, -1, 0
	s_delay_alu instid0(SALU_CYCLE_1)
	s_and_b32 vcc_lo, exec_lo, s2
	s_cbranch_vccnz .LBB163_2
; %bb.1:
	s_cmp_lg_u64 s[20:21], 0
	s_cselect_b32 s2, -1, 0
	s_cmp_neq_f32 s22, 0
	s_cselect_b32 s3, -1, 0
	s_delay_alu instid0(SALU_CYCLE_1)
	s_and_b32 s2, s2, s3
.LBB163_2:
	s_delay_alu instid0(SALU_CYCLE_1)
	s_and_not1_b32 vcc_lo, exec_lo, s2
	s_cbranch_vccnz .LBB163_35
; %bb.3:
	s_load_b32 s28, s[0:1], 0x68
	s_bfe_u32 s2, ttmp6, 0x40014
	s_lshr_b32 s3, ttmp7, 16
	s_add_co_i32 s2, s2, 1
	s_bfe_u32 s5, ttmp6, 0x40008
	s_mul_i32 s4, s3, s2
	s_getreg_b32 s2, hwreg(HW_REG_IB_STS2, 6, 4)
	s_add_co_i32 s5, s5, s4
	s_cmp_eq_u32 s2, 0
	s_mov_b32 s25, 0
	s_cselect_b32 s24, s3, s5
	s_wait_kmcnt 0x0
	s_cmp_ge_u32 s24, s28
	s_cbranch_scc1 .LBB163_35
; %bb.4:
	s_bfe_u32 s4, ttmp6, 0x4000c
	s_bfe_u32 s6, ttmp6, 0x40010
	s_add_co_i32 s4, s4, 1
	s_and_b32 s26, ttmp7, 0xffff
	s_add_co_i32 s6, s6, 1
	s_and_b32 s5, ttmp6, 15
	s_mul_i32 s4, ttmp9, s4
	s_mul_i32 s6, s26, s6
	s_bfe_u32 s7, ttmp6, 0x40004
	s_add_co_i32 s27, s5, s4
	s_add_co_i32 s29, s7, s6
	s_cmp_eq_u32 s2, 0
	v_and_b32_e32 v11, 0x3ff, v0
	v_bfe_u32 v15, v0, 10, 10
	s_clause 0x1
	s_load_b128 s[12:15], s[0:1], 0x38
	s_load_b128 s[16:19], s[0:1], 0x50
	s_cselect_b32 s2, s26, s29
	s_cselect_b32 s29, ttmp9, s27
	s_lshl_b32 s2, s2, 5
	v_lshl_add_u32 v1, v15, 4, v11
	v_add_nc_u32_e32 v16, s2, v15
	s_load_b32 s3, s[0:1], 0x0
	v_and_b32_e32 v0, 7, v0
	s_load_b256 s[4:11], s[0:1], 0x18
	v_dual_lshrrev_b32 v10, 3, v1 :: v_dual_bitop2_b32 v3, 31, v1 bitop3:0x40
	v_dual_add_nc_u32 v18, 16, v16 :: v_dual_ashrrev_i32 v17, 31, v16
	s_lshl_b32 s29, s29, 5
	s_delay_alu instid0(VALU_DEP_2) | instid1(SALU_CYCLE_1)
	v_dual_lshrrev_b32 v2, 5, v1 :: v_dual_bitop2_b32 v8, s29, v3 bitop3:0x54
	s_delay_alu instid0(VALU_DEP_3) | instskip(NEXT) | instid1(VALU_DEP_3)
	v_add_nc_u32_e32 v12, s2, v10
	v_dual_ashrrev_i32 v19, 31, v18 :: v_dual_lshlrev_b32 v1, 2, v3
	v_lshlrev_b32_e32 v3, 2, v0
	s_wait_kmcnt 0x0
	v_mul_u64_e32 v[4:5], s[18:19], v[16:17]
	s_load_b64 s[26:27], s[0:1], 0x60
	v_mul_u64_e32 v[6:7], s[18:19], v[18:19]
	v_ashrrev_i32_e32 v9, 31, v8
	v_lshl_or_b32 v3, v10, 5, v3
	v_add_nc_u32_e32 v10, s29, v11
	s_cmp_neq_f32 s22, 0
	v_dual_ashrrev_i32 v13, 31, v12 :: v_dual_lshlrev_b32 v26, 2, v11
	v_cmp_gt_i32_e32 vcc_lo, s3, v16
	s_delay_alu instid0(VALU_DEP_3)
	v_cmp_le_i32_e64 s2, v10, v16
	v_dual_add_nc_u32 v14, 16, v10 :: v_dual_ashrrev_i32 v11, 31, v10
	s_cselect_b32 s30, -1, 0
	s_cmp_neq_f32 s23, 0
	v_cmp_gt_i64_e64 s31, s[20:21], 0
	s_wait_xcnt 0x0
	v_cmp_gt_i32_e64 s0, s3, v8
	v_lshl_add_u64 v[8:9], v[8:9], 2, s[4:5]
	v_cmp_gt_i32_e64 s1, s3, v12
	v_lshl_add_u64 v[12:13], v[12:13], 2, s[10:11]
	s_cselect_b32 s10, -1, 0
	s_and_b32 s11, vcc_lo, s2
	v_cmp_le_i32_e64 s2, v14, v16
	v_cmp_gt_i32_e64 s3, s3, v18
	v_cmp_le_i32_e64 s4, v10, v18
	v_cmp_le_i32_e64 s5, v14, v18
	v_lshl_or_b32 v1, v2, 7, v1
	v_add_nc_u32_e32 v3, 0x400, v3
	v_lshl_add_u32 v27, v15, 5, 0x400
	v_dual_ashrrev_i32 v15, 31, v14 :: v_dual_mov_b32 v17, 0
	s_and_b32 s18, s30, s31
	s_and_b32 s19, vcc_lo, s2
	s_and_b32 s4, s3, s4
	s_and_b32 s5, s3, s5
	s_branch .LBB163_6
.LBB163_5:                              ;   in Loop: Header=BB163_6 Depth=1
	s_wait_xcnt 0x0
	s_or_b32 exec_lo, exec_lo, s2
	s_add_co_i32 s24, s24, 0x10000
	s_delay_alu instid0(SALU_CYCLE_1)
	s_cmp_lt_u32 s24, s28
	s_cbranch_scc0 .LBB163_35
.LBB163_6:                              ; =>This Loop Header: Depth=1
                                        ;     Child Loop BB163_9 Depth 2
	v_dual_mov_b32 v25, v17 :: v_dual_mov_b32 v24, v17
	v_dual_mov_b32 v19, v17 :: v_dual_mov_b32 v18, v17
	s_and_not1_b32 vcc_lo, exec_lo, s18
	s_cbranch_vccnz .LBB163_15
; %bb.7:                                ;   in Loop: Header=BB163_6 Depth=1
	v_mov_b32_e32 v18, 0
	s_mul_u64 s[2:3], s[8:9], s[24:25]
	s_mul_u64 s[30:31], s[14:15], s[24:25]
	v_lshl_add_u64 v[20:21], s[2:3], 2, v[8:9]
	v_lshl_add_u64 v[22:23], s[30:31], 2, v[12:13]
	v_dual_mov_b32 v19, v18 :: v_dual_mov_b32 v24, v18
	v_mov_b32_e32 v25, v18
	s_mov_b64 s[2:3], 0
	s_branch .LBB163_9
.LBB163_8:                              ;   in Loop: Header=BB163_9 Depth=2
	s_wait_xcnt 0x0
	s_or_b32 exec_lo, exec_lo, s29
	s_wait_loadcnt 0x0
	ds_store_b32 v3, v29
	s_wait_dscnt 0x0
	s_barrier_signal -1
	s_barrier_wait -1
	ds_load_b128 v[28:31], v27
	ds_load_2addr_b32 v[44:45], v26 offset1:16
	ds_load_b128 v[32:35], v27 offset:512
	ds_load_2addr_b32 v[46:47], v26 offset0:32 offset1:48
	ds_load_2addr_b32 v[48:49], v26 offset0:64 offset1:80
	;; [unrolled: 1-line block ×3, first 2 shown]
	ds_load_b128 v[36:39], v27 offset:16
	ds_load_2addr_b32 v[52:53], v26 offset0:128 offset1:144
	ds_load_b128 v[40:43], v27 offset:528
	s_add_nc_u64 s[2:3], s[2:3], 8
	s_delay_alu instid0(SALU_CYCLE_1)
	v_cmp_gt_i64_e64 s29, s[20:21], s[2:3]
	s_and_b32 vcc_lo, exec_lo, s29
	s_wait_dscnt 0x8
	v_mov_b32_e32 v16, v31
	s_wait_dscnt 0x7
	v_pk_fma_f32 v[24:25], v[44:45], v[28:29], v[24:25] op_sel_hi:[1,0,1]
	s_wait_dscnt 0x6
	v_pk_fma_f32 v[18:19], v[44:45], v[32:33], v[18:19] op_sel_hi:[1,0,1]
	ds_load_2addr_b32 v[44:45], v26 offset0:160 offset1:176
	s_wait_dscnt 0x6
	v_pk_fma_f32 v[24:25], v[46:47], v[28:29], v[24:25] op_sel:[0,1,0]
	v_pk_fma_f32 v[18:19], v[46:47], v[32:33], v[18:19] op_sel:[0,1,0]
	ds_load_2addr_b32 v[28:29], v26 offset0:192 offset1:208
	v_mov_b32_e32 v32, v35
	s_wait_dscnt 0x6
	v_pk_fma_f32 v[24:25], v[48:49], v[30:31], v[24:25] op_sel_hi:[1,0,1]
	v_pk_fma_f32 v[18:19], v[48:49], v[34:35], v[18:19] op_sel_hi:[1,0,1]
	ds_load_2addr_b32 v[30:31], v26 offset0:224 offset1:240
	s_wait_dscnt 0x0
	s_barrier_signal -1
	v_pk_fma_f32 v[24:25], v[50:51], v[16:17], v[24:25] op_sel_hi:[1,0,1]
	v_pk_fma_f32 v[18:19], v[50:51], v[32:33], v[18:19] op_sel_hi:[1,0,1]
	v_dual_mov_b32 v16, v39 :: v_dual_mov_b32 v32, v43
	s_barrier_wait -1
	s_delay_alu instid0(VALU_DEP_3) | instskip(NEXT) | instid1(VALU_DEP_3)
	v_pk_fma_f32 v[24:25], v[52:53], v[36:37], v[24:25] op_sel_hi:[1,0,1]
	v_pk_fma_f32 v[18:19], v[52:53], v[40:41], v[18:19] op_sel_hi:[1,0,1]
	s_delay_alu instid0(VALU_DEP_2) | instskip(NEXT) | instid1(VALU_DEP_2)
	v_pk_fma_f32 v[24:25], v[44:45], v[36:37], v[24:25] op_sel:[0,1,0]
	v_pk_fma_f32 v[18:19], v[44:45], v[40:41], v[18:19] op_sel:[0,1,0]
	s_delay_alu instid0(VALU_DEP_2) | instskip(NEXT) | instid1(VALU_DEP_2)
	v_pk_fma_f32 v[24:25], v[28:29], v[38:39], v[24:25] op_sel_hi:[1,0,1]
	v_pk_fma_f32 v[18:19], v[28:29], v[42:43], v[18:19] op_sel_hi:[1,0,1]
	s_delay_alu instid0(VALU_DEP_2) | instskip(NEXT) | instid1(VALU_DEP_2)
	v_pk_fma_f32 v[24:25], v[30:31], v[16:17], v[24:25] op_sel_hi:[1,0,1]
	v_pk_fma_f32 v[18:19], v[30:31], v[32:33], v[18:19] op_sel_hi:[1,0,1]
	s_cbranch_vccz .LBB163_15
.LBB163_9:                              ;   Parent Loop BB163_6 Depth=1
                                        ; =>  This Inner Loop Header: Depth=2
	v_mov_b32_e32 v28, 0
	s_and_saveexec_b32 s29, s0
	s_cbranch_execz .LBB163_13
; %bb.10:                               ;   in Loop: Header=BB163_9 Depth=2
	v_dual_add_nc_u32 v16, s2, v2 :: v_dual_mov_b32 v28, 0
	s_mov_b32 s30, exec_lo
	s_delay_alu instid0(VALU_DEP_1)
	v_cmpx_gt_u64_e64 s[20:21], v[16:17]
	s_cbranch_execz .LBB163_12
; %bb.11:                               ;   in Loop: Header=BB163_9 Depth=2
	v_mul_u64_e32 v[28:29], s[6:7], v[16:17]
	s_delay_alu instid0(VALU_DEP_1)
	v_lshl_add_u64 v[28:29], v[28:29], 2, v[20:21]
	global_load_b32 v28, v[28:29], off
.LBB163_12:                             ;   in Loop: Header=BB163_9 Depth=2
	s_wait_xcnt 0x0
	s_or_b32 exec_lo, exec_lo, s30
.LBB163_13:                             ;   in Loop: Header=BB163_9 Depth=2
	s_delay_alu instid0(SALU_CYCLE_1)
	s_or_b32 exec_lo, exec_lo, s29
	v_dual_mov_b32 v29, 0 :: v_dual_add_nc_u32 v16, s2, v0
	s_wait_loadcnt 0x0
	ds_store_b32 v1, v28
	v_cmp_gt_u64_e32 vcc_lo, s[20:21], v[16:17]
	s_and_b32 s30, vcc_lo, s1
	s_delay_alu instid0(SALU_CYCLE_1)
	s_and_saveexec_b32 s29, s30
	s_cbranch_execz .LBB163_8
; %bb.14:                               ;   in Loop: Header=BB163_9 Depth=2
	v_mul_u64_e32 v[28:29], s[12:13], v[16:17]
	s_delay_alu instid0(VALU_DEP_1)
	v_lshl_add_u64 v[28:29], v[28:29], 2, v[22:23]
	global_load_b32 v29, v[28:29], off
	s_branch .LBB163_8
.LBB163_15:                             ;   in Loop: Header=BB163_6 Depth=1
	s_wait_kmcnt 0x0
	s_mul_u64 s[2:3], s[26:27], s[24:25]
	s_delay_alu instid0(SALU_CYCLE_1) | instskip(NEXT) | instid1(SALU_CYCLE_1)
	s_lshl_b64 s[2:3], s[2:3], 2
	s_add_nc_u64 s[2:3], s[16:17], s[2:3]
	s_delay_alu instid0(SALU_CYCLE_1)
	v_lshl_add_u64 v[20:21], v[4:5], 2, s[2:3]
	s_and_saveexec_b32 s29, s11
	s_cbranch_execz .LBB163_19
; %bb.16:                               ;   in Loop: Header=BB163_6 Depth=1
	v_mul_f32_e32 v16, s22, v24
	s_delay_alu instid0(VALU_DEP_2)
	v_lshl_add_u64 v[22:23], v[10:11], 2, v[20:21]
	s_and_b32 vcc_lo, exec_lo, s10
	s_cbranch_vccz .LBB163_30
; %bb.17:                               ;   in Loop: Header=BB163_6 Depth=1
	global_load_b32 v24, v[22:23], off
	s_wait_loadcnt 0x0
	v_fma_f32 v24, s23, v24, v16
	global_store_b32 v[22:23], v24, off
	s_cbranch_execnz .LBB163_19
.LBB163_18:                             ;   in Loop: Header=BB163_6 Depth=1
	global_store_b32 v[22:23], v16, off
.LBB163_19:                             ;   in Loop: Header=BB163_6 Depth=1
	s_wait_xcnt 0x0
	s_or_b32 exec_lo, exec_lo, s29
	s_and_saveexec_b32 s29, s19
	s_cbranch_execz .LBB163_23
; %bb.20:                               ;   in Loop: Header=BB163_6 Depth=1
	v_mul_f32_e32 v16, s22, v25
	v_lshl_add_u64 v[20:21], v[14:15], 2, v[20:21]
	s_and_not1_b32 vcc_lo, exec_lo, s10
	s_cbranch_vccnz .LBB163_31
; %bb.21:                               ;   in Loop: Header=BB163_6 Depth=1
	global_load_b32 v22, v[20:21], off
	s_wait_loadcnt 0x0
	v_fma_f32 v22, s23, v22, v16
	global_store_b32 v[20:21], v22, off
	s_cbranch_execnz .LBB163_23
.LBB163_22:                             ;   in Loop: Header=BB163_6 Depth=1
	global_store_b32 v[20:21], v16, off
.LBB163_23:                             ;   in Loop: Header=BB163_6 Depth=1
	s_wait_xcnt 0x0
	s_or_b32 exec_lo, exec_lo, s29
	v_lshl_add_u64 v[20:21], v[6:7], 2, s[2:3]
	s_and_saveexec_b32 s2, s4
	s_cbranch_execz .LBB163_27
; %bb.24:                               ;   in Loop: Header=BB163_6 Depth=1
	v_mul_f32_e32 v16, s22, v18
	s_delay_alu instid0(VALU_DEP_2)
	v_lshl_add_u64 v[22:23], v[10:11], 2, v[20:21]
	s_and_not1_b32 vcc_lo, exec_lo, s10
	s_cbranch_vccnz .LBB163_32
; %bb.25:                               ;   in Loop: Header=BB163_6 Depth=1
	global_load_b32 v18, v[22:23], off
	s_wait_loadcnt 0x0
	v_fma_f32 v18, s23, v18, v16
	global_store_b32 v[22:23], v18, off
	s_cbranch_execnz .LBB163_27
.LBB163_26:                             ;   in Loop: Header=BB163_6 Depth=1
	global_store_b32 v[22:23], v16, off
.LBB163_27:                             ;   in Loop: Header=BB163_6 Depth=1
	s_wait_xcnt 0x0
	s_or_b32 exec_lo, exec_lo, s2
	s_and_saveexec_b32 s2, s5
	s_cbranch_execz .LBB163_5
; %bb.28:                               ;   in Loop: Header=BB163_6 Depth=1
	v_mul_f32_e32 v16, s22, v19
	v_lshl_add_u64 v[18:19], v[14:15], 2, v[20:21]
	s_and_not1_b32 vcc_lo, exec_lo, s10
	s_cbranch_vccnz .LBB163_33
; %bb.29:                               ;   in Loop: Header=BB163_6 Depth=1
	global_load_b32 v20, v[18:19], off
	s_wait_loadcnt 0x0
	v_fma_f32 v20, s23, v20, v16
	global_store_b32 v[18:19], v20, off
	s_cbranch_execnz .LBB163_5
	s_branch .LBB163_34
.LBB163_30:                             ;   in Loop: Header=BB163_6 Depth=1
	s_branch .LBB163_18
.LBB163_31:                             ;   in Loop: Header=BB163_6 Depth=1
	s_branch .LBB163_22
.LBB163_32:                             ;   in Loop: Header=BB163_6 Depth=1
	s_branch .LBB163_26
.LBB163_33:                             ;   in Loop: Header=BB163_6 Depth=1
.LBB163_34:                             ;   in Loop: Header=BB163_6 Depth=1
	global_store_b32 v[18:19], v16, off
	s_branch .LBB163_5
.LBB163_35:
	s_endpgm
	.section	.rodata,"a",@progbits
	.p2align	6, 0x0
	.amdhsa_kernel _ZL29rocblas_internal_gemmt_kernelIlLi16ELi32ELi8ELc78ELc84ELc85ELb0ELb0EffPKfPfEviT_T9_T10_S3_lS5_S3_lS4_T11_S3_li
		.amdhsa_group_segment_fixed_size 2048
		.amdhsa_private_segment_fixed_size 0
		.amdhsa_kernarg_size 108
		.amdhsa_user_sgpr_count 2
		.amdhsa_user_sgpr_dispatch_ptr 0
		.amdhsa_user_sgpr_queue_ptr 0
		.amdhsa_user_sgpr_kernarg_segment_ptr 1
		.amdhsa_user_sgpr_dispatch_id 0
		.amdhsa_user_sgpr_kernarg_preload_length 0
		.amdhsa_user_sgpr_kernarg_preload_offset 0
		.amdhsa_user_sgpr_private_segment_size 0
		.amdhsa_wavefront_size32 1
		.amdhsa_uses_dynamic_stack 0
		.amdhsa_enable_private_segment 0
		.amdhsa_system_sgpr_workgroup_id_x 1
		.amdhsa_system_sgpr_workgroup_id_y 1
		.amdhsa_system_sgpr_workgroup_id_z 1
		.amdhsa_system_sgpr_workgroup_info 0
		.amdhsa_system_vgpr_workitem_id 1
		.amdhsa_next_free_vgpr 54
		.amdhsa_next_free_sgpr 32
		.amdhsa_named_barrier_count 0
		.amdhsa_reserve_vcc 1
		.amdhsa_float_round_mode_32 0
		.amdhsa_float_round_mode_16_64 0
		.amdhsa_float_denorm_mode_32 3
		.amdhsa_float_denorm_mode_16_64 3
		.amdhsa_fp16_overflow 0
		.amdhsa_memory_ordered 1
		.amdhsa_forward_progress 1
		.amdhsa_inst_pref_size 13
		.amdhsa_round_robin_scheduling 0
		.amdhsa_exception_fp_ieee_invalid_op 0
		.amdhsa_exception_fp_denorm_src 0
		.amdhsa_exception_fp_ieee_div_zero 0
		.amdhsa_exception_fp_ieee_overflow 0
		.amdhsa_exception_fp_ieee_underflow 0
		.amdhsa_exception_fp_ieee_inexact 0
		.amdhsa_exception_int_div_zero 0
	.end_amdhsa_kernel
	.section	.text._ZL29rocblas_internal_gemmt_kernelIlLi16ELi32ELi8ELc78ELc84ELc85ELb0ELb0EffPKfPfEviT_T9_T10_S3_lS5_S3_lS4_T11_S3_li,"axG",@progbits,_ZL29rocblas_internal_gemmt_kernelIlLi16ELi32ELi8ELc78ELc84ELc85ELb0ELb0EffPKfPfEviT_T9_T10_S3_lS5_S3_lS4_T11_S3_li,comdat
.Lfunc_end163:
	.size	_ZL29rocblas_internal_gemmt_kernelIlLi16ELi32ELi8ELc78ELc84ELc85ELb0ELb0EffPKfPfEviT_T9_T10_S3_lS5_S3_lS4_T11_S3_li, .Lfunc_end163-_ZL29rocblas_internal_gemmt_kernelIlLi16ELi32ELi8ELc78ELc84ELc85ELb0ELb0EffPKfPfEviT_T9_T10_S3_lS5_S3_lS4_T11_S3_li
                                        ; -- End function
	.set _ZL29rocblas_internal_gemmt_kernelIlLi16ELi32ELi8ELc78ELc84ELc85ELb0ELb0EffPKfPfEviT_T9_T10_S3_lS5_S3_lS4_T11_S3_li.num_vgpr, 54
	.set _ZL29rocblas_internal_gemmt_kernelIlLi16ELi32ELi8ELc78ELc84ELc85ELb0ELb0EffPKfPfEviT_T9_T10_S3_lS5_S3_lS4_T11_S3_li.num_agpr, 0
	.set _ZL29rocblas_internal_gemmt_kernelIlLi16ELi32ELi8ELc78ELc84ELc85ELb0ELb0EffPKfPfEviT_T9_T10_S3_lS5_S3_lS4_T11_S3_li.numbered_sgpr, 32
	.set _ZL29rocblas_internal_gemmt_kernelIlLi16ELi32ELi8ELc78ELc84ELc85ELb0ELb0EffPKfPfEviT_T9_T10_S3_lS5_S3_lS4_T11_S3_li.num_named_barrier, 0
	.set _ZL29rocblas_internal_gemmt_kernelIlLi16ELi32ELi8ELc78ELc84ELc85ELb0ELb0EffPKfPfEviT_T9_T10_S3_lS5_S3_lS4_T11_S3_li.private_seg_size, 0
	.set _ZL29rocblas_internal_gemmt_kernelIlLi16ELi32ELi8ELc78ELc84ELc85ELb0ELb0EffPKfPfEviT_T9_T10_S3_lS5_S3_lS4_T11_S3_li.uses_vcc, 1
	.set _ZL29rocblas_internal_gemmt_kernelIlLi16ELi32ELi8ELc78ELc84ELc85ELb0ELb0EffPKfPfEviT_T9_T10_S3_lS5_S3_lS4_T11_S3_li.uses_flat_scratch, 0
	.set _ZL29rocblas_internal_gemmt_kernelIlLi16ELi32ELi8ELc78ELc84ELc85ELb0ELb0EffPKfPfEviT_T9_T10_S3_lS5_S3_lS4_T11_S3_li.has_dyn_sized_stack, 0
	.set _ZL29rocblas_internal_gemmt_kernelIlLi16ELi32ELi8ELc78ELc84ELc85ELb0ELb0EffPKfPfEviT_T9_T10_S3_lS5_S3_lS4_T11_S3_li.has_recursion, 0
	.set _ZL29rocblas_internal_gemmt_kernelIlLi16ELi32ELi8ELc78ELc84ELc85ELb0ELb0EffPKfPfEviT_T9_T10_S3_lS5_S3_lS4_T11_S3_li.has_indirect_call, 0
	.section	.AMDGPU.csdata,"",@progbits
; Kernel info:
; codeLenInByte = 1616
; TotalNumSgprs: 34
; NumVgprs: 54
; ScratchSize: 0
; MemoryBound: 0
; FloatMode: 240
; IeeeMode: 1
; LDSByteSize: 2048 bytes/workgroup (compile time only)
; SGPRBlocks: 0
; VGPRBlocks: 3
; NumSGPRsForWavesPerEU: 34
; NumVGPRsForWavesPerEU: 54
; NamedBarCnt: 0
; Occupancy: 16
; WaveLimiterHint : 0
; COMPUTE_PGM_RSRC2:SCRATCH_EN: 0
; COMPUTE_PGM_RSRC2:USER_SGPR: 2
; COMPUTE_PGM_RSRC2:TRAP_HANDLER: 0
; COMPUTE_PGM_RSRC2:TGID_X_EN: 1
; COMPUTE_PGM_RSRC2:TGID_Y_EN: 1
; COMPUTE_PGM_RSRC2:TGID_Z_EN: 1
; COMPUTE_PGM_RSRC2:TIDIG_COMP_CNT: 1
	.section	.text._ZL29rocblas_internal_gemmt_kernelIlLi16ELi32ELi8ELc78ELc67ELc85ELb0ELb0EffPKfPfEviT_T9_T10_S3_lS5_S3_lS4_T11_S3_li,"axG",@progbits,_ZL29rocblas_internal_gemmt_kernelIlLi16ELi32ELi8ELc78ELc67ELc85ELb0ELb0EffPKfPfEviT_T9_T10_S3_lS5_S3_lS4_T11_S3_li,comdat
	.globl	_ZL29rocblas_internal_gemmt_kernelIlLi16ELi32ELi8ELc78ELc67ELc85ELb0ELb0EffPKfPfEviT_T9_T10_S3_lS5_S3_lS4_T11_S3_li ; -- Begin function _ZL29rocblas_internal_gemmt_kernelIlLi16ELi32ELi8ELc78ELc67ELc85ELb0ELb0EffPKfPfEviT_T9_T10_S3_lS5_S3_lS4_T11_S3_li
	.p2align	8
	.type	_ZL29rocblas_internal_gemmt_kernelIlLi16ELi32ELi8ELc78ELc67ELc85ELb0ELb0EffPKfPfEviT_T9_T10_S3_lS5_S3_lS4_T11_S3_li,@function
_ZL29rocblas_internal_gemmt_kernelIlLi16ELi32ELi8ELc78ELc67ELc85ELb0ELb0EffPKfPfEviT_T9_T10_S3_lS5_S3_lS4_T11_S3_li: ; @_ZL29rocblas_internal_gemmt_kernelIlLi16ELi32ELi8ELc78ELc67ELc85ELb0ELb0EffPKfPfEviT_T9_T10_S3_lS5_S3_lS4_T11_S3_li
; %bb.0:
	s_clause 0x1
	s_load_b32 s23, s[0:1], 0x48
	s_load_b96 s[20:22], s[0:1], 0x8
	s_wait_kmcnt 0x0
	s_cmp_neq_f32 s23, 1.0
	s_cselect_b32 s2, -1, 0
	s_delay_alu instid0(SALU_CYCLE_1)
	s_and_b32 vcc_lo, exec_lo, s2
	s_cbranch_vccnz .LBB164_2
; %bb.1:
	s_cmp_lg_u64 s[20:21], 0
	s_cselect_b32 s2, -1, 0
	s_cmp_neq_f32 s22, 0
	s_cselect_b32 s3, -1, 0
	s_delay_alu instid0(SALU_CYCLE_1)
	s_and_b32 s2, s2, s3
.LBB164_2:
	s_delay_alu instid0(SALU_CYCLE_1)
	s_and_not1_b32 vcc_lo, exec_lo, s2
	s_cbranch_vccnz .LBB164_35
; %bb.3:
	s_load_b32 s28, s[0:1], 0x68
	s_bfe_u32 s2, ttmp6, 0x40014
	s_lshr_b32 s3, ttmp7, 16
	s_add_co_i32 s2, s2, 1
	s_bfe_u32 s5, ttmp6, 0x40008
	s_mul_i32 s4, s3, s2
	s_getreg_b32 s2, hwreg(HW_REG_IB_STS2, 6, 4)
	s_add_co_i32 s5, s5, s4
	s_cmp_eq_u32 s2, 0
	s_mov_b32 s25, 0
	s_cselect_b32 s24, s3, s5
	s_wait_kmcnt 0x0
	s_cmp_ge_u32 s24, s28
	s_cbranch_scc1 .LBB164_35
; %bb.4:
	s_bfe_u32 s4, ttmp6, 0x4000c
	s_bfe_u32 s6, ttmp6, 0x40010
	s_add_co_i32 s4, s4, 1
	s_and_b32 s26, ttmp7, 0xffff
	s_add_co_i32 s6, s6, 1
	s_and_b32 s5, ttmp6, 15
	s_mul_i32 s4, ttmp9, s4
	s_mul_i32 s6, s26, s6
	s_bfe_u32 s7, ttmp6, 0x40004
	s_add_co_i32 s27, s5, s4
	s_add_co_i32 s29, s7, s6
	s_cmp_eq_u32 s2, 0
	v_and_b32_e32 v11, 0x3ff, v0
	v_bfe_u32 v15, v0, 10, 10
	s_clause 0x1
	s_load_b128 s[12:15], s[0:1], 0x38
	s_load_b128 s[16:19], s[0:1], 0x50
	s_cselect_b32 s2, s26, s29
	s_cselect_b32 s29, ttmp9, s27
	s_lshl_b32 s2, s2, 5
	v_lshl_add_u32 v1, v15, 4, v11
	v_add_nc_u32_e32 v16, s2, v15
	s_load_b32 s3, s[0:1], 0x0
	v_and_b32_e32 v0, 7, v0
	s_load_b256 s[4:11], s[0:1], 0x18
	v_dual_lshrrev_b32 v10, 3, v1 :: v_dual_bitop2_b32 v3, 31, v1 bitop3:0x40
	v_dual_add_nc_u32 v18, 16, v16 :: v_dual_ashrrev_i32 v17, 31, v16
	s_lshl_b32 s29, s29, 5
	s_delay_alu instid0(VALU_DEP_2) | instid1(SALU_CYCLE_1)
	v_dual_lshrrev_b32 v2, 5, v1 :: v_dual_bitop2_b32 v8, s29, v3 bitop3:0x54
	s_delay_alu instid0(VALU_DEP_3) | instskip(NEXT) | instid1(VALU_DEP_3)
	v_add_nc_u32_e32 v12, s2, v10
	v_dual_ashrrev_i32 v19, 31, v18 :: v_dual_lshlrev_b32 v1, 2, v3
	v_lshlrev_b32_e32 v3, 2, v0
	s_wait_kmcnt 0x0
	v_mul_u64_e32 v[4:5], s[18:19], v[16:17]
	s_load_b64 s[26:27], s[0:1], 0x60
	v_mul_u64_e32 v[6:7], s[18:19], v[18:19]
	v_ashrrev_i32_e32 v9, 31, v8
	v_lshl_or_b32 v3, v10, 5, v3
	v_add_nc_u32_e32 v10, s29, v11
	s_cmp_neq_f32 s22, 0
	v_dual_ashrrev_i32 v13, 31, v12 :: v_dual_lshlrev_b32 v26, 2, v11
	v_cmp_gt_i32_e32 vcc_lo, s3, v16
	s_delay_alu instid0(VALU_DEP_3)
	v_cmp_le_i32_e64 s2, v10, v16
	v_dual_add_nc_u32 v14, 16, v10 :: v_dual_ashrrev_i32 v11, 31, v10
	s_cselect_b32 s30, -1, 0
	s_cmp_neq_f32 s23, 0
	v_cmp_gt_i64_e64 s31, s[20:21], 0
	s_wait_xcnt 0x0
	v_cmp_gt_i32_e64 s0, s3, v8
	v_lshl_add_u64 v[8:9], v[8:9], 2, s[4:5]
	v_cmp_gt_i32_e64 s1, s3, v12
	v_lshl_add_u64 v[12:13], v[12:13], 2, s[10:11]
	s_cselect_b32 s10, -1, 0
	s_and_b32 s11, vcc_lo, s2
	v_cmp_le_i32_e64 s2, v14, v16
	v_cmp_gt_i32_e64 s3, s3, v18
	v_cmp_le_i32_e64 s4, v10, v18
	v_cmp_le_i32_e64 s5, v14, v18
	v_lshl_or_b32 v1, v2, 7, v1
	v_add_nc_u32_e32 v3, 0x400, v3
	v_lshl_add_u32 v27, v15, 5, 0x400
	v_dual_ashrrev_i32 v15, 31, v14 :: v_dual_mov_b32 v17, 0
	s_and_b32 s18, s30, s31
	s_and_b32 s19, vcc_lo, s2
	s_and_b32 s4, s3, s4
	s_and_b32 s5, s3, s5
	s_branch .LBB164_6
.LBB164_5:                              ;   in Loop: Header=BB164_6 Depth=1
	s_wait_xcnt 0x0
	s_or_b32 exec_lo, exec_lo, s2
	s_add_co_i32 s24, s24, 0x10000
	s_delay_alu instid0(SALU_CYCLE_1)
	s_cmp_lt_u32 s24, s28
	s_cbranch_scc0 .LBB164_35
.LBB164_6:                              ; =>This Loop Header: Depth=1
                                        ;     Child Loop BB164_9 Depth 2
	v_dual_mov_b32 v25, v17 :: v_dual_mov_b32 v24, v17
	v_dual_mov_b32 v19, v17 :: v_dual_mov_b32 v18, v17
	s_and_not1_b32 vcc_lo, exec_lo, s18
	s_cbranch_vccnz .LBB164_15
; %bb.7:                                ;   in Loop: Header=BB164_6 Depth=1
	v_mov_b32_e32 v18, 0
	s_mul_u64 s[2:3], s[8:9], s[24:25]
	s_mul_u64 s[30:31], s[14:15], s[24:25]
	v_lshl_add_u64 v[20:21], s[2:3], 2, v[8:9]
	v_lshl_add_u64 v[22:23], s[30:31], 2, v[12:13]
	v_dual_mov_b32 v19, v18 :: v_dual_mov_b32 v24, v18
	v_mov_b32_e32 v25, v18
	s_mov_b64 s[2:3], 0
	s_branch .LBB164_9
.LBB164_8:                              ;   in Loop: Header=BB164_9 Depth=2
	s_wait_xcnt 0x0
	s_or_b32 exec_lo, exec_lo, s29
	s_wait_loadcnt 0x0
	ds_store_b32 v3, v29
	s_wait_dscnt 0x0
	s_barrier_signal -1
	s_barrier_wait -1
	ds_load_b128 v[28:31], v27
	ds_load_2addr_b32 v[44:45], v26 offset1:16
	ds_load_b128 v[32:35], v27 offset:512
	ds_load_2addr_b32 v[46:47], v26 offset0:32 offset1:48
	ds_load_2addr_b32 v[48:49], v26 offset0:64 offset1:80
	;; [unrolled: 1-line block ×3, first 2 shown]
	ds_load_b128 v[36:39], v27 offset:16
	ds_load_2addr_b32 v[52:53], v26 offset0:128 offset1:144
	ds_load_b128 v[40:43], v27 offset:528
	s_add_nc_u64 s[2:3], s[2:3], 8
	s_delay_alu instid0(SALU_CYCLE_1)
	v_cmp_gt_i64_e64 s29, s[20:21], s[2:3]
	s_and_b32 vcc_lo, exec_lo, s29
	s_wait_dscnt 0x8
	v_mov_b32_e32 v16, v31
	s_wait_dscnt 0x7
	v_pk_fma_f32 v[24:25], v[44:45], v[28:29], v[24:25] op_sel_hi:[1,0,1]
	s_wait_dscnt 0x6
	v_pk_fma_f32 v[18:19], v[44:45], v[32:33], v[18:19] op_sel_hi:[1,0,1]
	ds_load_2addr_b32 v[44:45], v26 offset0:160 offset1:176
	s_wait_dscnt 0x6
	v_pk_fma_f32 v[24:25], v[46:47], v[28:29], v[24:25] op_sel:[0,1,0]
	v_pk_fma_f32 v[18:19], v[46:47], v[32:33], v[18:19] op_sel:[0,1,0]
	ds_load_2addr_b32 v[28:29], v26 offset0:192 offset1:208
	v_mov_b32_e32 v32, v35
	s_wait_dscnt 0x6
	v_pk_fma_f32 v[24:25], v[48:49], v[30:31], v[24:25] op_sel_hi:[1,0,1]
	v_pk_fma_f32 v[18:19], v[48:49], v[34:35], v[18:19] op_sel_hi:[1,0,1]
	ds_load_2addr_b32 v[30:31], v26 offset0:224 offset1:240
	s_wait_dscnt 0x0
	s_barrier_signal -1
	v_pk_fma_f32 v[24:25], v[50:51], v[16:17], v[24:25] op_sel_hi:[1,0,1]
	v_pk_fma_f32 v[18:19], v[50:51], v[32:33], v[18:19] op_sel_hi:[1,0,1]
	v_dual_mov_b32 v16, v39 :: v_dual_mov_b32 v32, v43
	s_barrier_wait -1
	s_delay_alu instid0(VALU_DEP_3) | instskip(NEXT) | instid1(VALU_DEP_3)
	v_pk_fma_f32 v[24:25], v[52:53], v[36:37], v[24:25] op_sel_hi:[1,0,1]
	v_pk_fma_f32 v[18:19], v[52:53], v[40:41], v[18:19] op_sel_hi:[1,0,1]
	s_delay_alu instid0(VALU_DEP_2) | instskip(NEXT) | instid1(VALU_DEP_2)
	v_pk_fma_f32 v[24:25], v[44:45], v[36:37], v[24:25] op_sel:[0,1,0]
	v_pk_fma_f32 v[18:19], v[44:45], v[40:41], v[18:19] op_sel:[0,1,0]
	s_delay_alu instid0(VALU_DEP_2) | instskip(NEXT) | instid1(VALU_DEP_2)
	v_pk_fma_f32 v[24:25], v[28:29], v[38:39], v[24:25] op_sel_hi:[1,0,1]
	v_pk_fma_f32 v[18:19], v[28:29], v[42:43], v[18:19] op_sel_hi:[1,0,1]
	s_delay_alu instid0(VALU_DEP_2) | instskip(NEXT) | instid1(VALU_DEP_2)
	v_pk_fma_f32 v[24:25], v[30:31], v[16:17], v[24:25] op_sel_hi:[1,0,1]
	v_pk_fma_f32 v[18:19], v[30:31], v[32:33], v[18:19] op_sel_hi:[1,0,1]
	s_cbranch_vccz .LBB164_15
.LBB164_9:                              ;   Parent Loop BB164_6 Depth=1
                                        ; =>  This Inner Loop Header: Depth=2
	v_mov_b32_e32 v28, 0
	s_and_saveexec_b32 s29, s0
	s_cbranch_execz .LBB164_13
; %bb.10:                               ;   in Loop: Header=BB164_9 Depth=2
	v_dual_add_nc_u32 v16, s2, v2 :: v_dual_mov_b32 v28, 0
	s_mov_b32 s30, exec_lo
	s_delay_alu instid0(VALU_DEP_1)
	v_cmpx_gt_u64_e64 s[20:21], v[16:17]
	s_cbranch_execz .LBB164_12
; %bb.11:                               ;   in Loop: Header=BB164_9 Depth=2
	v_mul_u64_e32 v[28:29], s[6:7], v[16:17]
	s_delay_alu instid0(VALU_DEP_1)
	v_lshl_add_u64 v[28:29], v[28:29], 2, v[20:21]
	global_load_b32 v28, v[28:29], off
.LBB164_12:                             ;   in Loop: Header=BB164_9 Depth=2
	s_wait_xcnt 0x0
	s_or_b32 exec_lo, exec_lo, s30
.LBB164_13:                             ;   in Loop: Header=BB164_9 Depth=2
	s_delay_alu instid0(SALU_CYCLE_1)
	s_or_b32 exec_lo, exec_lo, s29
	v_dual_mov_b32 v29, 0 :: v_dual_add_nc_u32 v16, s2, v0
	s_wait_loadcnt 0x0
	ds_store_b32 v1, v28
	v_cmp_gt_u64_e32 vcc_lo, s[20:21], v[16:17]
	s_and_b32 s30, vcc_lo, s1
	s_delay_alu instid0(SALU_CYCLE_1)
	s_and_saveexec_b32 s29, s30
	s_cbranch_execz .LBB164_8
; %bb.14:                               ;   in Loop: Header=BB164_9 Depth=2
	v_mul_u64_e32 v[28:29], s[12:13], v[16:17]
	s_delay_alu instid0(VALU_DEP_1)
	v_lshl_add_u64 v[28:29], v[28:29], 2, v[22:23]
	global_load_b32 v29, v[28:29], off
	s_branch .LBB164_8
.LBB164_15:                             ;   in Loop: Header=BB164_6 Depth=1
	s_wait_kmcnt 0x0
	s_mul_u64 s[2:3], s[26:27], s[24:25]
	s_delay_alu instid0(SALU_CYCLE_1) | instskip(NEXT) | instid1(SALU_CYCLE_1)
	s_lshl_b64 s[2:3], s[2:3], 2
	s_add_nc_u64 s[2:3], s[16:17], s[2:3]
	s_delay_alu instid0(SALU_CYCLE_1)
	v_lshl_add_u64 v[20:21], v[4:5], 2, s[2:3]
	s_and_saveexec_b32 s29, s11
	s_cbranch_execz .LBB164_19
; %bb.16:                               ;   in Loop: Header=BB164_6 Depth=1
	v_mul_f32_e32 v16, s22, v24
	s_delay_alu instid0(VALU_DEP_2)
	v_lshl_add_u64 v[22:23], v[10:11], 2, v[20:21]
	s_and_b32 vcc_lo, exec_lo, s10
	s_cbranch_vccz .LBB164_30
; %bb.17:                               ;   in Loop: Header=BB164_6 Depth=1
	global_load_b32 v24, v[22:23], off
	s_wait_loadcnt 0x0
	v_fma_f32 v24, s23, v24, v16
	global_store_b32 v[22:23], v24, off
	s_cbranch_execnz .LBB164_19
.LBB164_18:                             ;   in Loop: Header=BB164_6 Depth=1
	global_store_b32 v[22:23], v16, off
.LBB164_19:                             ;   in Loop: Header=BB164_6 Depth=1
	s_wait_xcnt 0x0
	s_or_b32 exec_lo, exec_lo, s29
	s_and_saveexec_b32 s29, s19
	s_cbranch_execz .LBB164_23
; %bb.20:                               ;   in Loop: Header=BB164_6 Depth=1
	v_mul_f32_e32 v16, s22, v25
	v_lshl_add_u64 v[20:21], v[14:15], 2, v[20:21]
	s_and_not1_b32 vcc_lo, exec_lo, s10
	s_cbranch_vccnz .LBB164_31
; %bb.21:                               ;   in Loop: Header=BB164_6 Depth=1
	global_load_b32 v22, v[20:21], off
	s_wait_loadcnt 0x0
	v_fma_f32 v22, s23, v22, v16
	global_store_b32 v[20:21], v22, off
	s_cbranch_execnz .LBB164_23
.LBB164_22:                             ;   in Loop: Header=BB164_6 Depth=1
	global_store_b32 v[20:21], v16, off
.LBB164_23:                             ;   in Loop: Header=BB164_6 Depth=1
	s_wait_xcnt 0x0
	s_or_b32 exec_lo, exec_lo, s29
	v_lshl_add_u64 v[20:21], v[6:7], 2, s[2:3]
	s_and_saveexec_b32 s2, s4
	s_cbranch_execz .LBB164_27
; %bb.24:                               ;   in Loop: Header=BB164_6 Depth=1
	v_mul_f32_e32 v16, s22, v18
	s_delay_alu instid0(VALU_DEP_2)
	v_lshl_add_u64 v[22:23], v[10:11], 2, v[20:21]
	s_and_not1_b32 vcc_lo, exec_lo, s10
	s_cbranch_vccnz .LBB164_32
; %bb.25:                               ;   in Loop: Header=BB164_6 Depth=1
	global_load_b32 v18, v[22:23], off
	s_wait_loadcnt 0x0
	v_fma_f32 v18, s23, v18, v16
	global_store_b32 v[22:23], v18, off
	s_cbranch_execnz .LBB164_27
.LBB164_26:                             ;   in Loop: Header=BB164_6 Depth=1
	global_store_b32 v[22:23], v16, off
.LBB164_27:                             ;   in Loop: Header=BB164_6 Depth=1
	s_wait_xcnt 0x0
	s_or_b32 exec_lo, exec_lo, s2
	s_and_saveexec_b32 s2, s5
	s_cbranch_execz .LBB164_5
; %bb.28:                               ;   in Loop: Header=BB164_6 Depth=1
	v_mul_f32_e32 v16, s22, v19
	v_lshl_add_u64 v[18:19], v[14:15], 2, v[20:21]
	s_and_not1_b32 vcc_lo, exec_lo, s10
	s_cbranch_vccnz .LBB164_33
; %bb.29:                               ;   in Loop: Header=BB164_6 Depth=1
	global_load_b32 v20, v[18:19], off
	s_wait_loadcnt 0x0
	v_fma_f32 v20, s23, v20, v16
	global_store_b32 v[18:19], v20, off
	s_cbranch_execnz .LBB164_5
	s_branch .LBB164_34
.LBB164_30:                             ;   in Loop: Header=BB164_6 Depth=1
	s_branch .LBB164_18
.LBB164_31:                             ;   in Loop: Header=BB164_6 Depth=1
	s_branch .LBB164_22
.LBB164_32:                             ;   in Loop: Header=BB164_6 Depth=1
	s_branch .LBB164_26
.LBB164_33:                             ;   in Loop: Header=BB164_6 Depth=1
.LBB164_34:                             ;   in Loop: Header=BB164_6 Depth=1
	global_store_b32 v[18:19], v16, off
	s_branch .LBB164_5
.LBB164_35:
	s_endpgm
	.section	.rodata,"a",@progbits
	.p2align	6, 0x0
	.amdhsa_kernel _ZL29rocblas_internal_gemmt_kernelIlLi16ELi32ELi8ELc78ELc67ELc85ELb0ELb0EffPKfPfEviT_T9_T10_S3_lS5_S3_lS4_T11_S3_li
		.amdhsa_group_segment_fixed_size 2048
		.amdhsa_private_segment_fixed_size 0
		.amdhsa_kernarg_size 108
		.amdhsa_user_sgpr_count 2
		.amdhsa_user_sgpr_dispatch_ptr 0
		.amdhsa_user_sgpr_queue_ptr 0
		.amdhsa_user_sgpr_kernarg_segment_ptr 1
		.amdhsa_user_sgpr_dispatch_id 0
		.amdhsa_user_sgpr_kernarg_preload_length 0
		.amdhsa_user_sgpr_kernarg_preload_offset 0
		.amdhsa_user_sgpr_private_segment_size 0
		.amdhsa_wavefront_size32 1
		.amdhsa_uses_dynamic_stack 0
		.amdhsa_enable_private_segment 0
		.amdhsa_system_sgpr_workgroup_id_x 1
		.amdhsa_system_sgpr_workgroup_id_y 1
		.amdhsa_system_sgpr_workgroup_id_z 1
		.amdhsa_system_sgpr_workgroup_info 0
		.amdhsa_system_vgpr_workitem_id 1
		.amdhsa_next_free_vgpr 54
		.amdhsa_next_free_sgpr 32
		.amdhsa_named_barrier_count 0
		.amdhsa_reserve_vcc 1
		.amdhsa_float_round_mode_32 0
		.amdhsa_float_round_mode_16_64 0
		.amdhsa_float_denorm_mode_32 3
		.amdhsa_float_denorm_mode_16_64 3
		.amdhsa_fp16_overflow 0
		.amdhsa_memory_ordered 1
		.amdhsa_forward_progress 1
		.amdhsa_inst_pref_size 13
		.amdhsa_round_robin_scheduling 0
		.amdhsa_exception_fp_ieee_invalid_op 0
		.amdhsa_exception_fp_denorm_src 0
		.amdhsa_exception_fp_ieee_div_zero 0
		.amdhsa_exception_fp_ieee_overflow 0
		.amdhsa_exception_fp_ieee_underflow 0
		.amdhsa_exception_fp_ieee_inexact 0
		.amdhsa_exception_int_div_zero 0
	.end_amdhsa_kernel
	.section	.text._ZL29rocblas_internal_gemmt_kernelIlLi16ELi32ELi8ELc78ELc67ELc85ELb0ELb0EffPKfPfEviT_T9_T10_S3_lS5_S3_lS4_T11_S3_li,"axG",@progbits,_ZL29rocblas_internal_gemmt_kernelIlLi16ELi32ELi8ELc78ELc67ELc85ELb0ELb0EffPKfPfEviT_T9_T10_S3_lS5_S3_lS4_T11_S3_li,comdat
.Lfunc_end164:
	.size	_ZL29rocblas_internal_gemmt_kernelIlLi16ELi32ELi8ELc78ELc67ELc85ELb0ELb0EffPKfPfEviT_T9_T10_S3_lS5_S3_lS4_T11_S3_li, .Lfunc_end164-_ZL29rocblas_internal_gemmt_kernelIlLi16ELi32ELi8ELc78ELc67ELc85ELb0ELb0EffPKfPfEviT_T9_T10_S3_lS5_S3_lS4_T11_S3_li
                                        ; -- End function
	.set _ZL29rocblas_internal_gemmt_kernelIlLi16ELi32ELi8ELc78ELc67ELc85ELb0ELb0EffPKfPfEviT_T9_T10_S3_lS5_S3_lS4_T11_S3_li.num_vgpr, 54
	.set _ZL29rocblas_internal_gemmt_kernelIlLi16ELi32ELi8ELc78ELc67ELc85ELb0ELb0EffPKfPfEviT_T9_T10_S3_lS5_S3_lS4_T11_S3_li.num_agpr, 0
	.set _ZL29rocblas_internal_gemmt_kernelIlLi16ELi32ELi8ELc78ELc67ELc85ELb0ELb0EffPKfPfEviT_T9_T10_S3_lS5_S3_lS4_T11_S3_li.numbered_sgpr, 32
	.set _ZL29rocblas_internal_gemmt_kernelIlLi16ELi32ELi8ELc78ELc67ELc85ELb0ELb0EffPKfPfEviT_T9_T10_S3_lS5_S3_lS4_T11_S3_li.num_named_barrier, 0
	.set _ZL29rocblas_internal_gemmt_kernelIlLi16ELi32ELi8ELc78ELc67ELc85ELb0ELb0EffPKfPfEviT_T9_T10_S3_lS5_S3_lS4_T11_S3_li.private_seg_size, 0
	.set _ZL29rocblas_internal_gemmt_kernelIlLi16ELi32ELi8ELc78ELc67ELc85ELb0ELb0EffPKfPfEviT_T9_T10_S3_lS5_S3_lS4_T11_S3_li.uses_vcc, 1
	.set _ZL29rocblas_internal_gemmt_kernelIlLi16ELi32ELi8ELc78ELc67ELc85ELb0ELb0EffPKfPfEviT_T9_T10_S3_lS5_S3_lS4_T11_S3_li.uses_flat_scratch, 0
	.set _ZL29rocblas_internal_gemmt_kernelIlLi16ELi32ELi8ELc78ELc67ELc85ELb0ELb0EffPKfPfEviT_T9_T10_S3_lS5_S3_lS4_T11_S3_li.has_dyn_sized_stack, 0
	.set _ZL29rocblas_internal_gemmt_kernelIlLi16ELi32ELi8ELc78ELc67ELc85ELb0ELb0EffPKfPfEviT_T9_T10_S3_lS5_S3_lS4_T11_S3_li.has_recursion, 0
	.set _ZL29rocblas_internal_gemmt_kernelIlLi16ELi32ELi8ELc78ELc67ELc85ELb0ELb0EffPKfPfEviT_T9_T10_S3_lS5_S3_lS4_T11_S3_li.has_indirect_call, 0
	.section	.AMDGPU.csdata,"",@progbits
; Kernel info:
; codeLenInByte = 1616
; TotalNumSgprs: 34
; NumVgprs: 54
; ScratchSize: 0
; MemoryBound: 0
; FloatMode: 240
; IeeeMode: 1
; LDSByteSize: 2048 bytes/workgroup (compile time only)
; SGPRBlocks: 0
; VGPRBlocks: 3
; NumSGPRsForWavesPerEU: 34
; NumVGPRsForWavesPerEU: 54
; NamedBarCnt: 0
; Occupancy: 16
; WaveLimiterHint : 0
; COMPUTE_PGM_RSRC2:SCRATCH_EN: 0
; COMPUTE_PGM_RSRC2:USER_SGPR: 2
; COMPUTE_PGM_RSRC2:TRAP_HANDLER: 0
; COMPUTE_PGM_RSRC2:TGID_X_EN: 1
; COMPUTE_PGM_RSRC2:TGID_Y_EN: 1
; COMPUTE_PGM_RSRC2:TGID_Z_EN: 1
; COMPUTE_PGM_RSRC2:TIDIG_COMP_CNT: 1
	.section	.text._ZL29rocblas_internal_gemmt_kernelIlLi16ELi32ELi8ELc84ELc78ELc85ELb0ELb0EffPKfPfEviT_T9_T10_S3_lS5_S3_lS4_T11_S3_li,"axG",@progbits,_ZL29rocblas_internal_gemmt_kernelIlLi16ELi32ELi8ELc84ELc78ELc85ELb0ELb0EffPKfPfEviT_T9_T10_S3_lS5_S3_lS4_T11_S3_li,comdat
	.globl	_ZL29rocblas_internal_gemmt_kernelIlLi16ELi32ELi8ELc84ELc78ELc85ELb0ELb0EffPKfPfEviT_T9_T10_S3_lS5_S3_lS4_T11_S3_li ; -- Begin function _ZL29rocblas_internal_gemmt_kernelIlLi16ELi32ELi8ELc84ELc78ELc85ELb0ELb0EffPKfPfEviT_T9_T10_S3_lS5_S3_lS4_T11_S3_li
	.p2align	8
	.type	_ZL29rocblas_internal_gemmt_kernelIlLi16ELi32ELi8ELc84ELc78ELc85ELb0ELb0EffPKfPfEviT_T9_T10_S3_lS5_S3_lS4_T11_S3_li,@function
_ZL29rocblas_internal_gemmt_kernelIlLi16ELi32ELi8ELc84ELc78ELc85ELb0ELb0EffPKfPfEviT_T9_T10_S3_lS5_S3_lS4_T11_S3_li: ; @_ZL29rocblas_internal_gemmt_kernelIlLi16ELi32ELi8ELc84ELc78ELc85ELb0ELb0EffPKfPfEviT_T9_T10_S3_lS5_S3_lS4_T11_S3_li
; %bb.0:
	s_clause 0x1
	s_load_b32 s23, s[0:1], 0x48
	s_load_b96 s[20:22], s[0:1], 0x8
	s_wait_kmcnt 0x0
	s_cmp_neq_f32 s23, 1.0
	s_cselect_b32 s2, -1, 0
	s_delay_alu instid0(SALU_CYCLE_1)
	s_and_b32 vcc_lo, exec_lo, s2
	s_cbranch_vccnz .LBB165_2
; %bb.1:
	s_cmp_lg_u64 s[20:21], 0
	s_cselect_b32 s2, -1, 0
	s_cmp_neq_f32 s22, 0
	s_cselect_b32 s3, -1, 0
	s_delay_alu instid0(SALU_CYCLE_1)
	s_and_b32 s2, s2, s3
.LBB165_2:
	s_delay_alu instid0(SALU_CYCLE_1)
	s_and_not1_b32 vcc_lo, exec_lo, s2
	s_cbranch_vccnz .LBB165_35
; %bb.3:
	s_load_b32 s26, s[0:1], 0x68
	s_bfe_u32 s2, ttmp6, 0x40014
	s_lshr_b32 s3, ttmp7, 16
	s_add_co_i32 s2, s2, 1
	s_bfe_u32 s5, ttmp6, 0x40008
	s_mul_i32 s4, s3, s2
	s_getreg_b32 s2, hwreg(HW_REG_IB_STS2, 6, 4)
	s_add_co_i32 s5, s5, s4
	s_cmp_eq_u32 s2, 0
	s_mov_b32 s25, 0
	s_cselect_b32 s24, s3, s5
	s_wait_kmcnt 0x0
	s_cmp_ge_u32 s24, s26
	s_cbranch_scc1 .LBB165_35
; %bb.4:
	v_and_b32_e32 v3, 0x3ff, v0
	v_bfe_u32 v9, v0, 10, 10
	s_bfe_u32 s16, ttmp6, 0x4000c
	s_bfe_u32 s18, ttmp6, 0x40010
	s_and_b32 s17, ttmp7, 0xffff
	s_add_co_i32 s16, s16, 1
	s_add_co_i32 s18, s18, 1
	s_clause 0x1
	s_load_b256 s[4:11], s[0:1], 0x18
	s_load_b128 s[12:15], s[0:1], 0x38
	v_lshl_add_u32 v2, v9, 4, v3
	s_and_b32 s3, ttmp6, 15
	s_mul_i32 s16, ttmp9, s16
	s_mul_i32 s18, s17, s18
	s_bfe_u32 s19, ttmp6, 0x40004
	s_add_co_i32 s3, s3, s16
	s_add_co_i32 s19, s19, s18
	s_cmp_eq_u32 s2, 0
	v_dual_lshrrev_b32 v10, 3, v2 :: v_dual_bitop2_b32 v11, 31, v2 bitop3:0x40
	s_cselect_b32 s2, ttmp9, s3
	s_cselect_b32 s3, s17, s19
	s_load_b128 s[16:19], s[0:1], 0x50
	s_lshl_b32 s2, s2, 5
	s_lshl_b32 s3, s3, 5
	s_delay_alu instid0(SALU_CYCLE_1) | instskip(SKIP_2) | instid1(VALU_DEP_2)
	v_dual_add_nc_u32 v14, s3, v10 :: v_dual_bitop2_b32 v12, s2, v11 bitop3:0x54
	v_dual_add_nc_u32 v20, s3, v9 :: v_dual_bitop2_b32 v0, 7, v0 bitop3:0x40
	s_load_b32 s3, s[0:1], 0x0
	v_dual_ashrrev_i32 v13, 31, v12 :: v_dual_ashrrev_i32 v15, 31, v14
	s_delay_alu instid0(VALU_DEP_2) | instskip(SKIP_2) | instid1(VALU_DEP_3)
	v_dual_add_nc_u32 v22, 16, v20 :: v_dual_ashrrev_i32 v21, 31, v20
	v_add_nc_u32_e32 v8, s2, v3
	s_wait_kmcnt 0x0
	v_mul_u64_e32 v[16:17], s[6:7], v[12:13]
	v_mul_u64_e32 v[18:19], s[12:13], v[14:15]
	v_dual_ashrrev_i32 v23, 31, v22 :: v_dual_lshlrev_b32 v13, 2, v0
	s_load_b64 s[6:7], s[0:1], 0x60
	v_dual_lshlrev_b32 v1, 2, v3 :: v_dual_lshrrev_b32 v2, 5, v2
	v_mul_u64_e32 v[4:5], s[18:19], v[20:21]
	s_delay_alu instid0(VALU_DEP_3)
	v_mul_u64_e32 v[6:7], s[18:19], v[22:23]
	v_lshlrev_b32_e32 v3, 2, v11
	v_lshl_or_b32 v11, v10, 5, v13
	v_add_nc_u32_e32 v10, 16, v8
	s_cmp_neq_f32 s22, 0
	v_cmp_gt_i64_e64 s12, s[20:21], 0
	v_cmp_gt_i32_e64 s2, s3, v20
	v_add_nc_u32_e32 v26, 0x400, v11
	v_ashrrev_i32_e32 v11, 31, v10
	v_cmp_le_i32_e32 vcc_lo, v8, v20
	s_cselect_b32 s13, -1, 0
	s_cmp_neq_f32 s23, 0
	s_wait_xcnt 0x0
	v_cmp_gt_i32_e64 s0, s3, v12
	v_cmp_gt_i32_e64 s1, s3, v14
	;; [unrolled: 1-line block ×3, first 2 shown]
	v_lshl_or_b32 v3, v2, 7, v3
	v_lshl_add_u32 v27, v9, 5, 0x400
	v_ashrrev_i32_e32 v9, 31, v8
	v_lshl_add_u64 v[12:13], v[16:17], 2, s[4:5]
	v_lshl_add_u64 v[14:15], v[18:19], 2, s[10:11]
	s_cselect_b32 s10, -1, 0
	s_and_b32 s11, s2, vcc_lo
	v_cmp_le_i32_e32 vcc_lo, v10, v20
	v_cmp_le_i32_e64 s4, v8, v22
	v_cmp_le_i32_e64 s5, v10, v22
	v_mov_b32_e32 v17, 0
	s_and_b32 s12, s13, s12
	s_and_b32 s13, s2, vcc_lo
	s_and_b32 s4, s3, s4
	s_and_b32 s5, s3, s5
	s_branch .LBB165_6
.LBB165_5:                              ;   in Loop: Header=BB165_6 Depth=1
	s_wait_xcnt 0x0
	s_or_b32 exec_lo, exec_lo, s2
	s_add_co_i32 s24, s24, 0x10000
	s_delay_alu instid0(SALU_CYCLE_1)
	s_cmp_lt_u32 s24, s26
	s_cbranch_scc0 .LBB165_35
.LBB165_6:                              ; =>This Loop Header: Depth=1
                                        ;     Child Loop BB165_9 Depth 2
	v_dual_mov_b32 v25, v17 :: v_dual_mov_b32 v24, v17
	v_dual_mov_b32 v19, v17 :: v_dual_mov_b32 v18, v17
	s_and_not1_b32 vcc_lo, exec_lo, s12
	s_cbranch_vccnz .LBB165_15
; %bb.7:                                ;   in Loop: Header=BB165_6 Depth=1
	v_mov_b32_e32 v18, 0
	s_mul_u64 s[2:3], s[8:9], s[24:25]
	s_mul_u64 s[18:19], s[14:15], s[24:25]
	v_lshl_add_u64 v[20:21], s[2:3], 2, v[12:13]
	v_lshl_add_u64 v[22:23], s[18:19], 2, v[14:15]
	v_dual_mov_b32 v19, v18 :: v_dual_mov_b32 v24, v18
	v_mov_b32_e32 v25, v18
	s_mov_b64 s[2:3], 0
	s_branch .LBB165_9
.LBB165_8:                              ;   in Loop: Header=BB165_9 Depth=2
	s_wait_xcnt 0x0
	s_or_b32 exec_lo, exec_lo, s18
	s_wait_loadcnt 0x0
	ds_store_b32 v26, v29
	s_wait_dscnt 0x0
	s_barrier_signal -1
	s_barrier_wait -1
	ds_load_b128 v[28:31], v27
	ds_load_2addr_b32 v[44:45], v1 offset1:16
	ds_load_b128 v[32:35], v27 offset:512
	ds_load_2addr_b32 v[46:47], v1 offset0:32 offset1:48
	ds_load_2addr_b32 v[48:49], v1 offset0:64 offset1:80
	;; [unrolled: 1-line block ×3, first 2 shown]
	ds_load_b128 v[36:39], v27 offset:16
	ds_load_2addr_b32 v[52:53], v1 offset0:128 offset1:144
	ds_load_b128 v[40:43], v27 offset:528
	s_add_nc_u64 s[2:3], s[2:3], 8
	s_delay_alu instid0(SALU_CYCLE_1)
	v_cmp_gt_i64_e64 s18, s[20:21], s[2:3]
	s_and_b32 vcc_lo, exec_lo, s18
	s_wait_dscnt 0x8
	v_mov_b32_e32 v16, v31
	s_wait_dscnt 0x7
	v_pk_fma_f32 v[24:25], v[44:45], v[28:29], v[24:25] op_sel_hi:[1,0,1]
	s_wait_dscnt 0x6
	v_pk_fma_f32 v[18:19], v[44:45], v[32:33], v[18:19] op_sel_hi:[1,0,1]
	ds_load_2addr_b32 v[44:45], v1 offset0:160 offset1:176
	s_wait_dscnt 0x6
	v_pk_fma_f32 v[24:25], v[46:47], v[28:29], v[24:25] op_sel:[0,1,0]
	v_pk_fma_f32 v[18:19], v[46:47], v[32:33], v[18:19] op_sel:[0,1,0]
	ds_load_2addr_b32 v[28:29], v1 offset0:192 offset1:208
	v_mov_b32_e32 v32, v35
	s_wait_dscnt 0x6
	v_pk_fma_f32 v[24:25], v[48:49], v[30:31], v[24:25] op_sel_hi:[1,0,1]
	v_pk_fma_f32 v[18:19], v[48:49], v[34:35], v[18:19] op_sel_hi:[1,0,1]
	ds_load_2addr_b32 v[30:31], v1 offset0:224 offset1:240
	s_wait_dscnt 0x0
	s_barrier_signal -1
	v_pk_fma_f32 v[24:25], v[50:51], v[16:17], v[24:25] op_sel_hi:[1,0,1]
	v_pk_fma_f32 v[18:19], v[50:51], v[32:33], v[18:19] op_sel_hi:[1,0,1]
	v_dual_mov_b32 v16, v39 :: v_dual_mov_b32 v32, v43
	s_barrier_wait -1
	s_delay_alu instid0(VALU_DEP_3) | instskip(NEXT) | instid1(VALU_DEP_3)
	v_pk_fma_f32 v[24:25], v[52:53], v[36:37], v[24:25] op_sel_hi:[1,0,1]
	v_pk_fma_f32 v[18:19], v[52:53], v[40:41], v[18:19] op_sel_hi:[1,0,1]
	s_delay_alu instid0(VALU_DEP_2) | instskip(NEXT) | instid1(VALU_DEP_2)
	v_pk_fma_f32 v[24:25], v[44:45], v[36:37], v[24:25] op_sel:[0,1,0]
	v_pk_fma_f32 v[18:19], v[44:45], v[40:41], v[18:19] op_sel:[0,1,0]
	s_delay_alu instid0(VALU_DEP_2) | instskip(NEXT) | instid1(VALU_DEP_2)
	v_pk_fma_f32 v[24:25], v[28:29], v[38:39], v[24:25] op_sel_hi:[1,0,1]
	v_pk_fma_f32 v[18:19], v[28:29], v[42:43], v[18:19] op_sel_hi:[1,0,1]
	s_delay_alu instid0(VALU_DEP_2) | instskip(NEXT) | instid1(VALU_DEP_2)
	v_pk_fma_f32 v[24:25], v[30:31], v[16:17], v[24:25] op_sel_hi:[1,0,1]
	v_pk_fma_f32 v[18:19], v[30:31], v[32:33], v[18:19] op_sel_hi:[1,0,1]
	s_cbranch_vccz .LBB165_15
.LBB165_9:                              ;   Parent Loop BB165_6 Depth=1
                                        ; =>  This Inner Loop Header: Depth=2
	v_mov_b32_e32 v28, 0
	s_and_saveexec_b32 s18, s0
	s_cbranch_execz .LBB165_13
; %bb.10:                               ;   in Loop: Header=BB165_9 Depth=2
	v_dual_add_nc_u32 v16, s2, v2 :: v_dual_mov_b32 v28, 0
	s_mov_b32 s19, exec_lo
	s_delay_alu instid0(VALU_DEP_1)
	v_cmpx_gt_u64_e64 s[20:21], v[16:17]
	s_cbranch_execz .LBB165_12
; %bb.11:                               ;   in Loop: Header=BB165_9 Depth=2
	v_lshl_add_u64 v[28:29], v[16:17], 2, v[20:21]
	global_load_b32 v28, v[28:29], off
.LBB165_12:                             ;   in Loop: Header=BB165_9 Depth=2
	s_wait_xcnt 0x0
	s_or_b32 exec_lo, exec_lo, s19
.LBB165_13:                             ;   in Loop: Header=BB165_9 Depth=2
	s_delay_alu instid0(SALU_CYCLE_1)
	s_or_b32 exec_lo, exec_lo, s18
	v_dual_mov_b32 v29, 0 :: v_dual_add_nc_u32 v16, s2, v0
	s_wait_loadcnt 0x0
	ds_store_b32 v3, v28
	v_cmp_gt_u64_e32 vcc_lo, s[20:21], v[16:17]
	s_and_b32 s19, vcc_lo, s1
	s_delay_alu instid0(SALU_CYCLE_1)
	s_and_saveexec_b32 s18, s19
	s_cbranch_execz .LBB165_8
; %bb.14:                               ;   in Loop: Header=BB165_9 Depth=2
	v_lshl_add_u64 v[28:29], v[16:17], 2, v[22:23]
	global_load_b32 v29, v[28:29], off
	s_branch .LBB165_8
.LBB165_15:                             ;   in Loop: Header=BB165_6 Depth=1
	s_wait_kmcnt 0x0
	s_mul_u64 s[2:3], s[6:7], s[24:25]
	s_delay_alu instid0(SALU_CYCLE_1) | instskip(NEXT) | instid1(SALU_CYCLE_1)
	s_lshl_b64 s[2:3], s[2:3], 2
	s_add_nc_u64 s[2:3], s[16:17], s[2:3]
	s_delay_alu instid0(SALU_CYCLE_1)
	v_lshl_add_u64 v[20:21], v[4:5], 2, s[2:3]
	s_and_saveexec_b32 s18, s11
	s_cbranch_execz .LBB165_19
; %bb.16:                               ;   in Loop: Header=BB165_6 Depth=1
	v_mul_f32_e32 v16, s22, v24
	s_delay_alu instid0(VALU_DEP_2)
	v_lshl_add_u64 v[22:23], v[8:9], 2, v[20:21]
	s_and_b32 vcc_lo, exec_lo, s10
	s_cbranch_vccz .LBB165_30
; %bb.17:                               ;   in Loop: Header=BB165_6 Depth=1
	global_load_b32 v24, v[22:23], off
	s_wait_loadcnt 0x0
	v_fma_f32 v24, s23, v24, v16
	global_store_b32 v[22:23], v24, off
	s_cbranch_execnz .LBB165_19
.LBB165_18:                             ;   in Loop: Header=BB165_6 Depth=1
	global_store_b32 v[22:23], v16, off
.LBB165_19:                             ;   in Loop: Header=BB165_6 Depth=1
	s_wait_xcnt 0x0
	s_or_b32 exec_lo, exec_lo, s18
	s_and_saveexec_b32 s18, s13
	s_cbranch_execz .LBB165_23
; %bb.20:                               ;   in Loop: Header=BB165_6 Depth=1
	v_mul_f32_e32 v16, s22, v25
	v_lshl_add_u64 v[20:21], v[10:11], 2, v[20:21]
	s_and_not1_b32 vcc_lo, exec_lo, s10
	s_cbranch_vccnz .LBB165_31
; %bb.21:                               ;   in Loop: Header=BB165_6 Depth=1
	global_load_b32 v22, v[20:21], off
	s_wait_loadcnt 0x0
	v_fma_f32 v22, s23, v22, v16
	global_store_b32 v[20:21], v22, off
	s_cbranch_execnz .LBB165_23
.LBB165_22:                             ;   in Loop: Header=BB165_6 Depth=1
	global_store_b32 v[20:21], v16, off
.LBB165_23:                             ;   in Loop: Header=BB165_6 Depth=1
	s_wait_xcnt 0x0
	s_or_b32 exec_lo, exec_lo, s18
	v_lshl_add_u64 v[20:21], v[6:7], 2, s[2:3]
	s_and_saveexec_b32 s2, s4
	s_cbranch_execz .LBB165_27
; %bb.24:                               ;   in Loop: Header=BB165_6 Depth=1
	v_mul_f32_e32 v16, s22, v18
	s_delay_alu instid0(VALU_DEP_2)
	v_lshl_add_u64 v[22:23], v[8:9], 2, v[20:21]
	s_and_not1_b32 vcc_lo, exec_lo, s10
	s_cbranch_vccnz .LBB165_32
; %bb.25:                               ;   in Loop: Header=BB165_6 Depth=1
	global_load_b32 v18, v[22:23], off
	s_wait_loadcnt 0x0
	v_fma_f32 v18, s23, v18, v16
	global_store_b32 v[22:23], v18, off
	s_cbranch_execnz .LBB165_27
.LBB165_26:                             ;   in Loop: Header=BB165_6 Depth=1
	global_store_b32 v[22:23], v16, off
.LBB165_27:                             ;   in Loop: Header=BB165_6 Depth=1
	s_wait_xcnt 0x0
	s_or_b32 exec_lo, exec_lo, s2
	s_and_saveexec_b32 s2, s5
	s_cbranch_execz .LBB165_5
; %bb.28:                               ;   in Loop: Header=BB165_6 Depth=1
	v_mul_f32_e32 v16, s22, v19
	v_lshl_add_u64 v[18:19], v[10:11], 2, v[20:21]
	s_and_not1_b32 vcc_lo, exec_lo, s10
	s_cbranch_vccnz .LBB165_33
; %bb.29:                               ;   in Loop: Header=BB165_6 Depth=1
	global_load_b32 v20, v[18:19], off
	s_wait_loadcnt 0x0
	v_fma_f32 v20, s23, v20, v16
	global_store_b32 v[18:19], v20, off
	s_cbranch_execnz .LBB165_5
	s_branch .LBB165_34
.LBB165_30:                             ;   in Loop: Header=BB165_6 Depth=1
	s_branch .LBB165_18
.LBB165_31:                             ;   in Loop: Header=BB165_6 Depth=1
	s_branch .LBB165_22
.LBB165_32:                             ;   in Loop: Header=BB165_6 Depth=1
	s_branch .LBB165_26
.LBB165_33:                             ;   in Loop: Header=BB165_6 Depth=1
.LBB165_34:                             ;   in Loop: Header=BB165_6 Depth=1
	global_store_b32 v[18:19], v16, off
	s_branch .LBB165_5
.LBB165_35:
	s_endpgm
	.section	.rodata,"a",@progbits
	.p2align	6, 0x0
	.amdhsa_kernel _ZL29rocblas_internal_gemmt_kernelIlLi16ELi32ELi8ELc84ELc78ELc85ELb0ELb0EffPKfPfEviT_T9_T10_S3_lS5_S3_lS4_T11_S3_li
		.amdhsa_group_segment_fixed_size 2048
		.amdhsa_private_segment_fixed_size 0
		.amdhsa_kernarg_size 108
		.amdhsa_user_sgpr_count 2
		.amdhsa_user_sgpr_dispatch_ptr 0
		.amdhsa_user_sgpr_queue_ptr 0
		.amdhsa_user_sgpr_kernarg_segment_ptr 1
		.amdhsa_user_sgpr_dispatch_id 0
		.amdhsa_user_sgpr_kernarg_preload_length 0
		.amdhsa_user_sgpr_kernarg_preload_offset 0
		.amdhsa_user_sgpr_private_segment_size 0
		.amdhsa_wavefront_size32 1
		.amdhsa_uses_dynamic_stack 0
		.amdhsa_enable_private_segment 0
		.amdhsa_system_sgpr_workgroup_id_x 1
		.amdhsa_system_sgpr_workgroup_id_y 1
		.amdhsa_system_sgpr_workgroup_id_z 1
		.amdhsa_system_sgpr_workgroup_info 0
		.amdhsa_system_vgpr_workitem_id 1
		.amdhsa_next_free_vgpr 54
		.amdhsa_next_free_sgpr 27
		.amdhsa_named_barrier_count 0
		.amdhsa_reserve_vcc 1
		.amdhsa_float_round_mode_32 0
		.amdhsa_float_round_mode_16_64 0
		.amdhsa_float_denorm_mode_32 3
		.amdhsa_float_denorm_mode_16_64 3
		.amdhsa_fp16_overflow 0
		.amdhsa_memory_ordered 1
		.amdhsa_forward_progress 1
		.amdhsa_inst_pref_size 13
		.amdhsa_round_robin_scheduling 0
		.amdhsa_exception_fp_ieee_invalid_op 0
		.amdhsa_exception_fp_denorm_src 0
		.amdhsa_exception_fp_ieee_div_zero 0
		.amdhsa_exception_fp_ieee_overflow 0
		.amdhsa_exception_fp_ieee_underflow 0
		.amdhsa_exception_fp_ieee_inexact 0
		.amdhsa_exception_int_div_zero 0
	.end_amdhsa_kernel
	.section	.text._ZL29rocblas_internal_gemmt_kernelIlLi16ELi32ELi8ELc84ELc78ELc85ELb0ELb0EffPKfPfEviT_T9_T10_S3_lS5_S3_lS4_T11_S3_li,"axG",@progbits,_ZL29rocblas_internal_gemmt_kernelIlLi16ELi32ELi8ELc84ELc78ELc85ELb0ELb0EffPKfPfEviT_T9_T10_S3_lS5_S3_lS4_T11_S3_li,comdat
.Lfunc_end165:
	.size	_ZL29rocblas_internal_gemmt_kernelIlLi16ELi32ELi8ELc84ELc78ELc85ELb0ELb0EffPKfPfEviT_T9_T10_S3_lS5_S3_lS4_T11_S3_li, .Lfunc_end165-_ZL29rocblas_internal_gemmt_kernelIlLi16ELi32ELi8ELc84ELc78ELc85ELb0ELb0EffPKfPfEviT_T9_T10_S3_lS5_S3_lS4_T11_S3_li
                                        ; -- End function
	.set _ZL29rocblas_internal_gemmt_kernelIlLi16ELi32ELi8ELc84ELc78ELc85ELb0ELb0EffPKfPfEviT_T9_T10_S3_lS5_S3_lS4_T11_S3_li.num_vgpr, 54
	.set _ZL29rocblas_internal_gemmt_kernelIlLi16ELi32ELi8ELc84ELc78ELc85ELb0ELb0EffPKfPfEviT_T9_T10_S3_lS5_S3_lS4_T11_S3_li.num_agpr, 0
	.set _ZL29rocblas_internal_gemmt_kernelIlLi16ELi32ELi8ELc84ELc78ELc85ELb0ELb0EffPKfPfEviT_T9_T10_S3_lS5_S3_lS4_T11_S3_li.numbered_sgpr, 27
	.set _ZL29rocblas_internal_gemmt_kernelIlLi16ELi32ELi8ELc84ELc78ELc85ELb0ELb0EffPKfPfEviT_T9_T10_S3_lS5_S3_lS4_T11_S3_li.num_named_barrier, 0
	.set _ZL29rocblas_internal_gemmt_kernelIlLi16ELi32ELi8ELc84ELc78ELc85ELb0ELb0EffPKfPfEviT_T9_T10_S3_lS5_S3_lS4_T11_S3_li.private_seg_size, 0
	.set _ZL29rocblas_internal_gemmt_kernelIlLi16ELi32ELi8ELc84ELc78ELc85ELb0ELb0EffPKfPfEviT_T9_T10_S3_lS5_S3_lS4_T11_S3_li.uses_vcc, 1
	.set _ZL29rocblas_internal_gemmt_kernelIlLi16ELi32ELi8ELc84ELc78ELc85ELb0ELb0EffPKfPfEviT_T9_T10_S3_lS5_S3_lS4_T11_S3_li.uses_flat_scratch, 0
	.set _ZL29rocblas_internal_gemmt_kernelIlLi16ELi32ELi8ELc84ELc78ELc85ELb0ELb0EffPKfPfEviT_T9_T10_S3_lS5_S3_lS4_T11_S3_li.has_dyn_sized_stack, 0
	.set _ZL29rocblas_internal_gemmt_kernelIlLi16ELi32ELi8ELc84ELc78ELc85ELb0ELb0EffPKfPfEviT_T9_T10_S3_lS5_S3_lS4_T11_S3_li.has_recursion, 0
	.set _ZL29rocblas_internal_gemmt_kernelIlLi16ELi32ELi8ELc84ELc78ELc85ELb0ELb0EffPKfPfEviT_T9_T10_S3_lS5_S3_lS4_T11_S3_li.has_indirect_call, 0
	.section	.AMDGPU.csdata,"",@progbits
; Kernel info:
; codeLenInByte = 1604
; TotalNumSgprs: 29
; NumVgprs: 54
; ScratchSize: 0
; MemoryBound: 0
; FloatMode: 240
; IeeeMode: 1
; LDSByteSize: 2048 bytes/workgroup (compile time only)
; SGPRBlocks: 0
; VGPRBlocks: 3
; NumSGPRsForWavesPerEU: 29
; NumVGPRsForWavesPerEU: 54
; NamedBarCnt: 0
; Occupancy: 16
; WaveLimiterHint : 0
; COMPUTE_PGM_RSRC2:SCRATCH_EN: 0
; COMPUTE_PGM_RSRC2:USER_SGPR: 2
; COMPUTE_PGM_RSRC2:TRAP_HANDLER: 0
; COMPUTE_PGM_RSRC2:TGID_X_EN: 1
; COMPUTE_PGM_RSRC2:TGID_Y_EN: 1
; COMPUTE_PGM_RSRC2:TGID_Z_EN: 1
; COMPUTE_PGM_RSRC2:TIDIG_COMP_CNT: 1
	.section	.text._ZL29rocblas_internal_gemmt_kernelIlLi16ELi32ELi8ELc84ELc84ELc85ELb0ELb0EffPKfPfEviT_T9_T10_S3_lS5_S3_lS4_T11_S3_li,"axG",@progbits,_ZL29rocblas_internal_gemmt_kernelIlLi16ELi32ELi8ELc84ELc84ELc85ELb0ELb0EffPKfPfEviT_T9_T10_S3_lS5_S3_lS4_T11_S3_li,comdat
	.globl	_ZL29rocblas_internal_gemmt_kernelIlLi16ELi32ELi8ELc84ELc84ELc85ELb0ELb0EffPKfPfEviT_T9_T10_S3_lS5_S3_lS4_T11_S3_li ; -- Begin function _ZL29rocblas_internal_gemmt_kernelIlLi16ELi32ELi8ELc84ELc84ELc85ELb0ELb0EffPKfPfEviT_T9_T10_S3_lS5_S3_lS4_T11_S3_li
	.p2align	8
	.type	_ZL29rocblas_internal_gemmt_kernelIlLi16ELi32ELi8ELc84ELc84ELc85ELb0ELb0EffPKfPfEviT_T9_T10_S3_lS5_S3_lS4_T11_S3_li,@function
_ZL29rocblas_internal_gemmt_kernelIlLi16ELi32ELi8ELc84ELc84ELc85ELb0ELb0EffPKfPfEviT_T9_T10_S3_lS5_S3_lS4_T11_S3_li: ; @_ZL29rocblas_internal_gemmt_kernelIlLi16ELi32ELi8ELc84ELc84ELc85ELb0ELb0EffPKfPfEviT_T9_T10_S3_lS5_S3_lS4_T11_S3_li
; %bb.0:
	s_clause 0x1
	s_load_b32 s23, s[0:1], 0x48
	s_load_b96 s[20:22], s[0:1], 0x8
	s_wait_kmcnt 0x0
	s_cmp_neq_f32 s23, 1.0
	s_cselect_b32 s2, -1, 0
	s_delay_alu instid0(SALU_CYCLE_1)
	s_and_b32 vcc_lo, exec_lo, s2
	s_cbranch_vccnz .LBB166_2
; %bb.1:
	s_cmp_lg_u64 s[20:21], 0
	s_cselect_b32 s2, -1, 0
	s_cmp_neq_f32 s22, 0
	s_cselect_b32 s3, -1, 0
	s_delay_alu instid0(SALU_CYCLE_1)
	s_and_b32 s2, s2, s3
.LBB166_2:
	s_delay_alu instid0(SALU_CYCLE_1)
	s_and_not1_b32 vcc_lo, exec_lo, s2
	s_cbranch_vccnz .LBB166_35
; %bb.3:
	s_load_b32 s26, s[0:1], 0x68
	s_bfe_u32 s2, ttmp6, 0x40014
	s_lshr_b32 s3, ttmp7, 16
	s_add_co_i32 s2, s2, 1
	s_bfe_u32 s5, ttmp6, 0x40008
	s_mul_i32 s4, s3, s2
	s_getreg_b32 s2, hwreg(HW_REG_IB_STS2, 6, 4)
	s_add_co_i32 s5, s5, s4
	s_cmp_eq_u32 s2, 0
	s_mov_b32 s25, 0
	s_cselect_b32 s24, s3, s5
	s_wait_kmcnt 0x0
	s_cmp_ge_u32 s24, s26
	s_cbranch_scc1 .LBB166_35
; %bb.4:
	s_bfe_u32 s12, ttmp6, 0x4000c
	s_bfe_u32 s13, ttmp6, 0x40010
	v_and_b32_e32 v8, 0x3ff, v0
	v_bfe_u32 v2, v0, 10, 10
	s_add_co_i32 s12, s12, 1
	s_and_b32 s14, ttmp7, 0xffff
	s_add_co_i32 s13, s13, 1
	s_and_b32 s3, ttmp6, 15
	s_mul_i32 s12, ttmp9, s12
	s_mul_i32 s13, s14, s13
	s_bfe_u32 s15, ttmp6, 0x40004
	s_load_b256 s[4:11], s[0:1], 0x18
	v_lshl_add_u32 v4, v2, 4, v8
	s_add_co_i32 s3, s3, s12
	s_add_co_i32 s15, s15, s13
	s_cmp_eq_u32 s2, 0
	v_lshl_add_u32 v3, v2, 5, 0x400
	s_cselect_b32 s2, ttmp9, s3
	s_cselect_b32 s3, s14, s15
	s_lshl_b32 s2, s2, 5
	s_lshl_b32 s3, s3, 5
	s_delay_alu instid0(SALU_CYCLE_1)
	v_dual_add_nc_u32 v16, s3, v2 :: v_dual_bitop2_b32 v9, 31, v4 bitop3:0x40
	s_clause 0x1
	s_load_b128 s[12:15], s[0:1], 0x50
	s_load_b128 s[16:19], s[0:1], 0x38
	v_dual_lshrrev_b32 v2, 5, v4 :: v_dual_lshrrev_b32 v11, 3, v4
	v_dual_add_nc_u32 v18, 16, v16 :: v_dual_bitop2_b32 v12, s2, v9 bitop3:0x54
	v_and_b32_e32 v0, 7, v0
	v_dual_lshlrev_b32 v1, 2, v8 :: v_dual_add_nc_u32 v8, s2, v8
	s_delay_alu instid0(VALU_DEP_3) | instskip(NEXT) | instid1(VALU_DEP_3)
	v_dual_ashrrev_i32 v13, 31, v12 :: v_dual_ashrrev_i32 v19, 31, v18
	v_dual_add_nc_u32 v20, s3, v11 :: v_dual_lshlrev_b32 v10, 2, v0
	v_lshlrev_b32_e32 v9, 2, v9
	s_wait_kmcnt 0x0
	s_delay_alu instid0(VALU_DEP_3)
	v_mul_u64_e32 v[14:15], s[6:7], v[12:13]
	s_clause 0x1
	s_load_b32 s27, s[0:1], 0x0
	s_load_b64 s[6:7], s[0:1], 0x60
	s_cmp_neq_f32 s22, 0
	v_lshl_or_b32 v11, v11, 5, v10
	v_add_nc_u32_e32 v10, 16, v8
	v_lshl_or_b32 v26, v2, 7, v9
	v_ashrrev_i32_e32 v9, 31, v8
	v_ashrrev_i32_e32 v17, 31, v16
	v_mul_u64_e32 v[6:7], s[14:15], v[18:19]
	v_add_nc_u32_e32 v27, 0x400, v11
	v_ashrrev_i32_e32 v11, 31, v10
	v_cmp_le_i32_e32 vcc_lo, v8, v16
	v_mul_u64_e32 v[4:5], s[14:15], v[16:17]
	v_dual_ashrrev_i32 v21, 31, v20 :: v_dual_mov_b32 v17, 0
	s_cselect_b32 s14, -1, 0
	s_cmp_neq_f32 s23, 0
	v_cmp_gt_i64_e64 s28, s[20:21], 0
	s_wait_kmcnt 0x0
	v_cmp_gt_i32_e64 s2, s27, v16
	v_cmp_gt_i32_e64 s0, s27, v12
	v_lshl_add_u64 v[12:13], v[20:21], 2, s[10:11]
	s_cselect_b32 s10, -1, 0
	v_cmp_gt_i32_e64 s3, s27, v18
	s_and_b32 s11, s2, vcc_lo
	v_cmp_le_i32_e32 vcc_lo, v10, v16
	v_cmp_gt_i32_e64 s1, s27, v20
	s_and_b32 s14, s14, s28
	s_and_b32 s15, s2, vcc_lo
	v_lshl_add_u64 v[14:15], v[14:15], 2, s[4:5]
	v_cmp_le_i32_e64 s4, v8, v18
	v_cmp_le_i32_e64 s5, v10, v18
	s_and_b32 s4, s3, s4
	s_and_b32 s5, s3, s5
	s_branch .LBB166_6
.LBB166_5:                              ;   in Loop: Header=BB166_6 Depth=1
	s_wait_xcnt 0x0
	s_or_b32 exec_lo, exec_lo, s2
	s_add_co_i32 s24, s24, 0x10000
	s_delay_alu instid0(SALU_CYCLE_1)
	s_cmp_lt_u32 s24, s26
	s_cbranch_scc0 .LBB166_35
.LBB166_6:                              ; =>This Loop Header: Depth=1
                                        ;     Child Loop BB166_9 Depth 2
	v_dual_mov_b32 v25, v17 :: v_dual_mov_b32 v24, v17
	v_dual_mov_b32 v19, v17 :: v_dual_mov_b32 v18, v17
	s_and_not1_b32 vcc_lo, exec_lo, s14
	s_cbranch_vccnz .LBB166_15
; %bb.7:                                ;   in Loop: Header=BB166_6 Depth=1
	v_mov_b32_e32 v18, 0
	s_mul_u64 s[2:3], s[8:9], s[24:25]
	s_mul_u64 s[28:29], s[18:19], s[24:25]
	v_lshl_add_u64 v[20:21], s[2:3], 2, v[14:15]
	v_lshl_add_u64 v[22:23], s[28:29], 2, v[12:13]
	v_dual_mov_b32 v19, v18 :: v_dual_mov_b32 v24, v18
	v_mov_b32_e32 v25, v18
	s_mov_b64 s[2:3], 0
	s_branch .LBB166_9
.LBB166_8:                              ;   in Loop: Header=BB166_9 Depth=2
	s_wait_xcnt 0x0
	s_or_b32 exec_lo, exec_lo, s27
	s_wait_loadcnt 0x0
	ds_store_b32 v27, v29
	s_wait_dscnt 0x0
	s_barrier_signal -1
	s_barrier_wait -1
	ds_load_b128 v[28:31], v3
	ds_load_2addr_b32 v[44:45], v1 offset1:16
	ds_load_b128 v[32:35], v3 offset:512
	ds_load_2addr_b32 v[46:47], v1 offset0:32 offset1:48
	ds_load_2addr_b32 v[48:49], v1 offset0:64 offset1:80
	;; [unrolled: 1-line block ×3, first 2 shown]
	ds_load_b128 v[36:39], v3 offset:16
	ds_load_2addr_b32 v[52:53], v1 offset0:128 offset1:144
	ds_load_b128 v[40:43], v3 offset:528
	s_add_nc_u64 s[2:3], s[2:3], 8
	s_delay_alu instid0(SALU_CYCLE_1)
	v_cmp_gt_i64_e64 s27, s[20:21], s[2:3]
	s_and_b32 vcc_lo, exec_lo, s27
	s_wait_dscnt 0x8
	v_mov_b32_e32 v16, v31
	s_wait_dscnt 0x7
	v_pk_fma_f32 v[24:25], v[44:45], v[28:29], v[24:25] op_sel_hi:[1,0,1]
	s_wait_dscnt 0x6
	v_pk_fma_f32 v[18:19], v[44:45], v[32:33], v[18:19] op_sel_hi:[1,0,1]
	ds_load_2addr_b32 v[44:45], v1 offset0:160 offset1:176
	s_wait_dscnt 0x6
	v_pk_fma_f32 v[24:25], v[46:47], v[28:29], v[24:25] op_sel:[0,1,0]
	v_pk_fma_f32 v[18:19], v[46:47], v[32:33], v[18:19] op_sel:[0,1,0]
	ds_load_2addr_b32 v[28:29], v1 offset0:192 offset1:208
	v_mov_b32_e32 v32, v35
	s_wait_dscnt 0x6
	v_pk_fma_f32 v[24:25], v[48:49], v[30:31], v[24:25] op_sel_hi:[1,0,1]
	v_pk_fma_f32 v[18:19], v[48:49], v[34:35], v[18:19] op_sel_hi:[1,0,1]
	ds_load_2addr_b32 v[30:31], v1 offset0:224 offset1:240
	s_wait_dscnt 0x0
	s_barrier_signal -1
	v_pk_fma_f32 v[24:25], v[50:51], v[16:17], v[24:25] op_sel_hi:[1,0,1]
	v_pk_fma_f32 v[18:19], v[50:51], v[32:33], v[18:19] op_sel_hi:[1,0,1]
	v_dual_mov_b32 v16, v39 :: v_dual_mov_b32 v32, v43
	s_barrier_wait -1
	s_delay_alu instid0(VALU_DEP_3) | instskip(NEXT) | instid1(VALU_DEP_3)
	v_pk_fma_f32 v[24:25], v[52:53], v[36:37], v[24:25] op_sel_hi:[1,0,1]
	v_pk_fma_f32 v[18:19], v[52:53], v[40:41], v[18:19] op_sel_hi:[1,0,1]
	s_delay_alu instid0(VALU_DEP_2) | instskip(NEXT) | instid1(VALU_DEP_2)
	v_pk_fma_f32 v[24:25], v[44:45], v[36:37], v[24:25] op_sel:[0,1,0]
	v_pk_fma_f32 v[18:19], v[44:45], v[40:41], v[18:19] op_sel:[0,1,0]
	s_delay_alu instid0(VALU_DEP_2) | instskip(NEXT) | instid1(VALU_DEP_2)
	v_pk_fma_f32 v[24:25], v[28:29], v[38:39], v[24:25] op_sel_hi:[1,0,1]
	v_pk_fma_f32 v[18:19], v[28:29], v[42:43], v[18:19] op_sel_hi:[1,0,1]
	s_delay_alu instid0(VALU_DEP_2) | instskip(NEXT) | instid1(VALU_DEP_2)
	v_pk_fma_f32 v[24:25], v[30:31], v[16:17], v[24:25] op_sel_hi:[1,0,1]
	v_pk_fma_f32 v[18:19], v[30:31], v[32:33], v[18:19] op_sel_hi:[1,0,1]
	s_cbranch_vccz .LBB166_15
.LBB166_9:                              ;   Parent Loop BB166_6 Depth=1
                                        ; =>  This Inner Loop Header: Depth=2
	v_mov_b32_e32 v28, 0
	s_and_saveexec_b32 s27, s0
	s_cbranch_execz .LBB166_13
; %bb.10:                               ;   in Loop: Header=BB166_9 Depth=2
	v_dual_add_nc_u32 v16, s2, v2 :: v_dual_mov_b32 v28, 0
	s_mov_b32 s28, exec_lo
	s_delay_alu instid0(VALU_DEP_1)
	v_cmpx_gt_u64_e64 s[20:21], v[16:17]
	s_cbranch_execz .LBB166_12
; %bb.11:                               ;   in Loop: Header=BB166_9 Depth=2
	v_lshl_add_u64 v[28:29], v[16:17], 2, v[20:21]
	global_load_b32 v28, v[28:29], off
.LBB166_12:                             ;   in Loop: Header=BB166_9 Depth=2
	s_wait_xcnt 0x0
	s_or_b32 exec_lo, exec_lo, s28
.LBB166_13:                             ;   in Loop: Header=BB166_9 Depth=2
	s_delay_alu instid0(SALU_CYCLE_1)
	s_or_b32 exec_lo, exec_lo, s27
	v_dual_mov_b32 v29, 0 :: v_dual_add_nc_u32 v16, s2, v0
	s_wait_loadcnt 0x0
	ds_store_b32 v26, v28
	v_cmp_gt_u64_e32 vcc_lo, s[20:21], v[16:17]
	s_and_b32 s28, vcc_lo, s1
	s_delay_alu instid0(SALU_CYCLE_1)
	s_and_saveexec_b32 s27, s28
	s_cbranch_execz .LBB166_8
; %bb.14:                               ;   in Loop: Header=BB166_9 Depth=2
	v_mul_u64_e32 v[28:29], s[16:17], v[16:17]
	s_delay_alu instid0(VALU_DEP_1)
	v_lshl_add_u64 v[28:29], v[28:29], 2, v[22:23]
	global_load_b32 v29, v[28:29], off
	s_branch .LBB166_8
.LBB166_15:                             ;   in Loop: Header=BB166_6 Depth=1
	s_mul_u64 s[2:3], s[6:7], s[24:25]
	s_delay_alu instid0(SALU_CYCLE_1) | instskip(NEXT) | instid1(SALU_CYCLE_1)
	s_lshl_b64 s[2:3], s[2:3], 2
	s_add_nc_u64 s[2:3], s[12:13], s[2:3]
	s_delay_alu instid0(SALU_CYCLE_1)
	v_lshl_add_u64 v[20:21], v[4:5], 2, s[2:3]
	s_and_saveexec_b32 s27, s11
	s_cbranch_execz .LBB166_19
; %bb.16:                               ;   in Loop: Header=BB166_6 Depth=1
	v_mul_f32_e32 v16, s22, v24
	s_delay_alu instid0(VALU_DEP_2)
	v_lshl_add_u64 v[22:23], v[8:9], 2, v[20:21]
	s_and_b32 vcc_lo, exec_lo, s10
	s_cbranch_vccz .LBB166_30
; %bb.17:                               ;   in Loop: Header=BB166_6 Depth=1
	global_load_b32 v24, v[22:23], off
	s_wait_loadcnt 0x0
	v_fma_f32 v24, s23, v24, v16
	global_store_b32 v[22:23], v24, off
	s_cbranch_execnz .LBB166_19
.LBB166_18:                             ;   in Loop: Header=BB166_6 Depth=1
	global_store_b32 v[22:23], v16, off
.LBB166_19:                             ;   in Loop: Header=BB166_6 Depth=1
	s_wait_xcnt 0x0
	s_or_b32 exec_lo, exec_lo, s27
	s_and_saveexec_b32 s27, s15
	s_cbranch_execz .LBB166_23
; %bb.20:                               ;   in Loop: Header=BB166_6 Depth=1
	v_mul_f32_e32 v16, s22, v25
	v_lshl_add_u64 v[20:21], v[10:11], 2, v[20:21]
	s_and_not1_b32 vcc_lo, exec_lo, s10
	s_cbranch_vccnz .LBB166_31
; %bb.21:                               ;   in Loop: Header=BB166_6 Depth=1
	global_load_b32 v22, v[20:21], off
	s_wait_loadcnt 0x0
	v_fma_f32 v22, s23, v22, v16
	global_store_b32 v[20:21], v22, off
	s_cbranch_execnz .LBB166_23
.LBB166_22:                             ;   in Loop: Header=BB166_6 Depth=1
	global_store_b32 v[20:21], v16, off
.LBB166_23:                             ;   in Loop: Header=BB166_6 Depth=1
	s_wait_xcnt 0x0
	s_or_b32 exec_lo, exec_lo, s27
	v_lshl_add_u64 v[20:21], v[6:7], 2, s[2:3]
	s_and_saveexec_b32 s2, s4
	s_cbranch_execz .LBB166_27
; %bb.24:                               ;   in Loop: Header=BB166_6 Depth=1
	v_mul_f32_e32 v16, s22, v18
	s_delay_alu instid0(VALU_DEP_2)
	v_lshl_add_u64 v[22:23], v[8:9], 2, v[20:21]
	s_and_not1_b32 vcc_lo, exec_lo, s10
	s_cbranch_vccnz .LBB166_32
; %bb.25:                               ;   in Loop: Header=BB166_6 Depth=1
	global_load_b32 v18, v[22:23], off
	s_wait_loadcnt 0x0
	v_fma_f32 v18, s23, v18, v16
	global_store_b32 v[22:23], v18, off
	s_cbranch_execnz .LBB166_27
.LBB166_26:                             ;   in Loop: Header=BB166_6 Depth=1
	global_store_b32 v[22:23], v16, off
.LBB166_27:                             ;   in Loop: Header=BB166_6 Depth=1
	s_wait_xcnt 0x0
	s_or_b32 exec_lo, exec_lo, s2
	s_and_saveexec_b32 s2, s5
	s_cbranch_execz .LBB166_5
; %bb.28:                               ;   in Loop: Header=BB166_6 Depth=1
	v_mul_f32_e32 v16, s22, v19
	v_lshl_add_u64 v[18:19], v[10:11], 2, v[20:21]
	s_and_not1_b32 vcc_lo, exec_lo, s10
	s_cbranch_vccnz .LBB166_33
; %bb.29:                               ;   in Loop: Header=BB166_6 Depth=1
	global_load_b32 v20, v[18:19], off
	s_wait_loadcnt 0x0
	v_fma_f32 v20, s23, v20, v16
	global_store_b32 v[18:19], v20, off
	s_cbranch_execnz .LBB166_5
	s_branch .LBB166_34
.LBB166_30:                             ;   in Loop: Header=BB166_6 Depth=1
	s_branch .LBB166_18
.LBB166_31:                             ;   in Loop: Header=BB166_6 Depth=1
	s_branch .LBB166_22
.LBB166_32:                             ;   in Loop: Header=BB166_6 Depth=1
	s_branch .LBB166_26
.LBB166_33:                             ;   in Loop: Header=BB166_6 Depth=1
.LBB166_34:                             ;   in Loop: Header=BB166_6 Depth=1
	global_store_b32 v[18:19], v16, off
	s_branch .LBB166_5
.LBB166_35:
	s_endpgm
	.section	.rodata,"a",@progbits
	.p2align	6, 0x0
	.amdhsa_kernel _ZL29rocblas_internal_gemmt_kernelIlLi16ELi32ELi8ELc84ELc84ELc85ELb0ELb0EffPKfPfEviT_T9_T10_S3_lS5_S3_lS4_T11_S3_li
		.amdhsa_group_segment_fixed_size 2048
		.amdhsa_private_segment_fixed_size 0
		.amdhsa_kernarg_size 108
		.amdhsa_user_sgpr_count 2
		.amdhsa_user_sgpr_dispatch_ptr 0
		.amdhsa_user_sgpr_queue_ptr 0
		.amdhsa_user_sgpr_kernarg_segment_ptr 1
		.amdhsa_user_sgpr_dispatch_id 0
		.amdhsa_user_sgpr_kernarg_preload_length 0
		.amdhsa_user_sgpr_kernarg_preload_offset 0
		.amdhsa_user_sgpr_private_segment_size 0
		.amdhsa_wavefront_size32 1
		.amdhsa_uses_dynamic_stack 0
		.amdhsa_enable_private_segment 0
		.amdhsa_system_sgpr_workgroup_id_x 1
		.amdhsa_system_sgpr_workgroup_id_y 1
		.amdhsa_system_sgpr_workgroup_id_z 1
		.amdhsa_system_sgpr_workgroup_info 0
		.amdhsa_system_vgpr_workitem_id 1
		.amdhsa_next_free_vgpr 54
		.amdhsa_next_free_sgpr 30
		.amdhsa_named_barrier_count 0
		.amdhsa_reserve_vcc 1
		.amdhsa_float_round_mode_32 0
		.amdhsa_float_round_mode_16_64 0
		.amdhsa_float_denorm_mode_32 3
		.amdhsa_float_denorm_mode_16_64 3
		.amdhsa_fp16_overflow 0
		.amdhsa_memory_ordered 1
		.amdhsa_forward_progress 1
		.amdhsa_inst_pref_size 13
		.amdhsa_round_robin_scheduling 0
		.amdhsa_exception_fp_ieee_invalid_op 0
		.amdhsa_exception_fp_denorm_src 0
		.amdhsa_exception_fp_ieee_div_zero 0
		.amdhsa_exception_fp_ieee_overflow 0
		.amdhsa_exception_fp_ieee_underflow 0
		.amdhsa_exception_fp_ieee_inexact 0
		.amdhsa_exception_int_div_zero 0
	.end_amdhsa_kernel
	.section	.text._ZL29rocblas_internal_gemmt_kernelIlLi16ELi32ELi8ELc84ELc84ELc85ELb0ELb0EffPKfPfEviT_T9_T10_S3_lS5_S3_lS4_T11_S3_li,"axG",@progbits,_ZL29rocblas_internal_gemmt_kernelIlLi16ELi32ELi8ELc84ELc84ELc85ELb0ELb0EffPKfPfEviT_T9_T10_S3_lS5_S3_lS4_T11_S3_li,comdat
.Lfunc_end166:
	.size	_ZL29rocblas_internal_gemmt_kernelIlLi16ELi32ELi8ELc84ELc84ELc85ELb0ELb0EffPKfPfEviT_T9_T10_S3_lS5_S3_lS4_T11_S3_li, .Lfunc_end166-_ZL29rocblas_internal_gemmt_kernelIlLi16ELi32ELi8ELc84ELc84ELc85ELb0ELb0EffPKfPfEviT_T9_T10_S3_lS5_S3_lS4_T11_S3_li
                                        ; -- End function
	.set _ZL29rocblas_internal_gemmt_kernelIlLi16ELi32ELi8ELc84ELc84ELc85ELb0ELb0EffPKfPfEviT_T9_T10_S3_lS5_S3_lS4_T11_S3_li.num_vgpr, 54
	.set _ZL29rocblas_internal_gemmt_kernelIlLi16ELi32ELi8ELc84ELc84ELc85ELb0ELb0EffPKfPfEviT_T9_T10_S3_lS5_S3_lS4_T11_S3_li.num_agpr, 0
	.set _ZL29rocblas_internal_gemmt_kernelIlLi16ELi32ELi8ELc84ELc84ELc85ELb0ELb0EffPKfPfEviT_T9_T10_S3_lS5_S3_lS4_T11_S3_li.numbered_sgpr, 30
	.set _ZL29rocblas_internal_gemmt_kernelIlLi16ELi32ELi8ELc84ELc84ELc85ELb0ELb0EffPKfPfEviT_T9_T10_S3_lS5_S3_lS4_T11_S3_li.num_named_barrier, 0
	.set _ZL29rocblas_internal_gemmt_kernelIlLi16ELi32ELi8ELc84ELc84ELc85ELb0ELb0EffPKfPfEviT_T9_T10_S3_lS5_S3_lS4_T11_S3_li.private_seg_size, 0
	.set _ZL29rocblas_internal_gemmt_kernelIlLi16ELi32ELi8ELc84ELc84ELc85ELb0ELb0EffPKfPfEviT_T9_T10_S3_lS5_S3_lS4_T11_S3_li.uses_vcc, 1
	.set _ZL29rocblas_internal_gemmt_kernelIlLi16ELi32ELi8ELc84ELc84ELc85ELb0ELb0EffPKfPfEviT_T9_T10_S3_lS5_S3_lS4_T11_S3_li.uses_flat_scratch, 0
	.set _ZL29rocblas_internal_gemmt_kernelIlLi16ELi32ELi8ELc84ELc84ELc85ELb0ELb0EffPKfPfEviT_T9_T10_S3_lS5_S3_lS4_T11_S3_li.has_dyn_sized_stack, 0
	.set _ZL29rocblas_internal_gemmt_kernelIlLi16ELi32ELi8ELc84ELc84ELc85ELb0ELb0EffPKfPfEviT_T9_T10_S3_lS5_S3_lS4_T11_S3_li.has_recursion, 0
	.set _ZL29rocblas_internal_gemmt_kernelIlLi16ELi32ELi8ELc84ELc84ELc85ELb0ELb0EffPKfPfEviT_T9_T10_S3_lS5_S3_lS4_T11_S3_li.has_indirect_call, 0
	.section	.AMDGPU.csdata,"",@progbits
; Kernel info:
; codeLenInByte = 1608
; TotalNumSgprs: 32
; NumVgprs: 54
; ScratchSize: 0
; MemoryBound: 0
; FloatMode: 240
; IeeeMode: 1
; LDSByteSize: 2048 bytes/workgroup (compile time only)
; SGPRBlocks: 0
; VGPRBlocks: 3
; NumSGPRsForWavesPerEU: 32
; NumVGPRsForWavesPerEU: 54
; NamedBarCnt: 0
; Occupancy: 16
; WaveLimiterHint : 0
; COMPUTE_PGM_RSRC2:SCRATCH_EN: 0
; COMPUTE_PGM_RSRC2:USER_SGPR: 2
; COMPUTE_PGM_RSRC2:TRAP_HANDLER: 0
; COMPUTE_PGM_RSRC2:TGID_X_EN: 1
; COMPUTE_PGM_RSRC2:TGID_Y_EN: 1
; COMPUTE_PGM_RSRC2:TGID_Z_EN: 1
; COMPUTE_PGM_RSRC2:TIDIG_COMP_CNT: 1
	.section	.text._ZL29rocblas_internal_gemmt_kernelIlLi16ELi32ELi8ELc84ELc67ELc85ELb0ELb0EffPKfPfEviT_T9_T10_S3_lS5_S3_lS4_T11_S3_li,"axG",@progbits,_ZL29rocblas_internal_gemmt_kernelIlLi16ELi32ELi8ELc84ELc67ELc85ELb0ELb0EffPKfPfEviT_T9_T10_S3_lS5_S3_lS4_T11_S3_li,comdat
	.globl	_ZL29rocblas_internal_gemmt_kernelIlLi16ELi32ELi8ELc84ELc67ELc85ELb0ELb0EffPKfPfEviT_T9_T10_S3_lS5_S3_lS4_T11_S3_li ; -- Begin function _ZL29rocblas_internal_gemmt_kernelIlLi16ELi32ELi8ELc84ELc67ELc85ELb0ELb0EffPKfPfEviT_T9_T10_S3_lS5_S3_lS4_T11_S3_li
	.p2align	8
	.type	_ZL29rocblas_internal_gemmt_kernelIlLi16ELi32ELi8ELc84ELc67ELc85ELb0ELb0EffPKfPfEviT_T9_T10_S3_lS5_S3_lS4_T11_S3_li,@function
_ZL29rocblas_internal_gemmt_kernelIlLi16ELi32ELi8ELc84ELc67ELc85ELb0ELb0EffPKfPfEviT_T9_T10_S3_lS5_S3_lS4_T11_S3_li: ; @_ZL29rocblas_internal_gemmt_kernelIlLi16ELi32ELi8ELc84ELc67ELc85ELb0ELb0EffPKfPfEviT_T9_T10_S3_lS5_S3_lS4_T11_S3_li
; %bb.0:
	s_clause 0x1
	s_load_b32 s23, s[0:1], 0x48
	s_load_b96 s[20:22], s[0:1], 0x8
	s_wait_kmcnt 0x0
	s_cmp_neq_f32 s23, 1.0
	s_cselect_b32 s2, -1, 0
	s_delay_alu instid0(SALU_CYCLE_1)
	s_and_b32 vcc_lo, exec_lo, s2
	s_cbranch_vccnz .LBB167_2
; %bb.1:
	s_cmp_lg_u64 s[20:21], 0
	s_cselect_b32 s2, -1, 0
	s_cmp_neq_f32 s22, 0
	s_cselect_b32 s3, -1, 0
	s_delay_alu instid0(SALU_CYCLE_1)
	s_and_b32 s2, s2, s3
.LBB167_2:
	s_delay_alu instid0(SALU_CYCLE_1)
	s_and_not1_b32 vcc_lo, exec_lo, s2
	s_cbranch_vccnz .LBB167_35
; %bb.3:
	s_load_b32 s26, s[0:1], 0x68
	s_bfe_u32 s2, ttmp6, 0x40014
	s_lshr_b32 s3, ttmp7, 16
	s_add_co_i32 s2, s2, 1
	s_bfe_u32 s5, ttmp6, 0x40008
	s_mul_i32 s4, s3, s2
	s_getreg_b32 s2, hwreg(HW_REG_IB_STS2, 6, 4)
	s_add_co_i32 s5, s5, s4
	s_cmp_eq_u32 s2, 0
	s_mov_b32 s25, 0
	s_cselect_b32 s24, s3, s5
	s_wait_kmcnt 0x0
	s_cmp_ge_u32 s24, s26
	s_cbranch_scc1 .LBB167_35
; %bb.4:
	s_bfe_u32 s12, ttmp6, 0x4000c
	s_bfe_u32 s13, ttmp6, 0x40010
	v_and_b32_e32 v8, 0x3ff, v0
	v_bfe_u32 v2, v0, 10, 10
	s_add_co_i32 s12, s12, 1
	s_and_b32 s14, ttmp7, 0xffff
	s_add_co_i32 s13, s13, 1
	s_and_b32 s3, ttmp6, 15
	s_mul_i32 s12, ttmp9, s12
	s_mul_i32 s13, s14, s13
	s_bfe_u32 s15, ttmp6, 0x40004
	s_load_b256 s[4:11], s[0:1], 0x18
	v_lshl_add_u32 v4, v2, 4, v8
	s_add_co_i32 s3, s3, s12
	s_add_co_i32 s15, s15, s13
	s_cmp_eq_u32 s2, 0
	v_lshl_add_u32 v3, v2, 5, 0x400
	s_cselect_b32 s2, ttmp9, s3
	s_cselect_b32 s3, s14, s15
	s_lshl_b32 s2, s2, 5
	s_lshl_b32 s3, s3, 5
	s_delay_alu instid0(SALU_CYCLE_1)
	v_dual_add_nc_u32 v16, s3, v2 :: v_dual_bitop2_b32 v9, 31, v4 bitop3:0x40
	s_clause 0x1
	s_load_b128 s[12:15], s[0:1], 0x50
	s_load_b128 s[16:19], s[0:1], 0x38
	v_dual_lshrrev_b32 v2, 5, v4 :: v_dual_lshrrev_b32 v11, 3, v4
	v_dual_add_nc_u32 v18, 16, v16 :: v_dual_bitop2_b32 v12, s2, v9 bitop3:0x54
	v_and_b32_e32 v0, 7, v0
	v_dual_lshlrev_b32 v1, 2, v8 :: v_dual_add_nc_u32 v8, s2, v8
	s_delay_alu instid0(VALU_DEP_3) | instskip(NEXT) | instid1(VALU_DEP_3)
	v_dual_ashrrev_i32 v13, 31, v12 :: v_dual_ashrrev_i32 v19, 31, v18
	v_dual_add_nc_u32 v20, s3, v11 :: v_dual_lshlrev_b32 v10, 2, v0
	v_lshlrev_b32_e32 v9, 2, v9
	s_wait_kmcnt 0x0
	s_delay_alu instid0(VALU_DEP_3)
	v_mul_u64_e32 v[14:15], s[6:7], v[12:13]
	s_clause 0x1
	s_load_b32 s27, s[0:1], 0x0
	s_load_b64 s[6:7], s[0:1], 0x60
	s_cmp_neq_f32 s22, 0
	v_lshl_or_b32 v11, v11, 5, v10
	v_add_nc_u32_e32 v10, 16, v8
	v_lshl_or_b32 v26, v2, 7, v9
	v_ashrrev_i32_e32 v9, 31, v8
	v_ashrrev_i32_e32 v17, 31, v16
	v_mul_u64_e32 v[6:7], s[14:15], v[18:19]
	v_add_nc_u32_e32 v27, 0x400, v11
	v_ashrrev_i32_e32 v11, 31, v10
	v_cmp_le_i32_e32 vcc_lo, v8, v16
	v_mul_u64_e32 v[4:5], s[14:15], v[16:17]
	v_dual_ashrrev_i32 v21, 31, v20 :: v_dual_mov_b32 v17, 0
	s_cselect_b32 s14, -1, 0
	s_cmp_neq_f32 s23, 0
	v_cmp_gt_i64_e64 s28, s[20:21], 0
	s_wait_kmcnt 0x0
	v_cmp_gt_i32_e64 s2, s27, v16
	v_cmp_gt_i32_e64 s0, s27, v12
	v_lshl_add_u64 v[12:13], v[20:21], 2, s[10:11]
	s_cselect_b32 s10, -1, 0
	v_cmp_gt_i32_e64 s3, s27, v18
	s_and_b32 s11, s2, vcc_lo
	v_cmp_le_i32_e32 vcc_lo, v10, v16
	v_cmp_gt_i32_e64 s1, s27, v20
	s_and_b32 s14, s14, s28
	s_and_b32 s15, s2, vcc_lo
	v_lshl_add_u64 v[14:15], v[14:15], 2, s[4:5]
	v_cmp_le_i32_e64 s4, v8, v18
	v_cmp_le_i32_e64 s5, v10, v18
	s_and_b32 s4, s3, s4
	s_and_b32 s5, s3, s5
	s_branch .LBB167_6
.LBB167_5:                              ;   in Loop: Header=BB167_6 Depth=1
	s_wait_xcnt 0x0
	s_or_b32 exec_lo, exec_lo, s2
	s_add_co_i32 s24, s24, 0x10000
	s_delay_alu instid0(SALU_CYCLE_1)
	s_cmp_lt_u32 s24, s26
	s_cbranch_scc0 .LBB167_35
.LBB167_6:                              ; =>This Loop Header: Depth=1
                                        ;     Child Loop BB167_9 Depth 2
	v_dual_mov_b32 v25, v17 :: v_dual_mov_b32 v24, v17
	v_dual_mov_b32 v19, v17 :: v_dual_mov_b32 v18, v17
	s_and_not1_b32 vcc_lo, exec_lo, s14
	s_cbranch_vccnz .LBB167_15
; %bb.7:                                ;   in Loop: Header=BB167_6 Depth=1
	v_mov_b32_e32 v18, 0
	s_mul_u64 s[2:3], s[8:9], s[24:25]
	s_mul_u64 s[28:29], s[18:19], s[24:25]
	v_lshl_add_u64 v[20:21], s[2:3], 2, v[14:15]
	v_lshl_add_u64 v[22:23], s[28:29], 2, v[12:13]
	v_dual_mov_b32 v19, v18 :: v_dual_mov_b32 v24, v18
	v_mov_b32_e32 v25, v18
	s_mov_b64 s[2:3], 0
	s_branch .LBB167_9
.LBB167_8:                              ;   in Loop: Header=BB167_9 Depth=2
	s_wait_xcnt 0x0
	s_or_b32 exec_lo, exec_lo, s27
	s_wait_loadcnt 0x0
	ds_store_b32 v27, v29
	s_wait_dscnt 0x0
	s_barrier_signal -1
	s_barrier_wait -1
	ds_load_b128 v[28:31], v3
	ds_load_2addr_b32 v[44:45], v1 offset1:16
	ds_load_b128 v[32:35], v3 offset:512
	ds_load_2addr_b32 v[46:47], v1 offset0:32 offset1:48
	ds_load_2addr_b32 v[48:49], v1 offset0:64 offset1:80
	ds_load_2addr_b32 v[50:51], v1 offset0:96 offset1:112
	ds_load_b128 v[36:39], v3 offset:16
	ds_load_2addr_b32 v[52:53], v1 offset0:128 offset1:144
	ds_load_b128 v[40:43], v3 offset:528
	s_add_nc_u64 s[2:3], s[2:3], 8
	s_delay_alu instid0(SALU_CYCLE_1)
	v_cmp_gt_i64_e64 s27, s[20:21], s[2:3]
	s_and_b32 vcc_lo, exec_lo, s27
	s_wait_dscnt 0x8
	v_mov_b32_e32 v16, v31
	s_wait_dscnt 0x7
	v_pk_fma_f32 v[24:25], v[44:45], v[28:29], v[24:25] op_sel_hi:[1,0,1]
	s_wait_dscnt 0x6
	v_pk_fma_f32 v[18:19], v[44:45], v[32:33], v[18:19] op_sel_hi:[1,0,1]
	ds_load_2addr_b32 v[44:45], v1 offset0:160 offset1:176
	s_wait_dscnt 0x6
	v_pk_fma_f32 v[24:25], v[46:47], v[28:29], v[24:25] op_sel:[0,1,0]
	v_pk_fma_f32 v[18:19], v[46:47], v[32:33], v[18:19] op_sel:[0,1,0]
	ds_load_2addr_b32 v[28:29], v1 offset0:192 offset1:208
	v_mov_b32_e32 v32, v35
	s_wait_dscnt 0x6
	v_pk_fma_f32 v[24:25], v[48:49], v[30:31], v[24:25] op_sel_hi:[1,0,1]
	v_pk_fma_f32 v[18:19], v[48:49], v[34:35], v[18:19] op_sel_hi:[1,0,1]
	ds_load_2addr_b32 v[30:31], v1 offset0:224 offset1:240
	s_wait_dscnt 0x0
	s_barrier_signal -1
	v_pk_fma_f32 v[24:25], v[50:51], v[16:17], v[24:25] op_sel_hi:[1,0,1]
	v_pk_fma_f32 v[18:19], v[50:51], v[32:33], v[18:19] op_sel_hi:[1,0,1]
	v_dual_mov_b32 v16, v39 :: v_dual_mov_b32 v32, v43
	s_barrier_wait -1
	s_delay_alu instid0(VALU_DEP_3) | instskip(NEXT) | instid1(VALU_DEP_3)
	v_pk_fma_f32 v[24:25], v[52:53], v[36:37], v[24:25] op_sel_hi:[1,0,1]
	v_pk_fma_f32 v[18:19], v[52:53], v[40:41], v[18:19] op_sel_hi:[1,0,1]
	s_delay_alu instid0(VALU_DEP_2) | instskip(NEXT) | instid1(VALU_DEP_2)
	v_pk_fma_f32 v[24:25], v[44:45], v[36:37], v[24:25] op_sel:[0,1,0]
	v_pk_fma_f32 v[18:19], v[44:45], v[40:41], v[18:19] op_sel:[0,1,0]
	s_delay_alu instid0(VALU_DEP_2) | instskip(NEXT) | instid1(VALU_DEP_2)
	v_pk_fma_f32 v[24:25], v[28:29], v[38:39], v[24:25] op_sel_hi:[1,0,1]
	v_pk_fma_f32 v[18:19], v[28:29], v[42:43], v[18:19] op_sel_hi:[1,0,1]
	s_delay_alu instid0(VALU_DEP_2) | instskip(NEXT) | instid1(VALU_DEP_2)
	v_pk_fma_f32 v[24:25], v[30:31], v[16:17], v[24:25] op_sel_hi:[1,0,1]
	v_pk_fma_f32 v[18:19], v[30:31], v[32:33], v[18:19] op_sel_hi:[1,0,1]
	s_cbranch_vccz .LBB167_15
.LBB167_9:                              ;   Parent Loop BB167_6 Depth=1
                                        ; =>  This Inner Loop Header: Depth=2
	v_mov_b32_e32 v28, 0
	s_and_saveexec_b32 s27, s0
	s_cbranch_execz .LBB167_13
; %bb.10:                               ;   in Loop: Header=BB167_9 Depth=2
	v_dual_add_nc_u32 v16, s2, v2 :: v_dual_mov_b32 v28, 0
	s_mov_b32 s28, exec_lo
	s_delay_alu instid0(VALU_DEP_1)
	v_cmpx_gt_u64_e64 s[20:21], v[16:17]
	s_cbranch_execz .LBB167_12
; %bb.11:                               ;   in Loop: Header=BB167_9 Depth=2
	v_lshl_add_u64 v[28:29], v[16:17], 2, v[20:21]
	global_load_b32 v28, v[28:29], off
.LBB167_12:                             ;   in Loop: Header=BB167_9 Depth=2
	s_wait_xcnt 0x0
	s_or_b32 exec_lo, exec_lo, s28
.LBB167_13:                             ;   in Loop: Header=BB167_9 Depth=2
	s_delay_alu instid0(SALU_CYCLE_1)
	s_or_b32 exec_lo, exec_lo, s27
	v_dual_mov_b32 v29, 0 :: v_dual_add_nc_u32 v16, s2, v0
	s_wait_loadcnt 0x0
	ds_store_b32 v26, v28
	v_cmp_gt_u64_e32 vcc_lo, s[20:21], v[16:17]
	s_and_b32 s28, vcc_lo, s1
	s_delay_alu instid0(SALU_CYCLE_1)
	s_and_saveexec_b32 s27, s28
	s_cbranch_execz .LBB167_8
; %bb.14:                               ;   in Loop: Header=BB167_9 Depth=2
	v_mul_u64_e32 v[28:29], s[16:17], v[16:17]
	s_delay_alu instid0(VALU_DEP_1)
	v_lshl_add_u64 v[28:29], v[28:29], 2, v[22:23]
	global_load_b32 v29, v[28:29], off
	s_branch .LBB167_8
.LBB167_15:                             ;   in Loop: Header=BB167_6 Depth=1
	s_mul_u64 s[2:3], s[6:7], s[24:25]
	s_delay_alu instid0(SALU_CYCLE_1) | instskip(NEXT) | instid1(SALU_CYCLE_1)
	s_lshl_b64 s[2:3], s[2:3], 2
	s_add_nc_u64 s[2:3], s[12:13], s[2:3]
	s_delay_alu instid0(SALU_CYCLE_1)
	v_lshl_add_u64 v[20:21], v[4:5], 2, s[2:3]
	s_and_saveexec_b32 s27, s11
	s_cbranch_execz .LBB167_19
; %bb.16:                               ;   in Loop: Header=BB167_6 Depth=1
	v_mul_f32_e32 v16, s22, v24
	s_delay_alu instid0(VALU_DEP_2)
	v_lshl_add_u64 v[22:23], v[8:9], 2, v[20:21]
	s_and_b32 vcc_lo, exec_lo, s10
	s_cbranch_vccz .LBB167_30
; %bb.17:                               ;   in Loop: Header=BB167_6 Depth=1
	global_load_b32 v24, v[22:23], off
	s_wait_loadcnt 0x0
	v_fma_f32 v24, s23, v24, v16
	global_store_b32 v[22:23], v24, off
	s_cbranch_execnz .LBB167_19
.LBB167_18:                             ;   in Loop: Header=BB167_6 Depth=1
	global_store_b32 v[22:23], v16, off
.LBB167_19:                             ;   in Loop: Header=BB167_6 Depth=1
	s_wait_xcnt 0x0
	s_or_b32 exec_lo, exec_lo, s27
	s_and_saveexec_b32 s27, s15
	s_cbranch_execz .LBB167_23
; %bb.20:                               ;   in Loop: Header=BB167_6 Depth=1
	v_mul_f32_e32 v16, s22, v25
	v_lshl_add_u64 v[20:21], v[10:11], 2, v[20:21]
	s_and_not1_b32 vcc_lo, exec_lo, s10
	s_cbranch_vccnz .LBB167_31
; %bb.21:                               ;   in Loop: Header=BB167_6 Depth=1
	global_load_b32 v22, v[20:21], off
	s_wait_loadcnt 0x0
	v_fma_f32 v22, s23, v22, v16
	global_store_b32 v[20:21], v22, off
	s_cbranch_execnz .LBB167_23
.LBB167_22:                             ;   in Loop: Header=BB167_6 Depth=1
	global_store_b32 v[20:21], v16, off
.LBB167_23:                             ;   in Loop: Header=BB167_6 Depth=1
	s_wait_xcnt 0x0
	s_or_b32 exec_lo, exec_lo, s27
	v_lshl_add_u64 v[20:21], v[6:7], 2, s[2:3]
	s_and_saveexec_b32 s2, s4
	s_cbranch_execz .LBB167_27
; %bb.24:                               ;   in Loop: Header=BB167_6 Depth=1
	v_mul_f32_e32 v16, s22, v18
	s_delay_alu instid0(VALU_DEP_2)
	v_lshl_add_u64 v[22:23], v[8:9], 2, v[20:21]
	s_and_not1_b32 vcc_lo, exec_lo, s10
	s_cbranch_vccnz .LBB167_32
; %bb.25:                               ;   in Loop: Header=BB167_6 Depth=1
	global_load_b32 v18, v[22:23], off
	s_wait_loadcnt 0x0
	v_fma_f32 v18, s23, v18, v16
	global_store_b32 v[22:23], v18, off
	s_cbranch_execnz .LBB167_27
.LBB167_26:                             ;   in Loop: Header=BB167_6 Depth=1
	global_store_b32 v[22:23], v16, off
.LBB167_27:                             ;   in Loop: Header=BB167_6 Depth=1
	s_wait_xcnt 0x0
	s_or_b32 exec_lo, exec_lo, s2
	s_and_saveexec_b32 s2, s5
	s_cbranch_execz .LBB167_5
; %bb.28:                               ;   in Loop: Header=BB167_6 Depth=1
	v_mul_f32_e32 v16, s22, v19
	v_lshl_add_u64 v[18:19], v[10:11], 2, v[20:21]
	s_and_not1_b32 vcc_lo, exec_lo, s10
	s_cbranch_vccnz .LBB167_33
; %bb.29:                               ;   in Loop: Header=BB167_6 Depth=1
	global_load_b32 v20, v[18:19], off
	s_wait_loadcnt 0x0
	v_fma_f32 v20, s23, v20, v16
	global_store_b32 v[18:19], v20, off
	s_cbranch_execnz .LBB167_5
	s_branch .LBB167_34
.LBB167_30:                             ;   in Loop: Header=BB167_6 Depth=1
	s_branch .LBB167_18
.LBB167_31:                             ;   in Loop: Header=BB167_6 Depth=1
	s_branch .LBB167_22
.LBB167_32:                             ;   in Loop: Header=BB167_6 Depth=1
	s_branch .LBB167_26
.LBB167_33:                             ;   in Loop: Header=BB167_6 Depth=1
.LBB167_34:                             ;   in Loop: Header=BB167_6 Depth=1
	global_store_b32 v[18:19], v16, off
	s_branch .LBB167_5
.LBB167_35:
	s_endpgm
	.section	.rodata,"a",@progbits
	.p2align	6, 0x0
	.amdhsa_kernel _ZL29rocblas_internal_gemmt_kernelIlLi16ELi32ELi8ELc84ELc67ELc85ELb0ELb0EffPKfPfEviT_T9_T10_S3_lS5_S3_lS4_T11_S3_li
		.amdhsa_group_segment_fixed_size 2048
		.amdhsa_private_segment_fixed_size 0
		.amdhsa_kernarg_size 108
		.amdhsa_user_sgpr_count 2
		.amdhsa_user_sgpr_dispatch_ptr 0
		.amdhsa_user_sgpr_queue_ptr 0
		.amdhsa_user_sgpr_kernarg_segment_ptr 1
		.amdhsa_user_sgpr_dispatch_id 0
		.amdhsa_user_sgpr_kernarg_preload_length 0
		.amdhsa_user_sgpr_kernarg_preload_offset 0
		.amdhsa_user_sgpr_private_segment_size 0
		.amdhsa_wavefront_size32 1
		.amdhsa_uses_dynamic_stack 0
		.amdhsa_enable_private_segment 0
		.amdhsa_system_sgpr_workgroup_id_x 1
		.amdhsa_system_sgpr_workgroup_id_y 1
		.amdhsa_system_sgpr_workgroup_id_z 1
		.amdhsa_system_sgpr_workgroup_info 0
		.amdhsa_system_vgpr_workitem_id 1
		.amdhsa_next_free_vgpr 54
		.amdhsa_next_free_sgpr 30
		.amdhsa_named_barrier_count 0
		.amdhsa_reserve_vcc 1
		.amdhsa_float_round_mode_32 0
		.amdhsa_float_round_mode_16_64 0
		.amdhsa_float_denorm_mode_32 3
		.amdhsa_float_denorm_mode_16_64 3
		.amdhsa_fp16_overflow 0
		.amdhsa_memory_ordered 1
		.amdhsa_forward_progress 1
		.amdhsa_inst_pref_size 13
		.amdhsa_round_robin_scheduling 0
		.amdhsa_exception_fp_ieee_invalid_op 0
		.amdhsa_exception_fp_denorm_src 0
		.amdhsa_exception_fp_ieee_div_zero 0
		.amdhsa_exception_fp_ieee_overflow 0
		.amdhsa_exception_fp_ieee_underflow 0
		.amdhsa_exception_fp_ieee_inexact 0
		.amdhsa_exception_int_div_zero 0
	.end_amdhsa_kernel
	.section	.text._ZL29rocblas_internal_gemmt_kernelIlLi16ELi32ELi8ELc84ELc67ELc85ELb0ELb0EffPKfPfEviT_T9_T10_S3_lS5_S3_lS4_T11_S3_li,"axG",@progbits,_ZL29rocblas_internal_gemmt_kernelIlLi16ELi32ELi8ELc84ELc67ELc85ELb0ELb0EffPKfPfEviT_T9_T10_S3_lS5_S3_lS4_T11_S3_li,comdat
.Lfunc_end167:
	.size	_ZL29rocblas_internal_gemmt_kernelIlLi16ELi32ELi8ELc84ELc67ELc85ELb0ELb0EffPKfPfEviT_T9_T10_S3_lS5_S3_lS4_T11_S3_li, .Lfunc_end167-_ZL29rocblas_internal_gemmt_kernelIlLi16ELi32ELi8ELc84ELc67ELc85ELb0ELb0EffPKfPfEviT_T9_T10_S3_lS5_S3_lS4_T11_S3_li
                                        ; -- End function
	.set _ZL29rocblas_internal_gemmt_kernelIlLi16ELi32ELi8ELc84ELc67ELc85ELb0ELb0EffPKfPfEviT_T9_T10_S3_lS5_S3_lS4_T11_S3_li.num_vgpr, 54
	.set _ZL29rocblas_internal_gemmt_kernelIlLi16ELi32ELi8ELc84ELc67ELc85ELb0ELb0EffPKfPfEviT_T9_T10_S3_lS5_S3_lS4_T11_S3_li.num_agpr, 0
	.set _ZL29rocblas_internal_gemmt_kernelIlLi16ELi32ELi8ELc84ELc67ELc85ELb0ELb0EffPKfPfEviT_T9_T10_S3_lS5_S3_lS4_T11_S3_li.numbered_sgpr, 30
	.set _ZL29rocblas_internal_gemmt_kernelIlLi16ELi32ELi8ELc84ELc67ELc85ELb0ELb0EffPKfPfEviT_T9_T10_S3_lS5_S3_lS4_T11_S3_li.num_named_barrier, 0
	.set _ZL29rocblas_internal_gemmt_kernelIlLi16ELi32ELi8ELc84ELc67ELc85ELb0ELb0EffPKfPfEviT_T9_T10_S3_lS5_S3_lS4_T11_S3_li.private_seg_size, 0
	.set _ZL29rocblas_internal_gemmt_kernelIlLi16ELi32ELi8ELc84ELc67ELc85ELb0ELb0EffPKfPfEviT_T9_T10_S3_lS5_S3_lS4_T11_S3_li.uses_vcc, 1
	.set _ZL29rocblas_internal_gemmt_kernelIlLi16ELi32ELi8ELc84ELc67ELc85ELb0ELb0EffPKfPfEviT_T9_T10_S3_lS5_S3_lS4_T11_S3_li.uses_flat_scratch, 0
	.set _ZL29rocblas_internal_gemmt_kernelIlLi16ELi32ELi8ELc84ELc67ELc85ELb0ELb0EffPKfPfEviT_T9_T10_S3_lS5_S3_lS4_T11_S3_li.has_dyn_sized_stack, 0
	.set _ZL29rocblas_internal_gemmt_kernelIlLi16ELi32ELi8ELc84ELc67ELc85ELb0ELb0EffPKfPfEviT_T9_T10_S3_lS5_S3_lS4_T11_S3_li.has_recursion, 0
	.set _ZL29rocblas_internal_gemmt_kernelIlLi16ELi32ELi8ELc84ELc67ELc85ELb0ELb0EffPKfPfEviT_T9_T10_S3_lS5_S3_lS4_T11_S3_li.has_indirect_call, 0
	.section	.AMDGPU.csdata,"",@progbits
; Kernel info:
; codeLenInByte = 1608
; TotalNumSgprs: 32
; NumVgprs: 54
; ScratchSize: 0
; MemoryBound: 0
; FloatMode: 240
; IeeeMode: 1
; LDSByteSize: 2048 bytes/workgroup (compile time only)
; SGPRBlocks: 0
; VGPRBlocks: 3
; NumSGPRsForWavesPerEU: 32
; NumVGPRsForWavesPerEU: 54
; NamedBarCnt: 0
; Occupancy: 16
; WaveLimiterHint : 0
; COMPUTE_PGM_RSRC2:SCRATCH_EN: 0
; COMPUTE_PGM_RSRC2:USER_SGPR: 2
; COMPUTE_PGM_RSRC2:TRAP_HANDLER: 0
; COMPUTE_PGM_RSRC2:TGID_X_EN: 1
; COMPUTE_PGM_RSRC2:TGID_Y_EN: 1
; COMPUTE_PGM_RSRC2:TGID_Z_EN: 1
; COMPUTE_PGM_RSRC2:TIDIG_COMP_CNT: 1
	.section	.text._ZL29rocblas_internal_gemmt_kernelIlLi16ELi32ELi8ELc67ELc78ELc85ELb0ELb0EffPKfPfEviT_T9_T10_S3_lS5_S3_lS4_T11_S3_li,"axG",@progbits,_ZL29rocblas_internal_gemmt_kernelIlLi16ELi32ELi8ELc67ELc78ELc85ELb0ELb0EffPKfPfEviT_T9_T10_S3_lS5_S3_lS4_T11_S3_li,comdat
	.globl	_ZL29rocblas_internal_gemmt_kernelIlLi16ELi32ELi8ELc67ELc78ELc85ELb0ELb0EffPKfPfEviT_T9_T10_S3_lS5_S3_lS4_T11_S3_li ; -- Begin function _ZL29rocblas_internal_gemmt_kernelIlLi16ELi32ELi8ELc67ELc78ELc85ELb0ELb0EffPKfPfEviT_T9_T10_S3_lS5_S3_lS4_T11_S3_li
	.p2align	8
	.type	_ZL29rocblas_internal_gemmt_kernelIlLi16ELi32ELi8ELc67ELc78ELc85ELb0ELb0EffPKfPfEviT_T9_T10_S3_lS5_S3_lS4_T11_S3_li,@function
_ZL29rocblas_internal_gemmt_kernelIlLi16ELi32ELi8ELc67ELc78ELc85ELb0ELb0EffPKfPfEviT_T9_T10_S3_lS5_S3_lS4_T11_S3_li: ; @_ZL29rocblas_internal_gemmt_kernelIlLi16ELi32ELi8ELc67ELc78ELc85ELb0ELb0EffPKfPfEviT_T9_T10_S3_lS5_S3_lS4_T11_S3_li
; %bb.0:
	s_clause 0x1
	s_load_b32 s23, s[0:1], 0x48
	s_load_b96 s[20:22], s[0:1], 0x8
	s_wait_kmcnt 0x0
	s_cmp_neq_f32 s23, 1.0
	s_cselect_b32 s2, -1, 0
	s_delay_alu instid0(SALU_CYCLE_1)
	s_and_b32 vcc_lo, exec_lo, s2
	s_cbranch_vccnz .LBB168_2
; %bb.1:
	s_cmp_lg_u64 s[20:21], 0
	s_cselect_b32 s2, -1, 0
	s_cmp_neq_f32 s22, 0
	s_cselect_b32 s3, -1, 0
	s_delay_alu instid0(SALU_CYCLE_1)
	s_and_b32 s2, s2, s3
.LBB168_2:
	s_delay_alu instid0(SALU_CYCLE_1)
	s_and_not1_b32 vcc_lo, exec_lo, s2
	s_cbranch_vccnz .LBB168_35
; %bb.3:
	s_load_b32 s26, s[0:1], 0x68
	s_bfe_u32 s2, ttmp6, 0x40014
	s_lshr_b32 s3, ttmp7, 16
	s_add_co_i32 s2, s2, 1
	s_bfe_u32 s5, ttmp6, 0x40008
	s_mul_i32 s4, s3, s2
	s_getreg_b32 s2, hwreg(HW_REG_IB_STS2, 6, 4)
	s_add_co_i32 s5, s5, s4
	s_cmp_eq_u32 s2, 0
	s_mov_b32 s25, 0
	s_cselect_b32 s24, s3, s5
	s_wait_kmcnt 0x0
	s_cmp_ge_u32 s24, s26
	s_cbranch_scc1 .LBB168_35
; %bb.4:
	v_and_b32_e32 v3, 0x3ff, v0
	v_bfe_u32 v9, v0, 10, 10
	s_bfe_u32 s16, ttmp6, 0x4000c
	s_bfe_u32 s18, ttmp6, 0x40010
	s_and_b32 s17, ttmp7, 0xffff
	s_add_co_i32 s16, s16, 1
	s_add_co_i32 s18, s18, 1
	s_clause 0x1
	s_load_b256 s[4:11], s[0:1], 0x18
	s_load_b128 s[12:15], s[0:1], 0x38
	v_lshl_add_u32 v2, v9, 4, v3
	s_and_b32 s3, ttmp6, 15
	s_mul_i32 s16, ttmp9, s16
	s_mul_i32 s18, s17, s18
	s_bfe_u32 s19, ttmp6, 0x40004
	s_add_co_i32 s3, s3, s16
	s_add_co_i32 s19, s19, s18
	s_cmp_eq_u32 s2, 0
	v_dual_lshrrev_b32 v10, 3, v2 :: v_dual_bitop2_b32 v11, 31, v2 bitop3:0x40
	s_cselect_b32 s2, ttmp9, s3
	s_cselect_b32 s3, s17, s19
	s_load_b128 s[16:19], s[0:1], 0x50
	s_lshl_b32 s2, s2, 5
	s_lshl_b32 s3, s3, 5
	s_delay_alu instid0(SALU_CYCLE_1) | instskip(SKIP_2) | instid1(VALU_DEP_2)
	v_dual_add_nc_u32 v14, s3, v10 :: v_dual_bitop2_b32 v12, s2, v11 bitop3:0x54
	v_dual_add_nc_u32 v20, s3, v9 :: v_dual_bitop2_b32 v0, 7, v0 bitop3:0x40
	s_load_b32 s3, s[0:1], 0x0
	v_dual_ashrrev_i32 v13, 31, v12 :: v_dual_ashrrev_i32 v15, 31, v14
	s_delay_alu instid0(VALU_DEP_2) | instskip(SKIP_2) | instid1(VALU_DEP_3)
	v_dual_add_nc_u32 v22, 16, v20 :: v_dual_ashrrev_i32 v21, 31, v20
	v_add_nc_u32_e32 v8, s2, v3
	s_wait_kmcnt 0x0
	v_mul_u64_e32 v[16:17], s[6:7], v[12:13]
	v_mul_u64_e32 v[18:19], s[12:13], v[14:15]
	v_dual_ashrrev_i32 v23, 31, v22 :: v_dual_lshlrev_b32 v13, 2, v0
	s_load_b64 s[6:7], s[0:1], 0x60
	v_dual_lshlrev_b32 v1, 2, v3 :: v_dual_lshrrev_b32 v2, 5, v2
	v_mul_u64_e32 v[4:5], s[18:19], v[20:21]
	s_delay_alu instid0(VALU_DEP_3)
	v_mul_u64_e32 v[6:7], s[18:19], v[22:23]
	v_lshlrev_b32_e32 v3, 2, v11
	v_lshl_or_b32 v11, v10, 5, v13
	v_add_nc_u32_e32 v10, 16, v8
	s_cmp_neq_f32 s22, 0
	v_cmp_gt_i64_e64 s12, s[20:21], 0
	v_cmp_gt_i32_e64 s2, s3, v20
	v_add_nc_u32_e32 v26, 0x400, v11
	v_ashrrev_i32_e32 v11, 31, v10
	v_cmp_le_i32_e32 vcc_lo, v8, v20
	s_cselect_b32 s13, -1, 0
	s_cmp_neq_f32 s23, 0
	s_wait_xcnt 0x0
	v_cmp_gt_i32_e64 s0, s3, v12
	v_cmp_gt_i32_e64 s1, s3, v14
	;; [unrolled: 1-line block ×3, first 2 shown]
	v_lshl_or_b32 v3, v2, 7, v3
	v_lshl_add_u32 v27, v9, 5, 0x400
	v_ashrrev_i32_e32 v9, 31, v8
	v_lshl_add_u64 v[12:13], v[16:17], 2, s[4:5]
	v_lshl_add_u64 v[14:15], v[18:19], 2, s[10:11]
	s_cselect_b32 s10, -1, 0
	s_and_b32 s11, s2, vcc_lo
	v_cmp_le_i32_e32 vcc_lo, v10, v20
	v_cmp_le_i32_e64 s4, v8, v22
	v_cmp_le_i32_e64 s5, v10, v22
	v_mov_b32_e32 v17, 0
	s_and_b32 s12, s13, s12
	s_and_b32 s13, s2, vcc_lo
	s_and_b32 s4, s3, s4
	s_and_b32 s5, s3, s5
	s_branch .LBB168_6
.LBB168_5:                              ;   in Loop: Header=BB168_6 Depth=1
	s_wait_xcnt 0x0
	s_or_b32 exec_lo, exec_lo, s2
	s_add_co_i32 s24, s24, 0x10000
	s_delay_alu instid0(SALU_CYCLE_1)
	s_cmp_lt_u32 s24, s26
	s_cbranch_scc0 .LBB168_35
.LBB168_6:                              ; =>This Loop Header: Depth=1
                                        ;     Child Loop BB168_9 Depth 2
	v_dual_mov_b32 v25, v17 :: v_dual_mov_b32 v24, v17
	v_dual_mov_b32 v19, v17 :: v_dual_mov_b32 v18, v17
	s_and_not1_b32 vcc_lo, exec_lo, s12
	s_cbranch_vccnz .LBB168_15
; %bb.7:                                ;   in Loop: Header=BB168_6 Depth=1
	v_mov_b32_e32 v18, 0
	s_mul_u64 s[2:3], s[8:9], s[24:25]
	s_mul_u64 s[18:19], s[14:15], s[24:25]
	v_lshl_add_u64 v[20:21], s[2:3], 2, v[12:13]
	v_lshl_add_u64 v[22:23], s[18:19], 2, v[14:15]
	v_dual_mov_b32 v19, v18 :: v_dual_mov_b32 v24, v18
	v_mov_b32_e32 v25, v18
	s_mov_b64 s[2:3], 0
	s_branch .LBB168_9
.LBB168_8:                              ;   in Loop: Header=BB168_9 Depth=2
	s_wait_xcnt 0x0
	s_or_b32 exec_lo, exec_lo, s18
	s_wait_loadcnt 0x0
	ds_store_b32 v26, v29
	s_wait_dscnt 0x0
	s_barrier_signal -1
	s_barrier_wait -1
	ds_load_b128 v[28:31], v27
	ds_load_2addr_b32 v[44:45], v1 offset1:16
	ds_load_b128 v[32:35], v27 offset:512
	ds_load_2addr_b32 v[46:47], v1 offset0:32 offset1:48
	ds_load_2addr_b32 v[48:49], v1 offset0:64 offset1:80
	;; [unrolled: 1-line block ×3, first 2 shown]
	ds_load_b128 v[36:39], v27 offset:16
	ds_load_2addr_b32 v[52:53], v1 offset0:128 offset1:144
	ds_load_b128 v[40:43], v27 offset:528
	s_add_nc_u64 s[2:3], s[2:3], 8
	s_delay_alu instid0(SALU_CYCLE_1)
	v_cmp_gt_i64_e64 s18, s[20:21], s[2:3]
	s_and_b32 vcc_lo, exec_lo, s18
	s_wait_dscnt 0x8
	v_mov_b32_e32 v16, v31
	s_wait_dscnt 0x7
	v_pk_fma_f32 v[24:25], v[44:45], v[28:29], v[24:25] op_sel_hi:[1,0,1]
	s_wait_dscnt 0x6
	v_pk_fma_f32 v[18:19], v[44:45], v[32:33], v[18:19] op_sel_hi:[1,0,1]
	ds_load_2addr_b32 v[44:45], v1 offset0:160 offset1:176
	s_wait_dscnt 0x6
	v_pk_fma_f32 v[24:25], v[46:47], v[28:29], v[24:25] op_sel:[0,1,0]
	v_pk_fma_f32 v[18:19], v[46:47], v[32:33], v[18:19] op_sel:[0,1,0]
	ds_load_2addr_b32 v[28:29], v1 offset0:192 offset1:208
	v_mov_b32_e32 v32, v35
	s_wait_dscnt 0x6
	v_pk_fma_f32 v[24:25], v[48:49], v[30:31], v[24:25] op_sel_hi:[1,0,1]
	v_pk_fma_f32 v[18:19], v[48:49], v[34:35], v[18:19] op_sel_hi:[1,0,1]
	ds_load_2addr_b32 v[30:31], v1 offset0:224 offset1:240
	s_wait_dscnt 0x0
	s_barrier_signal -1
	v_pk_fma_f32 v[24:25], v[50:51], v[16:17], v[24:25] op_sel_hi:[1,0,1]
	v_pk_fma_f32 v[18:19], v[50:51], v[32:33], v[18:19] op_sel_hi:[1,0,1]
	v_dual_mov_b32 v16, v39 :: v_dual_mov_b32 v32, v43
	s_barrier_wait -1
	s_delay_alu instid0(VALU_DEP_3) | instskip(NEXT) | instid1(VALU_DEP_3)
	v_pk_fma_f32 v[24:25], v[52:53], v[36:37], v[24:25] op_sel_hi:[1,0,1]
	v_pk_fma_f32 v[18:19], v[52:53], v[40:41], v[18:19] op_sel_hi:[1,0,1]
	s_delay_alu instid0(VALU_DEP_2) | instskip(NEXT) | instid1(VALU_DEP_2)
	v_pk_fma_f32 v[24:25], v[44:45], v[36:37], v[24:25] op_sel:[0,1,0]
	v_pk_fma_f32 v[18:19], v[44:45], v[40:41], v[18:19] op_sel:[0,1,0]
	s_delay_alu instid0(VALU_DEP_2) | instskip(NEXT) | instid1(VALU_DEP_2)
	v_pk_fma_f32 v[24:25], v[28:29], v[38:39], v[24:25] op_sel_hi:[1,0,1]
	v_pk_fma_f32 v[18:19], v[28:29], v[42:43], v[18:19] op_sel_hi:[1,0,1]
	s_delay_alu instid0(VALU_DEP_2) | instskip(NEXT) | instid1(VALU_DEP_2)
	v_pk_fma_f32 v[24:25], v[30:31], v[16:17], v[24:25] op_sel_hi:[1,0,1]
	v_pk_fma_f32 v[18:19], v[30:31], v[32:33], v[18:19] op_sel_hi:[1,0,1]
	s_cbranch_vccz .LBB168_15
.LBB168_9:                              ;   Parent Loop BB168_6 Depth=1
                                        ; =>  This Inner Loop Header: Depth=2
	v_mov_b32_e32 v28, 0
	s_and_saveexec_b32 s18, s0
	s_cbranch_execz .LBB168_13
; %bb.10:                               ;   in Loop: Header=BB168_9 Depth=2
	v_dual_add_nc_u32 v16, s2, v2 :: v_dual_mov_b32 v28, 0
	s_mov_b32 s19, exec_lo
	s_delay_alu instid0(VALU_DEP_1)
	v_cmpx_gt_u64_e64 s[20:21], v[16:17]
	s_cbranch_execz .LBB168_12
; %bb.11:                               ;   in Loop: Header=BB168_9 Depth=2
	v_lshl_add_u64 v[28:29], v[16:17], 2, v[20:21]
	global_load_b32 v28, v[28:29], off
.LBB168_12:                             ;   in Loop: Header=BB168_9 Depth=2
	s_wait_xcnt 0x0
	s_or_b32 exec_lo, exec_lo, s19
.LBB168_13:                             ;   in Loop: Header=BB168_9 Depth=2
	s_delay_alu instid0(SALU_CYCLE_1)
	s_or_b32 exec_lo, exec_lo, s18
	v_dual_mov_b32 v29, 0 :: v_dual_add_nc_u32 v16, s2, v0
	s_wait_loadcnt 0x0
	ds_store_b32 v3, v28
	v_cmp_gt_u64_e32 vcc_lo, s[20:21], v[16:17]
	s_and_b32 s19, vcc_lo, s1
	s_delay_alu instid0(SALU_CYCLE_1)
	s_and_saveexec_b32 s18, s19
	s_cbranch_execz .LBB168_8
; %bb.14:                               ;   in Loop: Header=BB168_9 Depth=2
	v_lshl_add_u64 v[28:29], v[16:17], 2, v[22:23]
	global_load_b32 v29, v[28:29], off
	s_branch .LBB168_8
.LBB168_15:                             ;   in Loop: Header=BB168_6 Depth=1
	s_wait_kmcnt 0x0
	s_mul_u64 s[2:3], s[6:7], s[24:25]
	s_delay_alu instid0(SALU_CYCLE_1) | instskip(NEXT) | instid1(SALU_CYCLE_1)
	s_lshl_b64 s[2:3], s[2:3], 2
	s_add_nc_u64 s[2:3], s[16:17], s[2:3]
	s_delay_alu instid0(SALU_CYCLE_1)
	v_lshl_add_u64 v[20:21], v[4:5], 2, s[2:3]
	s_and_saveexec_b32 s18, s11
	s_cbranch_execz .LBB168_19
; %bb.16:                               ;   in Loop: Header=BB168_6 Depth=1
	v_mul_f32_e32 v16, s22, v24
	s_delay_alu instid0(VALU_DEP_2)
	v_lshl_add_u64 v[22:23], v[8:9], 2, v[20:21]
	s_and_b32 vcc_lo, exec_lo, s10
	s_cbranch_vccz .LBB168_30
; %bb.17:                               ;   in Loop: Header=BB168_6 Depth=1
	global_load_b32 v24, v[22:23], off
	s_wait_loadcnt 0x0
	v_fma_f32 v24, s23, v24, v16
	global_store_b32 v[22:23], v24, off
	s_cbranch_execnz .LBB168_19
.LBB168_18:                             ;   in Loop: Header=BB168_6 Depth=1
	global_store_b32 v[22:23], v16, off
.LBB168_19:                             ;   in Loop: Header=BB168_6 Depth=1
	s_wait_xcnt 0x0
	s_or_b32 exec_lo, exec_lo, s18
	s_and_saveexec_b32 s18, s13
	s_cbranch_execz .LBB168_23
; %bb.20:                               ;   in Loop: Header=BB168_6 Depth=1
	v_mul_f32_e32 v16, s22, v25
	v_lshl_add_u64 v[20:21], v[10:11], 2, v[20:21]
	s_and_not1_b32 vcc_lo, exec_lo, s10
	s_cbranch_vccnz .LBB168_31
; %bb.21:                               ;   in Loop: Header=BB168_6 Depth=1
	global_load_b32 v22, v[20:21], off
	s_wait_loadcnt 0x0
	v_fma_f32 v22, s23, v22, v16
	global_store_b32 v[20:21], v22, off
	s_cbranch_execnz .LBB168_23
.LBB168_22:                             ;   in Loop: Header=BB168_6 Depth=1
	global_store_b32 v[20:21], v16, off
.LBB168_23:                             ;   in Loop: Header=BB168_6 Depth=1
	s_wait_xcnt 0x0
	s_or_b32 exec_lo, exec_lo, s18
	v_lshl_add_u64 v[20:21], v[6:7], 2, s[2:3]
	s_and_saveexec_b32 s2, s4
	s_cbranch_execz .LBB168_27
; %bb.24:                               ;   in Loop: Header=BB168_6 Depth=1
	v_mul_f32_e32 v16, s22, v18
	s_delay_alu instid0(VALU_DEP_2)
	v_lshl_add_u64 v[22:23], v[8:9], 2, v[20:21]
	s_and_not1_b32 vcc_lo, exec_lo, s10
	s_cbranch_vccnz .LBB168_32
; %bb.25:                               ;   in Loop: Header=BB168_6 Depth=1
	global_load_b32 v18, v[22:23], off
	s_wait_loadcnt 0x0
	v_fma_f32 v18, s23, v18, v16
	global_store_b32 v[22:23], v18, off
	s_cbranch_execnz .LBB168_27
.LBB168_26:                             ;   in Loop: Header=BB168_6 Depth=1
	global_store_b32 v[22:23], v16, off
.LBB168_27:                             ;   in Loop: Header=BB168_6 Depth=1
	s_wait_xcnt 0x0
	s_or_b32 exec_lo, exec_lo, s2
	s_and_saveexec_b32 s2, s5
	s_cbranch_execz .LBB168_5
; %bb.28:                               ;   in Loop: Header=BB168_6 Depth=1
	v_mul_f32_e32 v16, s22, v19
	v_lshl_add_u64 v[18:19], v[10:11], 2, v[20:21]
	s_and_not1_b32 vcc_lo, exec_lo, s10
	s_cbranch_vccnz .LBB168_33
; %bb.29:                               ;   in Loop: Header=BB168_6 Depth=1
	global_load_b32 v20, v[18:19], off
	s_wait_loadcnt 0x0
	v_fma_f32 v20, s23, v20, v16
	global_store_b32 v[18:19], v20, off
	s_cbranch_execnz .LBB168_5
	s_branch .LBB168_34
.LBB168_30:                             ;   in Loop: Header=BB168_6 Depth=1
	s_branch .LBB168_18
.LBB168_31:                             ;   in Loop: Header=BB168_6 Depth=1
	s_branch .LBB168_22
.LBB168_32:                             ;   in Loop: Header=BB168_6 Depth=1
	s_branch .LBB168_26
.LBB168_33:                             ;   in Loop: Header=BB168_6 Depth=1
.LBB168_34:                             ;   in Loop: Header=BB168_6 Depth=1
	global_store_b32 v[18:19], v16, off
	s_branch .LBB168_5
.LBB168_35:
	s_endpgm
	.section	.rodata,"a",@progbits
	.p2align	6, 0x0
	.amdhsa_kernel _ZL29rocblas_internal_gemmt_kernelIlLi16ELi32ELi8ELc67ELc78ELc85ELb0ELb0EffPKfPfEviT_T9_T10_S3_lS5_S3_lS4_T11_S3_li
		.amdhsa_group_segment_fixed_size 2048
		.amdhsa_private_segment_fixed_size 0
		.amdhsa_kernarg_size 108
		.amdhsa_user_sgpr_count 2
		.amdhsa_user_sgpr_dispatch_ptr 0
		.amdhsa_user_sgpr_queue_ptr 0
		.amdhsa_user_sgpr_kernarg_segment_ptr 1
		.amdhsa_user_sgpr_dispatch_id 0
		.amdhsa_user_sgpr_kernarg_preload_length 0
		.amdhsa_user_sgpr_kernarg_preload_offset 0
		.amdhsa_user_sgpr_private_segment_size 0
		.amdhsa_wavefront_size32 1
		.amdhsa_uses_dynamic_stack 0
		.amdhsa_enable_private_segment 0
		.amdhsa_system_sgpr_workgroup_id_x 1
		.amdhsa_system_sgpr_workgroup_id_y 1
		.amdhsa_system_sgpr_workgroup_id_z 1
		.amdhsa_system_sgpr_workgroup_info 0
		.amdhsa_system_vgpr_workitem_id 1
		.amdhsa_next_free_vgpr 54
		.amdhsa_next_free_sgpr 27
		.amdhsa_named_barrier_count 0
		.amdhsa_reserve_vcc 1
		.amdhsa_float_round_mode_32 0
		.amdhsa_float_round_mode_16_64 0
		.amdhsa_float_denorm_mode_32 3
		.amdhsa_float_denorm_mode_16_64 3
		.amdhsa_fp16_overflow 0
		.amdhsa_memory_ordered 1
		.amdhsa_forward_progress 1
		.amdhsa_inst_pref_size 13
		.amdhsa_round_robin_scheduling 0
		.amdhsa_exception_fp_ieee_invalid_op 0
		.amdhsa_exception_fp_denorm_src 0
		.amdhsa_exception_fp_ieee_div_zero 0
		.amdhsa_exception_fp_ieee_overflow 0
		.amdhsa_exception_fp_ieee_underflow 0
		.amdhsa_exception_fp_ieee_inexact 0
		.amdhsa_exception_int_div_zero 0
	.end_amdhsa_kernel
	.section	.text._ZL29rocblas_internal_gemmt_kernelIlLi16ELi32ELi8ELc67ELc78ELc85ELb0ELb0EffPKfPfEviT_T9_T10_S3_lS5_S3_lS4_T11_S3_li,"axG",@progbits,_ZL29rocblas_internal_gemmt_kernelIlLi16ELi32ELi8ELc67ELc78ELc85ELb0ELb0EffPKfPfEviT_T9_T10_S3_lS5_S3_lS4_T11_S3_li,comdat
.Lfunc_end168:
	.size	_ZL29rocblas_internal_gemmt_kernelIlLi16ELi32ELi8ELc67ELc78ELc85ELb0ELb0EffPKfPfEviT_T9_T10_S3_lS5_S3_lS4_T11_S3_li, .Lfunc_end168-_ZL29rocblas_internal_gemmt_kernelIlLi16ELi32ELi8ELc67ELc78ELc85ELb0ELb0EffPKfPfEviT_T9_T10_S3_lS5_S3_lS4_T11_S3_li
                                        ; -- End function
	.set _ZL29rocblas_internal_gemmt_kernelIlLi16ELi32ELi8ELc67ELc78ELc85ELb0ELb0EffPKfPfEviT_T9_T10_S3_lS5_S3_lS4_T11_S3_li.num_vgpr, 54
	.set _ZL29rocblas_internal_gemmt_kernelIlLi16ELi32ELi8ELc67ELc78ELc85ELb0ELb0EffPKfPfEviT_T9_T10_S3_lS5_S3_lS4_T11_S3_li.num_agpr, 0
	.set _ZL29rocblas_internal_gemmt_kernelIlLi16ELi32ELi8ELc67ELc78ELc85ELb0ELb0EffPKfPfEviT_T9_T10_S3_lS5_S3_lS4_T11_S3_li.numbered_sgpr, 27
	.set _ZL29rocblas_internal_gemmt_kernelIlLi16ELi32ELi8ELc67ELc78ELc85ELb0ELb0EffPKfPfEviT_T9_T10_S3_lS5_S3_lS4_T11_S3_li.num_named_barrier, 0
	.set _ZL29rocblas_internal_gemmt_kernelIlLi16ELi32ELi8ELc67ELc78ELc85ELb0ELb0EffPKfPfEviT_T9_T10_S3_lS5_S3_lS4_T11_S3_li.private_seg_size, 0
	.set _ZL29rocblas_internal_gemmt_kernelIlLi16ELi32ELi8ELc67ELc78ELc85ELb0ELb0EffPKfPfEviT_T9_T10_S3_lS5_S3_lS4_T11_S3_li.uses_vcc, 1
	.set _ZL29rocblas_internal_gemmt_kernelIlLi16ELi32ELi8ELc67ELc78ELc85ELb0ELb0EffPKfPfEviT_T9_T10_S3_lS5_S3_lS4_T11_S3_li.uses_flat_scratch, 0
	.set _ZL29rocblas_internal_gemmt_kernelIlLi16ELi32ELi8ELc67ELc78ELc85ELb0ELb0EffPKfPfEviT_T9_T10_S3_lS5_S3_lS4_T11_S3_li.has_dyn_sized_stack, 0
	.set _ZL29rocblas_internal_gemmt_kernelIlLi16ELi32ELi8ELc67ELc78ELc85ELb0ELb0EffPKfPfEviT_T9_T10_S3_lS5_S3_lS4_T11_S3_li.has_recursion, 0
	.set _ZL29rocblas_internal_gemmt_kernelIlLi16ELi32ELi8ELc67ELc78ELc85ELb0ELb0EffPKfPfEviT_T9_T10_S3_lS5_S3_lS4_T11_S3_li.has_indirect_call, 0
	.section	.AMDGPU.csdata,"",@progbits
; Kernel info:
; codeLenInByte = 1604
; TotalNumSgprs: 29
; NumVgprs: 54
; ScratchSize: 0
; MemoryBound: 0
; FloatMode: 240
; IeeeMode: 1
; LDSByteSize: 2048 bytes/workgroup (compile time only)
; SGPRBlocks: 0
; VGPRBlocks: 3
; NumSGPRsForWavesPerEU: 29
; NumVGPRsForWavesPerEU: 54
; NamedBarCnt: 0
; Occupancy: 16
; WaveLimiterHint : 0
; COMPUTE_PGM_RSRC2:SCRATCH_EN: 0
; COMPUTE_PGM_RSRC2:USER_SGPR: 2
; COMPUTE_PGM_RSRC2:TRAP_HANDLER: 0
; COMPUTE_PGM_RSRC2:TGID_X_EN: 1
; COMPUTE_PGM_RSRC2:TGID_Y_EN: 1
; COMPUTE_PGM_RSRC2:TGID_Z_EN: 1
; COMPUTE_PGM_RSRC2:TIDIG_COMP_CNT: 1
	.section	.text._ZL29rocblas_internal_gemmt_kernelIlLi16ELi32ELi8ELc67ELc84ELc85ELb0ELb0EffPKfPfEviT_T9_T10_S3_lS5_S3_lS4_T11_S3_li,"axG",@progbits,_ZL29rocblas_internal_gemmt_kernelIlLi16ELi32ELi8ELc67ELc84ELc85ELb0ELb0EffPKfPfEviT_T9_T10_S3_lS5_S3_lS4_T11_S3_li,comdat
	.globl	_ZL29rocblas_internal_gemmt_kernelIlLi16ELi32ELi8ELc67ELc84ELc85ELb0ELb0EffPKfPfEviT_T9_T10_S3_lS5_S3_lS4_T11_S3_li ; -- Begin function _ZL29rocblas_internal_gemmt_kernelIlLi16ELi32ELi8ELc67ELc84ELc85ELb0ELb0EffPKfPfEviT_T9_T10_S3_lS5_S3_lS4_T11_S3_li
	.p2align	8
	.type	_ZL29rocblas_internal_gemmt_kernelIlLi16ELi32ELi8ELc67ELc84ELc85ELb0ELb0EffPKfPfEviT_T9_T10_S3_lS5_S3_lS4_T11_S3_li,@function
_ZL29rocblas_internal_gemmt_kernelIlLi16ELi32ELi8ELc67ELc84ELc85ELb0ELb0EffPKfPfEviT_T9_T10_S3_lS5_S3_lS4_T11_S3_li: ; @_ZL29rocblas_internal_gemmt_kernelIlLi16ELi32ELi8ELc67ELc84ELc85ELb0ELb0EffPKfPfEviT_T9_T10_S3_lS5_S3_lS4_T11_S3_li
; %bb.0:
	s_clause 0x1
	s_load_b32 s23, s[0:1], 0x48
	s_load_b96 s[20:22], s[0:1], 0x8
	s_wait_kmcnt 0x0
	s_cmp_neq_f32 s23, 1.0
	s_cselect_b32 s2, -1, 0
	s_delay_alu instid0(SALU_CYCLE_1)
	s_and_b32 vcc_lo, exec_lo, s2
	s_cbranch_vccnz .LBB169_2
; %bb.1:
	s_cmp_lg_u64 s[20:21], 0
	s_cselect_b32 s2, -1, 0
	s_cmp_neq_f32 s22, 0
	s_cselect_b32 s3, -1, 0
	s_delay_alu instid0(SALU_CYCLE_1)
	s_and_b32 s2, s2, s3
.LBB169_2:
	s_delay_alu instid0(SALU_CYCLE_1)
	s_and_not1_b32 vcc_lo, exec_lo, s2
	s_cbranch_vccnz .LBB169_35
; %bb.3:
	s_load_b32 s26, s[0:1], 0x68
	s_bfe_u32 s2, ttmp6, 0x40014
	s_lshr_b32 s3, ttmp7, 16
	s_add_co_i32 s2, s2, 1
	s_bfe_u32 s5, ttmp6, 0x40008
	s_mul_i32 s4, s3, s2
	s_getreg_b32 s2, hwreg(HW_REG_IB_STS2, 6, 4)
	s_add_co_i32 s5, s5, s4
	s_cmp_eq_u32 s2, 0
	s_mov_b32 s25, 0
	s_cselect_b32 s24, s3, s5
	s_wait_kmcnt 0x0
	s_cmp_ge_u32 s24, s26
	s_cbranch_scc1 .LBB169_35
; %bb.4:
	s_bfe_u32 s12, ttmp6, 0x4000c
	s_bfe_u32 s13, ttmp6, 0x40010
	v_and_b32_e32 v8, 0x3ff, v0
	v_bfe_u32 v2, v0, 10, 10
	s_add_co_i32 s12, s12, 1
	s_and_b32 s14, ttmp7, 0xffff
	s_add_co_i32 s13, s13, 1
	s_and_b32 s3, ttmp6, 15
	s_mul_i32 s12, ttmp9, s12
	s_mul_i32 s13, s14, s13
	s_bfe_u32 s15, ttmp6, 0x40004
	s_load_b256 s[4:11], s[0:1], 0x18
	v_lshl_add_u32 v4, v2, 4, v8
	s_add_co_i32 s3, s3, s12
	s_add_co_i32 s15, s15, s13
	s_cmp_eq_u32 s2, 0
	v_lshl_add_u32 v3, v2, 5, 0x400
	s_cselect_b32 s2, ttmp9, s3
	s_cselect_b32 s3, s14, s15
	s_lshl_b32 s2, s2, 5
	s_lshl_b32 s3, s3, 5
	s_delay_alu instid0(SALU_CYCLE_1)
	v_dual_add_nc_u32 v16, s3, v2 :: v_dual_bitop2_b32 v9, 31, v4 bitop3:0x40
	s_clause 0x1
	s_load_b128 s[12:15], s[0:1], 0x50
	s_load_b128 s[16:19], s[0:1], 0x38
	v_dual_lshrrev_b32 v2, 5, v4 :: v_dual_lshrrev_b32 v11, 3, v4
	v_dual_add_nc_u32 v18, 16, v16 :: v_dual_bitop2_b32 v12, s2, v9 bitop3:0x54
	v_and_b32_e32 v0, 7, v0
	v_dual_lshlrev_b32 v1, 2, v8 :: v_dual_add_nc_u32 v8, s2, v8
	s_delay_alu instid0(VALU_DEP_3) | instskip(NEXT) | instid1(VALU_DEP_3)
	v_dual_ashrrev_i32 v13, 31, v12 :: v_dual_ashrrev_i32 v19, 31, v18
	v_dual_add_nc_u32 v20, s3, v11 :: v_dual_lshlrev_b32 v10, 2, v0
	v_lshlrev_b32_e32 v9, 2, v9
	s_wait_kmcnt 0x0
	s_delay_alu instid0(VALU_DEP_3)
	v_mul_u64_e32 v[14:15], s[6:7], v[12:13]
	s_clause 0x1
	s_load_b32 s27, s[0:1], 0x0
	s_load_b64 s[6:7], s[0:1], 0x60
	s_cmp_neq_f32 s22, 0
	v_lshl_or_b32 v11, v11, 5, v10
	v_add_nc_u32_e32 v10, 16, v8
	v_lshl_or_b32 v26, v2, 7, v9
	v_ashrrev_i32_e32 v9, 31, v8
	v_ashrrev_i32_e32 v17, 31, v16
	v_mul_u64_e32 v[6:7], s[14:15], v[18:19]
	v_add_nc_u32_e32 v27, 0x400, v11
	v_ashrrev_i32_e32 v11, 31, v10
	v_cmp_le_i32_e32 vcc_lo, v8, v16
	v_mul_u64_e32 v[4:5], s[14:15], v[16:17]
	v_dual_ashrrev_i32 v21, 31, v20 :: v_dual_mov_b32 v17, 0
	s_cselect_b32 s14, -1, 0
	s_cmp_neq_f32 s23, 0
	v_cmp_gt_i64_e64 s28, s[20:21], 0
	s_wait_kmcnt 0x0
	v_cmp_gt_i32_e64 s2, s27, v16
	v_cmp_gt_i32_e64 s0, s27, v12
	v_lshl_add_u64 v[12:13], v[20:21], 2, s[10:11]
	s_cselect_b32 s10, -1, 0
	v_cmp_gt_i32_e64 s3, s27, v18
	s_and_b32 s11, s2, vcc_lo
	v_cmp_le_i32_e32 vcc_lo, v10, v16
	v_cmp_gt_i32_e64 s1, s27, v20
	s_and_b32 s14, s14, s28
	s_and_b32 s15, s2, vcc_lo
	v_lshl_add_u64 v[14:15], v[14:15], 2, s[4:5]
	v_cmp_le_i32_e64 s4, v8, v18
	v_cmp_le_i32_e64 s5, v10, v18
	s_and_b32 s4, s3, s4
	s_and_b32 s5, s3, s5
	s_branch .LBB169_6
.LBB169_5:                              ;   in Loop: Header=BB169_6 Depth=1
	s_wait_xcnt 0x0
	s_or_b32 exec_lo, exec_lo, s2
	s_add_co_i32 s24, s24, 0x10000
	s_delay_alu instid0(SALU_CYCLE_1)
	s_cmp_lt_u32 s24, s26
	s_cbranch_scc0 .LBB169_35
.LBB169_6:                              ; =>This Loop Header: Depth=1
                                        ;     Child Loop BB169_9 Depth 2
	v_dual_mov_b32 v25, v17 :: v_dual_mov_b32 v24, v17
	v_dual_mov_b32 v19, v17 :: v_dual_mov_b32 v18, v17
	s_and_not1_b32 vcc_lo, exec_lo, s14
	s_cbranch_vccnz .LBB169_15
; %bb.7:                                ;   in Loop: Header=BB169_6 Depth=1
	v_mov_b32_e32 v18, 0
	s_mul_u64 s[2:3], s[8:9], s[24:25]
	s_mul_u64 s[28:29], s[18:19], s[24:25]
	v_lshl_add_u64 v[20:21], s[2:3], 2, v[14:15]
	v_lshl_add_u64 v[22:23], s[28:29], 2, v[12:13]
	v_dual_mov_b32 v19, v18 :: v_dual_mov_b32 v24, v18
	v_mov_b32_e32 v25, v18
	s_mov_b64 s[2:3], 0
	s_branch .LBB169_9
.LBB169_8:                              ;   in Loop: Header=BB169_9 Depth=2
	s_wait_xcnt 0x0
	s_or_b32 exec_lo, exec_lo, s27
	s_wait_loadcnt 0x0
	ds_store_b32 v27, v29
	s_wait_dscnt 0x0
	s_barrier_signal -1
	s_barrier_wait -1
	ds_load_b128 v[28:31], v3
	ds_load_2addr_b32 v[44:45], v1 offset1:16
	ds_load_b128 v[32:35], v3 offset:512
	ds_load_2addr_b32 v[46:47], v1 offset0:32 offset1:48
	ds_load_2addr_b32 v[48:49], v1 offset0:64 offset1:80
	;; [unrolled: 1-line block ×3, first 2 shown]
	ds_load_b128 v[36:39], v3 offset:16
	ds_load_2addr_b32 v[52:53], v1 offset0:128 offset1:144
	ds_load_b128 v[40:43], v3 offset:528
	s_add_nc_u64 s[2:3], s[2:3], 8
	s_delay_alu instid0(SALU_CYCLE_1)
	v_cmp_gt_i64_e64 s27, s[20:21], s[2:3]
	s_and_b32 vcc_lo, exec_lo, s27
	s_wait_dscnt 0x8
	v_mov_b32_e32 v16, v31
	s_wait_dscnt 0x7
	v_pk_fma_f32 v[24:25], v[44:45], v[28:29], v[24:25] op_sel_hi:[1,0,1]
	s_wait_dscnt 0x6
	v_pk_fma_f32 v[18:19], v[44:45], v[32:33], v[18:19] op_sel_hi:[1,0,1]
	ds_load_2addr_b32 v[44:45], v1 offset0:160 offset1:176
	s_wait_dscnt 0x6
	v_pk_fma_f32 v[24:25], v[46:47], v[28:29], v[24:25] op_sel:[0,1,0]
	v_pk_fma_f32 v[18:19], v[46:47], v[32:33], v[18:19] op_sel:[0,1,0]
	ds_load_2addr_b32 v[28:29], v1 offset0:192 offset1:208
	v_mov_b32_e32 v32, v35
	s_wait_dscnt 0x6
	v_pk_fma_f32 v[24:25], v[48:49], v[30:31], v[24:25] op_sel_hi:[1,0,1]
	v_pk_fma_f32 v[18:19], v[48:49], v[34:35], v[18:19] op_sel_hi:[1,0,1]
	ds_load_2addr_b32 v[30:31], v1 offset0:224 offset1:240
	s_wait_dscnt 0x0
	s_barrier_signal -1
	v_pk_fma_f32 v[24:25], v[50:51], v[16:17], v[24:25] op_sel_hi:[1,0,1]
	v_pk_fma_f32 v[18:19], v[50:51], v[32:33], v[18:19] op_sel_hi:[1,0,1]
	v_dual_mov_b32 v16, v39 :: v_dual_mov_b32 v32, v43
	s_barrier_wait -1
	s_delay_alu instid0(VALU_DEP_3) | instskip(NEXT) | instid1(VALU_DEP_3)
	v_pk_fma_f32 v[24:25], v[52:53], v[36:37], v[24:25] op_sel_hi:[1,0,1]
	v_pk_fma_f32 v[18:19], v[52:53], v[40:41], v[18:19] op_sel_hi:[1,0,1]
	s_delay_alu instid0(VALU_DEP_2) | instskip(NEXT) | instid1(VALU_DEP_2)
	v_pk_fma_f32 v[24:25], v[44:45], v[36:37], v[24:25] op_sel:[0,1,0]
	v_pk_fma_f32 v[18:19], v[44:45], v[40:41], v[18:19] op_sel:[0,1,0]
	s_delay_alu instid0(VALU_DEP_2) | instskip(NEXT) | instid1(VALU_DEP_2)
	v_pk_fma_f32 v[24:25], v[28:29], v[38:39], v[24:25] op_sel_hi:[1,0,1]
	v_pk_fma_f32 v[18:19], v[28:29], v[42:43], v[18:19] op_sel_hi:[1,0,1]
	s_delay_alu instid0(VALU_DEP_2) | instskip(NEXT) | instid1(VALU_DEP_2)
	v_pk_fma_f32 v[24:25], v[30:31], v[16:17], v[24:25] op_sel_hi:[1,0,1]
	v_pk_fma_f32 v[18:19], v[30:31], v[32:33], v[18:19] op_sel_hi:[1,0,1]
	s_cbranch_vccz .LBB169_15
.LBB169_9:                              ;   Parent Loop BB169_6 Depth=1
                                        ; =>  This Inner Loop Header: Depth=2
	v_mov_b32_e32 v28, 0
	s_and_saveexec_b32 s27, s0
	s_cbranch_execz .LBB169_13
; %bb.10:                               ;   in Loop: Header=BB169_9 Depth=2
	v_dual_add_nc_u32 v16, s2, v2 :: v_dual_mov_b32 v28, 0
	s_mov_b32 s28, exec_lo
	s_delay_alu instid0(VALU_DEP_1)
	v_cmpx_gt_u64_e64 s[20:21], v[16:17]
	s_cbranch_execz .LBB169_12
; %bb.11:                               ;   in Loop: Header=BB169_9 Depth=2
	v_lshl_add_u64 v[28:29], v[16:17], 2, v[20:21]
	global_load_b32 v28, v[28:29], off
.LBB169_12:                             ;   in Loop: Header=BB169_9 Depth=2
	s_wait_xcnt 0x0
	s_or_b32 exec_lo, exec_lo, s28
.LBB169_13:                             ;   in Loop: Header=BB169_9 Depth=2
	s_delay_alu instid0(SALU_CYCLE_1)
	s_or_b32 exec_lo, exec_lo, s27
	v_dual_mov_b32 v29, 0 :: v_dual_add_nc_u32 v16, s2, v0
	s_wait_loadcnt 0x0
	ds_store_b32 v26, v28
	v_cmp_gt_u64_e32 vcc_lo, s[20:21], v[16:17]
	s_and_b32 s28, vcc_lo, s1
	s_delay_alu instid0(SALU_CYCLE_1)
	s_and_saveexec_b32 s27, s28
	s_cbranch_execz .LBB169_8
; %bb.14:                               ;   in Loop: Header=BB169_9 Depth=2
	v_mul_u64_e32 v[28:29], s[16:17], v[16:17]
	s_delay_alu instid0(VALU_DEP_1)
	v_lshl_add_u64 v[28:29], v[28:29], 2, v[22:23]
	global_load_b32 v29, v[28:29], off
	s_branch .LBB169_8
.LBB169_15:                             ;   in Loop: Header=BB169_6 Depth=1
	s_mul_u64 s[2:3], s[6:7], s[24:25]
	s_delay_alu instid0(SALU_CYCLE_1) | instskip(NEXT) | instid1(SALU_CYCLE_1)
	s_lshl_b64 s[2:3], s[2:3], 2
	s_add_nc_u64 s[2:3], s[12:13], s[2:3]
	s_delay_alu instid0(SALU_CYCLE_1)
	v_lshl_add_u64 v[20:21], v[4:5], 2, s[2:3]
	s_and_saveexec_b32 s27, s11
	s_cbranch_execz .LBB169_19
; %bb.16:                               ;   in Loop: Header=BB169_6 Depth=1
	v_mul_f32_e32 v16, s22, v24
	s_delay_alu instid0(VALU_DEP_2)
	v_lshl_add_u64 v[22:23], v[8:9], 2, v[20:21]
	s_and_b32 vcc_lo, exec_lo, s10
	s_cbranch_vccz .LBB169_30
; %bb.17:                               ;   in Loop: Header=BB169_6 Depth=1
	global_load_b32 v24, v[22:23], off
	s_wait_loadcnt 0x0
	v_fma_f32 v24, s23, v24, v16
	global_store_b32 v[22:23], v24, off
	s_cbranch_execnz .LBB169_19
.LBB169_18:                             ;   in Loop: Header=BB169_6 Depth=1
	global_store_b32 v[22:23], v16, off
.LBB169_19:                             ;   in Loop: Header=BB169_6 Depth=1
	s_wait_xcnt 0x0
	s_or_b32 exec_lo, exec_lo, s27
	s_and_saveexec_b32 s27, s15
	s_cbranch_execz .LBB169_23
; %bb.20:                               ;   in Loop: Header=BB169_6 Depth=1
	v_mul_f32_e32 v16, s22, v25
	v_lshl_add_u64 v[20:21], v[10:11], 2, v[20:21]
	s_and_not1_b32 vcc_lo, exec_lo, s10
	s_cbranch_vccnz .LBB169_31
; %bb.21:                               ;   in Loop: Header=BB169_6 Depth=1
	global_load_b32 v22, v[20:21], off
	s_wait_loadcnt 0x0
	v_fma_f32 v22, s23, v22, v16
	global_store_b32 v[20:21], v22, off
	s_cbranch_execnz .LBB169_23
.LBB169_22:                             ;   in Loop: Header=BB169_6 Depth=1
	global_store_b32 v[20:21], v16, off
.LBB169_23:                             ;   in Loop: Header=BB169_6 Depth=1
	s_wait_xcnt 0x0
	s_or_b32 exec_lo, exec_lo, s27
	v_lshl_add_u64 v[20:21], v[6:7], 2, s[2:3]
	s_and_saveexec_b32 s2, s4
	s_cbranch_execz .LBB169_27
; %bb.24:                               ;   in Loop: Header=BB169_6 Depth=1
	v_mul_f32_e32 v16, s22, v18
	s_delay_alu instid0(VALU_DEP_2)
	v_lshl_add_u64 v[22:23], v[8:9], 2, v[20:21]
	s_and_not1_b32 vcc_lo, exec_lo, s10
	s_cbranch_vccnz .LBB169_32
; %bb.25:                               ;   in Loop: Header=BB169_6 Depth=1
	global_load_b32 v18, v[22:23], off
	s_wait_loadcnt 0x0
	v_fma_f32 v18, s23, v18, v16
	global_store_b32 v[22:23], v18, off
	s_cbranch_execnz .LBB169_27
.LBB169_26:                             ;   in Loop: Header=BB169_6 Depth=1
	global_store_b32 v[22:23], v16, off
.LBB169_27:                             ;   in Loop: Header=BB169_6 Depth=1
	s_wait_xcnt 0x0
	s_or_b32 exec_lo, exec_lo, s2
	s_and_saveexec_b32 s2, s5
	s_cbranch_execz .LBB169_5
; %bb.28:                               ;   in Loop: Header=BB169_6 Depth=1
	v_mul_f32_e32 v16, s22, v19
	v_lshl_add_u64 v[18:19], v[10:11], 2, v[20:21]
	s_and_not1_b32 vcc_lo, exec_lo, s10
	s_cbranch_vccnz .LBB169_33
; %bb.29:                               ;   in Loop: Header=BB169_6 Depth=1
	global_load_b32 v20, v[18:19], off
	s_wait_loadcnt 0x0
	v_fma_f32 v20, s23, v20, v16
	global_store_b32 v[18:19], v20, off
	s_cbranch_execnz .LBB169_5
	s_branch .LBB169_34
.LBB169_30:                             ;   in Loop: Header=BB169_6 Depth=1
	s_branch .LBB169_18
.LBB169_31:                             ;   in Loop: Header=BB169_6 Depth=1
	s_branch .LBB169_22
.LBB169_32:                             ;   in Loop: Header=BB169_6 Depth=1
	s_branch .LBB169_26
.LBB169_33:                             ;   in Loop: Header=BB169_6 Depth=1
.LBB169_34:                             ;   in Loop: Header=BB169_6 Depth=1
	global_store_b32 v[18:19], v16, off
	s_branch .LBB169_5
.LBB169_35:
	s_endpgm
	.section	.rodata,"a",@progbits
	.p2align	6, 0x0
	.amdhsa_kernel _ZL29rocblas_internal_gemmt_kernelIlLi16ELi32ELi8ELc67ELc84ELc85ELb0ELb0EffPKfPfEviT_T9_T10_S3_lS5_S3_lS4_T11_S3_li
		.amdhsa_group_segment_fixed_size 2048
		.amdhsa_private_segment_fixed_size 0
		.amdhsa_kernarg_size 108
		.amdhsa_user_sgpr_count 2
		.amdhsa_user_sgpr_dispatch_ptr 0
		.amdhsa_user_sgpr_queue_ptr 0
		.amdhsa_user_sgpr_kernarg_segment_ptr 1
		.amdhsa_user_sgpr_dispatch_id 0
		.amdhsa_user_sgpr_kernarg_preload_length 0
		.amdhsa_user_sgpr_kernarg_preload_offset 0
		.amdhsa_user_sgpr_private_segment_size 0
		.amdhsa_wavefront_size32 1
		.amdhsa_uses_dynamic_stack 0
		.amdhsa_enable_private_segment 0
		.amdhsa_system_sgpr_workgroup_id_x 1
		.amdhsa_system_sgpr_workgroup_id_y 1
		.amdhsa_system_sgpr_workgroup_id_z 1
		.amdhsa_system_sgpr_workgroup_info 0
		.amdhsa_system_vgpr_workitem_id 1
		.amdhsa_next_free_vgpr 54
		.amdhsa_next_free_sgpr 30
		.amdhsa_named_barrier_count 0
		.amdhsa_reserve_vcc 1
		.amdhsa_float_round_mode_32 0
		.amdhsa_float_round_mode_16_64 0
		.amdhsa_float_denorm_mode_32 3
		.amdhsa_float_denorm_mode_16_64 3
		.amdhsa_fp16_overflow 0
		.amdhsa_memory_ordered 1
		.amdhsa_forward_progress 1
		.amdhsa_inst_pref_size 13
		.amdhsa_round_robin_scheduling 0
		.amdhsa_exception_fp_ieee_invalid_op 0
		.amdhsa_exception_fp_denorm_src 0
		.amdhsa_exception_fp_ieee_div_zero 0
		.amdhsa_exception_fp_ieee_overflow 0
		.amdhsa_exception_fp_ieee_underflow 0
		.amdhsa_exception_fp_ieee_inexact 0
		.amdhsa_exception_int_div_zero 0
	.end_amdhsa_kernel
	.section	.text._ZL29rocblas_internal_gemmt_kernelIlLi16ELi32ELi8ELc67ELc84ELc85ELb0ELb0EffPKfPfEviT_T9_T10_S3_lS5_S3_lS4_T11_S3_li,"axG",@progbits,_ZL29rocblas_internal_gemmt_kernelIlLi16ELi32ELi8ELc67ELc84ELc85ELb0ELb0EffPKfPfEviT_T9_T10_S3_lS5_S3_lS4_T11_S3_li,comdat
.Lfunc_end169:
	.size	_ZL29rocblas_internal_gemmt_kernelIlLi16ELi32ELi8ELc67ELc84ELc85ELb0ELb0EffPKfPfEviT_T9_T10_S3_lS5_S3_lS4_T11_S3_li, .Lfunc_end169-_ZL29rocblas_internal_gemmt_kernelIlLi16ELi32ELi8ELc67ELc84ELc85ELb0ELb0EffPKfPfEviT_T9_T10_S3_lS5_S3_lS4_T11_S3_li
                                        ; -- End function
	.set _ZL29rocblas_internal_gemmt_kernelIlLi16ELi32ELi8ELc67ELc84ELc85ELb0ELb0EffPKfPfEviT_T9_T10_S3_lS5_S3_lS4_T11_S3_li.num_vgpr, 54
	.set _ZL29rocblas_internal_gemmt_kernelIlLi16ELi32ELi8ELc67ELc84ELc85ELb0ELb0EffPKfPfEviT_T9_T10_S3_lS5_S3_lS4_T11_S3_li.num_agpr, 0
	.set _ZL29rocblas_internal_gemmt_kernelIlLi16ELi32ELi8ELc67ELc84ELc85ELb0ELb0EffPKfPfEviT_T9_T10_S3_lS5_S3_lS4_T11_S3_li.numbered_sgpr, 30
	.set _ZL29rocblas_internal_gemmt_kernelIlLi16ELi32ELi8ELc67ELc84ELc85ELb0ELb0EffPKfPfEviT_T9_T10_S3_lS5_S3_lS4_T11_S3_li.num_named_barrier, 0
	.set _ZL29rocblas_internal_gemmt_kernelIlLi16ELi32ELi8ELc67ELc84ELc85ELb0ELb0EffPKfPfEviT_T9_T10_S3_lS5_S3_lS4_T11_S3_li.private_seg_size, 0
	.set _ZL29rocblas_internal_gemmt_kernelIlLi16ELi32ELi8ELc67ELc84ELc85ELb0ELb0EffPKfPfEviT_T9_T10_S3_lS5_S3_lS4_T11_S3_li.uses_vcc, 1
	.set _ZL29rocblas_internal_gemmt_kernelIlLi16ELi32ELi8ELc67ELc84ELc85ELb0ELb0EffPKfPfEviT_T9_T10_S3_lS5_S3_lS4_T11_S3_li.uses_flat_scratch, 0
	.set _ZL29rocblas_internal_gemmt_kernelIlLi16ELi32ELi8ELc67ELc84ELc85ELb0ELb0EffPKfPfEviT_T9_T10_S3_lS5_S3_lS4_T11_S3_li.has_dyn_sized_stack, 0
	.set _ZL29rocblas_internal_gemmt_kernelIlLi16ELi32ELi8ELc67ELc84ELc85ELb0ELb0EffPKfPfEviT_T9_T10_S3_lS5_S3_lS4_T11_S3_li.has_recursion, 0
	.set _ZL29rocblas_internal_gemmt_kernelIlLi16ELi32ELi8ELc67ELc84ELc85ELb0ELb0EffPKfPfEviT_T9_T10_S3_lS5_S3_lS4_T11_S3_li.has_indirect_call, 0
	.section	.AMDGPU.csdata,"",@progbits
; Kernel info:
; codeLenInByte = 1608
; TotalNumSgprs: 32
; NumVgprs: 54
; ScratchSize: 0
; MemoryBound: 0
; FloatMode: 240
; IeeeMode: 1
; LDSByteSize: 2048 bytes/workgroup (compile time only)
; SGPRBlocks: 0
; VGPRBlocks: 3
; NumSGPRsForWavesPerEU: 32
; NumVGPRsForWavesPerEU: 54
; NamedBarCnt: 0
; Occupancy: 16
; WaveLimiterHint : 0
; COMPUTE_PGM_RSRC2:SCRATCH_EN: 0
; COMPUTE_PGM_RSRC2:USER_SGPR: 2
; COMPUTE_PGM_RSRC2:TRAP_HANDLER: 0
; COMPUTE_PGM_RSRC2:TGID_X_EN: 1
; COMPUTE_PGM_RSRC2:TGID_Y_EN: 1
; COMPUTE_PGM_RSRC2:TGID_Z_EN: 1
; COMPUTE_PGM_RSRC2:TIDIG_COMP_CNT: 1
	.section	.text._ZL29rocblas_internal_gemmt_kernelIlLi16ELi32ELi8ELc67ELc67ELc85ELb0ELb0EffPKfPfEviT_T9_T10_S3_lS5_S3_lS4_T11_S3_li,"axG",@progbits,_ZL29rocblas_internal_gemmt_kernelIlLi16ELi32ELi8ELc67ELc67ELc85ELb0ELb0EffPKfPfEviT_T9_T10_S3_lS5_S3_lS4_T11_S3_li,comdat
	.globl	_ZL29rocblas_internal_gemmt_kernelIlLi16ELi32ELi8ELc67ELc67ELc85ELb0ELb0EffPKfPfEviT_T9_T10_S3_lS5_S3_lS4_T11_S3_li ; -- Begin function _ZL29rocblas_internal_gemmt_kernelIlLi16ELi32ELi8ELc67ELc67ELc85ELb0ELb0EffPKfPfEviT_T9_T10_S3_lS5_S3_lS4_T11_S3_li
	.p2align	8
	.type	_ZL29rocblas_internal_gemmt_kernelIlLi16ELi32ELi8ELc67ELc67ELc85ELb0ELb0EffPKfPfEviT_T9_T10_S3_lS5_S3_lS4_T11_S3_li,@function
_ZL29rocblas_internal_gemmt_kernelIlLi16ELi32ELi8ELc67ELc67ELc85ELb0ELb0EffPKfPfEviT_T9_T10_S3_lS5_S3_lS4_T11_S3_li: ; @_ZL29rocblas_internal_gemmt_kernelIlLi16ELi32ELi8ELc67ELc67ELc85ELb0ELb0EffPKfPfEviT_T9_T10_S3_lS5_S3_lS4_T11_S3_li
; %bb.0:
	s_clause 0x1
	s_load_b32 s23, s[0:1], 0x48
	s_load_b96 s[20:22], s[0:1], 0x8
	s_wait_kmcnt 0x0
	s_cmp_neq_f32 s23, 1.0
	s_cselect_b32 s2, -1, 0
	s_delay_alu instid0(SALU_CYCLE_1)
	s_and_b32 vcc_lo, exec_lo, s2
	s_cbranch_vccnz .LBB170_2
; %bb.1:
	s_cmp_lg_u64 s[20:21], 0
	s_cselect_b32 s2, -1, 0
	s_cmp_neq_f32 s22, 0
	s_cselect_b32 s3, -1, 0
	s_delay_alu instid0(SALU_CYCLE_1)
	s_and_b32 s2, s2, s3
.LBB170_2:
	s_delay_alu instid0(SALU_CYCLE_1)
	s_and_not1_b32 vcc_lo, exec_lo, s2
	s_cbranch_vccnz .LBB170_35
; %bb.3:
	s_load_b32 s26, s[0:1], 0x68
	s_bfe_u32 s2, ttmp6, 0x40014
	s_lshr_b32 s3, ttmp7, 16
	s_add_co_i32 s2, s2, 1
	s_bfe_u32 s5, ttmp6, 0x40008
	s_mul_i32 s4, s3, s2
	s_getreg_b32 s2, hwreg(HW_REG_IB_STS2, 6, 4)
	s_add_co_i32 s5, s5, s4
	s_cmp_eq_u32 s2, 0
	s_mov_b32 s25, 0
	s_cselect_b32 s24, s3, s5
	s_wait_kmcnt 0x0
	s_cmp_ge_u32 s24, s26
	s_cbranch_scc1 .LBB170_35
; %bb.4:
	s_bfe_u32 s12, ttmp6, 0x4000c
	s_bfe_u32 s13, ttmp6, 0x40010
	v_and_b32_e32 v8, 0x3ff, v0
	v_bfe_u32 v2, v0, 10, 10
	s_add_co_i32 s12, s12, 1
	s_and_b32 s14, ttmp7, 0xffff
	s_add_co_i32 s13, s13, 1
	s_and_b32 s3, ttmp6, 15
	s_mul_i32 s12, ttmp9, s12
	s_mul_i32 s13, s14, s13
	s_bfe_u32 s15, ttmp6, 0x40004
	s_load_b256 s[4:11], s[0:1], 0x18
	v_lshl_add_u32 v4, v2, 4, v8
	s_add_co_i32 s3, s3, s12
	s_add_co_i32 s15, s15, s13
	s_cmp_eq_u32 s2, 0
	v_lshl_add_u32 v3, v2, 5, 0x400
	s_cselect_b32 s2, ttmp9, s3
	s_cselect_b32 s3, s14, s15
	s_lshl_b32 s2, s2, 5
	s_lshl_b32 s3, s3, 5
	s_delay_alu instid0(SALU_CYCLE_1)
	v_dual_add_nc_u32 v16, s3, v2 :: v_dual_bitop2_b32 v9, 31, v4 bitop3:0x40
	s_clause 0x1
	s_load_b128 s[12:15], s[0:1], 0x50
	s_load_b128 s[16:19], s[0:1], 0x38
	v_dual_lshrrev_b32 v2, 5, v4 :: v_dual_lshrrev_b32 v11, 3, v4
	v_dual_add_nc_u32 v18, 16, v16 :: v_dual_bitop2_b32 v12, s2, v9 bitop3:0x54
	v_and_b32_e32 v0, 7, v0
	v_dual_lshlrev_b32 v1, 2, v8 :: v_dual_add_nc_u32 v8, s2, v8
	s_delay_alu instid0(VALU_DEP_3) | instskip(NEXT) | instid1(VALU_DEP_3)
	v_dual_ashrrev_i32 v13, 31, v12 :: v_dual_ashrrev_i32 v19, 31, v18
	v_dual_add_nc_u32 v20, s3, v11 :: v_dual_lshlrev_b32 v10, 2, v0
	v_lshlrev_b32_e32 v9, 2, v9
	s_wait_kmcnt 0x0
	s_delay_alu instid0(VALU_DEP_3)
	v_mul_u64_e32 v[14:15], s[6:7], v[12:13]
	s_clause 0x1
	s_load_b32 s27, s[0:1], 0x0
	s_load_b64 s[6:7], s[0:1], 0x60
	s_cmp_neq_f32 s22, 0
	v_lshl_or_b32 v11, v11, 5, v10
	v_add_nc_u32_e32 v10, 16, v8
	v_lshl_or_b32 v26, v2, 7, v9
	v_ashrrev_i32_e32 v9, 31, v8
	v_ashrrev_i32_e32 v17, 31, v16
	v_mul_u64_e32 v[6:7], s[14:15], v[18:19]
	v_add_nc_u32_e32 v27, 0x400, v11
	v_ashrrev_i32_e32 v11, 31, v10
	v_cmp_le_i32_e32 vcc_lo, v8, v16
	v_mul_u64_e32 v[4:5], s[14:15], v[16:17]
	v_dual_ashrrev_i32 v21, 31, v20 :: v_dual_mov_b32 v17, 0
	s_cselect_b32 s14, -1, 0
	s_cmp_neq_f32 s23, 0
	v_cmp_gt_i64_e64 s28, s[20:21], 0
	s_wait_kmcnt 0x0
	v_cmp_gt_i32_e64 s2, s27, v16
	v_cmp_gt_i32_e64 s0, s27, v12
	v_lshl_add_u64 v[12:13], v[20:21], 2, s[10:11]
	s_cselect_b32 s10, -1, 0
	v_cmp_gt_i32_e64 s3, s27, v18
	s_and_b32 s11, s2, vcc_lo
	v_cmp_le_i32_e32 vcc_lo, v10, v16
	v_cmp_gt_i32_e64 s1, s27, v20
	s_and_b32 s14, s14, s28
	s_and_b32 s15, s2, vcc_lo
	v_lshl_add_u64 v[14:15], v[14:15], 2, s[4:5]
	v_cmp_le_i32_e64 s4, v8, v18
	v_cmp_le_i32_e64 s5, v10, v18
	s_and_b32 s4, s3, s4
	s_and_b32 s5, s3, s5
	s_branch .LBB170_6
.LBB170_5:                              ;   in Loop: Header=BB170_6 Depth=1
	s_wait_xcnt 0x0
	s_or_b32 exec_lo, exec_lo, s2
	s_add_co_i32 s24, s24, 0x10000
	s_delay_alu instid0(SALU_CYCLE_1)
	s_cmp_lt_u32 s24, s26
	s_cbranch_scc0 .LBB170_35
.LBB170_6:                              ; =>This Loop Header: Depth=1
                                        ;     Child Loop BB170_9 Depth 2
	v_dual_mov_b32 v25, v17 :: v_dual_mov_b32 v24, v17
	v_dual_mov_b32 v19, v17 :: v_dual_mov_b32 v18, v17
	s_and_not1_b32 vcc_lo, exec_lo, s14
	s_cbranch_vccnz .LBB170_15
; %bb.7:                                ;   in Loop: Header=BB170_6 Depth=1
	v_mov_b32_e32 v18, 0
	s_mul_u64 s[2:3], s[8:9], s[24:25]
	s_mul_u64 s[28:29], s[18:19], s[24:25]
	v_lshl_add_u64 v[20:21], s[2:3], 2, v[14:15]
	v_lshl_add_u64 v[22:23], s[28:29], 2, v[12:13]
	v_dual_mov_b32 v19, v18 :: v_dual_mov_b32 v24, v18
	v_mov_b32_e32 v25, v18
	s_mov_b64 s[2:3], 0
	s_branch .LBB170_9
.LBB170_8:                              ;   in Loop: Header=BB170_9 Depth=2
	s_wait_xcnt 0x0
	s_or_b32 exec_lo, exec_lo, s27
	s_wait_loadcnt 0x0
	ds_store_b32 v27, v29
	s_wait_dscnt 0x0
	s_barrier_signal -1
	s_barrier_wait -1
	ds_load_b128 v[28:31], v3
	ds_load_2addr_b32 v[44:45], v1 offset1:16
	ds_load_b128 v[32:35], v3 offset:512
	ds_load_2addr_b32 v[46:47], v1 offset0:32 offset1:48
	ds_load_2addr_b32 v[48:49], v1 offset0:64 offset1:80
	;; [unrolled: 1-line block ×3, first 2 shown]
	ds_load_b128 v[36:39], v3 offset:16
	ds_load_2addr_b32 v[52:53], v1 offset0:128 offset1:144
	ds_load_b128 v[40:43], v3 offset:528
	s_add_nc_u64 s[2:3], s[2:3], 8
	s_delay_alu instid0(SALU_CYCLE_1)
	v_cmp_gt_i64_e64 s27, s[20:21], s[2:3]
	s_and_b32 vcc_lo, exec_lo, s27
	s_wait_dscnt 0x8
	v_mov_b32_e32 v16, v31
	s_wait_dscnt 0x7
	v_pk_fma_f32 v[24:25], v[44:45], v[28:29], v[24:25] op_sel_hi:[1,0,1]
	s_wait_dscnt 0x6
	v_pk_fma_f32 v[18:19], v[44:45], v[32:33], v[18:19] op_sel_hi:[1,0,1]
	ds_load_2addr_b32 v[44:45], v1 offset0:160 offset1:176
	s_wait_dscnt 0x6
	v_pk_fma_f32 v[24:25], v[46:47], v[28:29], v[24:25] op_sel:[0,1,0]
	v_pk_fma_f32 v[18:19], v[46:47], v[32:33], v[18:19] op_sel:[0,1,0]
	ds_load_2addr_b32 v[28:29], v1 offset0:192 offset1:208
	v_mov_b32_e32 v32, v35
	s_wait_dscnt 0x6
	v_pk_fma_f32 v[24:25], v[48:49], v[30:31], v[24:25] op_sel_hi:[1,0,1]
	v_pk_fma_f32 v[18:19], v[48:49], v[34:35], v[18:19] op_sel_hi:[1,0,1]
	ds_load_2addr_b32 v[30:31], v1 offset0:224 offset1:240
	s_wait_dscnt 0x0
	s_barrier_signal -1
	v_pk_fma_f32 v[24:25], v[50:51], v[16:17], v[24:25] op_sel_hi:[1,0,1]
	v_pk_fma_f32 v[18:19], v[50:51], v[32:33], v[18:19] op_sel_hi:[1,0,1]
	v_dual_mov_b32 v16, v39 :: v_dual_mov_b32 v32, v43
	s_barrier_wait -1
	s_delay_alu instid0(VALU_DEP_3) | instskip(NEXT) | instid1(VALU_DEP_3)
	v_pk_fma_f32 v[24:25], v[52:53], v[36:37], v[24:25] op_sel_hi:[1,0,1]
	v_pk_fma_f32 v[18:19], v[52:53], v[40:41], v[18:19] op_sel_hi:[1,0,1]
	s_delay_alu instid0(VALU_DEP_2) | instskip(NEXT) | instid1(VALU_DEP_2)
	v_pk_fma_f32 v[24:25], v[44:45], v[36:37], v[24:25] op_sel:[0,1,0]
	v_pk_fma_f32 v[18:19], v[44:45], v[40:41], v[18:19] op_sel:[0,1,0]
	s_delay_alu instid0(VALU_DEP_2) | instskip(NEXT) | instid1(VALU_DEP_2)
	v_pk_fma_f32 v[24:25], v[28:29], v[38:39], v[24:25] op_sel_hi:[1,0,1]
	v_pk_fma_f32 v[18:19], v[28:29], v[42:43], v[18:19] op_sel_hi:[1,0,1]
	s_delay_alu instid0(VALU_DEP_2) | instskip(NEXT) | instid1(VALU_DEP_2)
	v_pk_fma_f32 v[24:25], v[30:31], v[16:17], v[24:25] op_sel_hi:[1,0,1]
	v_pk_fma_f32 v[18:19], v[30:31], v[32:33], v[18:19] op_sel_hi:[1,0,1]
	s_cbranch_vccz .LBB170_15
.LBB170_9:                              ;   Parent Loop BB170_6 Depth=1
                                        ; =>  This Inner Loop Header: Depth=2
	v_mov_b32_e32 v28, 0
	s_and_saveexec_b32 s27, s0
	s_cbranch_execz .LBB170_13
; %bb.10:                               ;   in Loop: Header=BB170_9 Depth=2
	v_dual_add_nc_u32 v16, s2, v2 :: v_dual_mov_b32 v28, 0
	s_mov_b32 s28, exec_lo
	s_delay_alu instid0(VALU_DEP_1)
	v_cmpx_gt_u64_e64 s[20:21], v[16:17]
	s_cbranch_execz .LBB170_12
; %bb.11:                               ;   in Loop: Header=BB170_9 Depth=2
	v_lshl_add_u64 v[28:29], v[16:17], 2, v[20:21]
	global_load_b32 v28, v[28:29], off
.LBB170_12:                             ;   in Loop: Header=BB170_9 Depth=2
	s_wait_xcnt 0x0
	s_or_b32 exec_lo, exec_lo, s28
.LBB170_13:                             ;   in Loop: Header=BB170_9 Depth=2
	s_delay_alu instid0(SALU_CYCLE_1)
	s_or_b32 exec_lo, exec_lo, s27
	v_dual_mov_b32 v29, 0 :: v_dual_add_nc_u32 v16, s2, v0
	s_wait_loadcnt 0x0
	ds_store_b32 v26, v28
	v_cmp_gt_u64_e32 vcc_lo, s[20:21], v[16:17]
	s_and_b32 s28, vcc_lo, s1
	s_delay_alu instid0(SALU_CYCLE_1)
	s_and_saveexec_b32 s27, s28
	s_cbranch_execz .LBB170_8
; %bb.14:                               ;   in Loop: Header=BB170_9 Depth=2
	v_mul_u64_e32 v[28:29], s[16:17], v[16:17]
	s_delay_alu instid0(VALU_DEP_1)
	v_lshl_add_u64 v[28:29], v[28:29], 2, v[22:23]
	global_load_b32 v29, v[28:29], off
	s_branch .LBB170_8
.LBB170_15:                             ;   in Loop: Header=BB170_6 Depth=1
	s_mul_u64 s[2:3], s[6:7], s[24:25]
	s_delay_alu instid0(SALU_CYCLE_1) | instskip(NEXT) | instid1(SALU_CYCLE_1)
	s_lshl_b64 s[2:3], s[2:3], 2
	s_add_nc_u64 s[2:3], s[12:13], s[2:3]
	s_delay_alu instid0(SALU_CYCLE_1)
	v_lshl_add_u64 v[20:21], v[4:5], 2, s[2:3]
	s_and_saveexec_b32 s27, s11
	s_cbranch_execz .LBB170_19
; %bb.16:                               ;   in Loop: Header=BB170_6 Depth=1
	v_mul_f32_e32 v16, s22, v24
	s_delay_alu instid0(VALU_DEP_2)
	v_lshl_add_u64 v[22:23], v[8:9], 2, v[20:21]
	s_and_b32 vcc_lo, exec_lo, s10
	s_cbranch_vccz .LBB170_30
; %bb.17:                               ;   in Loop: Header=BB170_6 Depth=1
	global_load_b32 v24, v[22:23], off
	s_wait_loadcnt 0x0
	v_fma_f32 v24, s23, v24, v16
	global_store_b32 v[22:23], v24, off
	s_cbranch_execnz .LBB170_19
.LBB170_18:                             ;   in Loop: Header=BB170_6 Depth=1
	global_store_b32 v[22:23], v16, off
.LBB170_19:                             ;   in Loop: Header=BB170_6 Depth=1
	s_wait_xcnt 0x0
	s_or_b32 exec_lo, exec_lo, s27
	s_and_saveexec_b32 s27, s15
	s_cbranch_execz .LBB170_23
; %bb.20:                               ;   in Loop: Header=BB170_6 Depth=1
	v_mul_f32_e32 v16, s22, v25
	v_lshl_add_u64 v[20:21], v[10:11], 2, v[20:21]
	s_and_not1_b32 vcc_lo, exec_lo, s10
	s_cbranch_vccnz .LBB170_31
; %bb.21:                               ;   in Loop: Header=BB170_6 Depth=1
	global_load_b32 v22, v[20:21], off
	s_wait_loadcnt 0x0
	v_fma_f32 v22, s23, v22, v16
	global_store_b32 v[20:21], v22, off
	s_cbranch_execnz .LBB170_23
.LBB170_22:                             ;   in Loop: Header=BB170_6 Depth=1
	global_store_b32 v[20:21], v16, off
.LBB170_23:                             ;   in Loop: Header=BB170_6 Depth=1
	s_wait_xcnt 0x0
	s_or_b32 exec_lo, exec_lo, s27
	v_lshl_add_u64 v[20:21], v[6:7], 2, s[2:3]
	s_and_saveexec_b32 s2, s4
	s_cbranch_execz .LBB170_27
; %bb.24:                               ;   in Loop: Header=BB170_6 Depth=1
	v_mul_f32_e32 v16, s22, v18
	s_delay_alu instid0(VALU_DEP_2)
	v_lshl_add_u64 v[22:23], v[8:9], 2, v[20:21]
	s_and_not1_b32 vcc_lo, exec_lo, s10
	s_cbranch_vccnz .LBB170_32
; %bb.25:                               ;   in Loop: Header=BB170_6 Depth=1
	global_load_b32 v18, v[22:23], off
	s_wait_loadcnt 0x0
	v_fma_f32 v18, s23, v18, v16
	global_store_b32 v[22:23], v18, off
	s_cbranch_execnz .LBB170_27
.LBB170_26:                             ;   in Loop: Header=BB170_6 Depth=1
	global_store_b32 v[22:23], v16, off
.LBB170_27:                             ;   in Loop: Header=BB170_6 Depth=1
	s_wait_xcnt 0x0
	s_or_b32 exec_lo, exec_lo, s2
	s_and_saveexec_b32 s2, s5
	s_cbranch_execz .LBB170_5
; %bb.28:                               ;   in Loop: Header=BB170_6 Depth=1
	v_mul_f32_e32 v16, s22, v19
	v_lshl_add_u64 v[18:19], v[10:11], 2, v[20:21]
	s_and_not1_b32 vcc_lo, exec_lo, s10
	s_cbranch_vccnz .LBB170_33
; %bb.29:                               ;   in Loop: Header=BB170_6 Depth=1
	global_load_b32 v20, v[18:19], off
	s_wait_loadcnt 0x0
	v_fma_f32 v20, s23, v20, v16
	global_store_b32 v[18:19], v20, off
	s_cbranch_execnz .LBB170_5
	s_branch .LBB170_34
.LBB170_30:                             ;   in Loop: Header=BB170_6 Depth=1
	s_branch .LBB170_18
.LBB170_31:                             ;   in Loop: Header=BB170_6 Depth=1
	s_branch .LBB170_22
.LBB170_32:                             ;   in Loop: Header=BB170_6 Depth=1
	s_branch .LBB170_26
.LBB170_33:                             ;   in Loop: Header=BB170_6 Depth=1
.LBB170_34:                             ;   in Loop: Header=BB170_6 Depth=1
	global_store_b32 v[18:19], v16, off
	s_branch .LBB170_5
.LBB170_35:
	s_endpgm
	.section	.rodata,"a",@progbits
	.p2align	6, 0x0
	.amdhsa_kernel _ZL29rocblas_internal_gemmt_kernelIlLi16ELi32ELi8ELc67ELc67ELc85ELb0ELb0EffPKfPfEviT_T9_T10_S3_lS5_S3_lS4_T11_S3_li
		.amdhsa_group_segment_fixed_size 2048
		.amdhsa_private_segment_fixed_size 0
		.amdhsa_kernarg_size 108
		.amdhsa_user_sgpr_count 2
		.amdhsa_user_sgpr_dispatch_ptr 0
		.amdhsa_user_sgpr_queue_ptr 0
		.amdhsa_user_sgpr_kernarg_segment_ptr 1
		.amdhsa_user_sgpr_dispatch_id 0
		.amdhsa_user_sgpr_kernarg_preload_length 0
		.amdhsa_user_sgpr_kernarg_preload_offset 0
		.amdhsa_user_sgpr_private_segment_size 0
		.amdhsa_wavefront_size32 1
		.amdhsa_uses_dynamic_stack 0
		.amdhsa_enable_private_segment 0
		.amdhsa_system_sgpr_workgroup_id_x 1
		.amdhsa_system_sgpr_workgroup_id_y 1
		.amdhsa_system_sgpr_workgroup_id_z 1
		.amdhsa_system_sgpr_workgroup_info 0
		.amdhsa_system_vgpr_workitem_id 1
		.amdhsa_next_free_vgpr 54
		.amdhsa_next_free_sgpr 30
		.amdhsa_named_barrier_count 0
		.amdhsa_reserve_vcc 1
		.amdhsa_float_round_mode_32 0
		.amdhsa_float_round_mode_16_64 0
		.amdhsa_float_denorm_mode_32 3
		.amdhsa_float_denorm_mode_16_64 3
		.amdhsa_fp16_overflow 0
		.amdhsa_memory_ordered 1
		.amdhsa_forward_progress 1
		.amdhsa_inst_pref_size 13
		.amdhsa_round_robin_scheduling 0
		.amdhsa_exception_fp_ieee_invalid_op 0
		.amdhsa_exception_fp_denorm_src 0
		.amdhsa_exception_fp_ieee_div_zero 0
		.amdhsa_exception_fp_ieee_overflow 0
		.amdhsa_exception_fp_ieee_underflow 0
		.amdhsa_exception_fp_ieee_inexact 0
		.amdhsa_exception_int_div_zero 0
	.end_amdhsa_kernel
	.section	.text._ZL29rocblas_internal_gemmt_kernelIlLi16ELi32ELi8ELc67ELc67ELc85ELb0ELb0EffPKfPfEviT_T9_T10_S3_lS5_S3_lS4_T11_S3_li,"axG",@progbits,_ZL29rocblas_internal_gemmt_kernelIlLi16ELi32ELi8ELc67ELc67ELc85ELb0ELb0EffPKfPfEviT_T9_T10_S3_lS5_S3_lS4_T11_S3_li,comdat
.Lfunc_end170:
	.size	_ZL29rocblas_internal_gemmt_kernelIlLi16ELi32ELi8ELc67ELc67ELc85ELb0ELb0EffPKfPfEviT_T9_T10_S3_lS5_S3_lS4_T11_S3_li, .Lfunc_end170-_ZL29rocblas_internal_gemmt_kernelIlLi16ELi32ELi8ELc67ELc67ELc85ELb0ELb0EffPKfPfEviT_T9_T10_S3_lS5_S3_lS4_T11_S3_li
                                        ; -- End function
	.set _ZL29rocblas_internal_gemmt_kernelIlLi16ELi32ELi8ELc67ELc67ELc85ELb0ELb0EffPKfPfEviT_T9_T10_S3_lS5_S3_lS4_T11_S3_li.num_vgpr, 54
	.set _ZL29rocblas_internal_gemmt_kernelIlLi16ELi32ELi8ELc67ELc67ELc85ELb0ELb0EffPKfPfEviT_T9_T10_S3_lS5_S3_lS4_T11_S3_li.num_agpr, 0
	.set _ZL29rocblas_internal_gemmt_kernelIlLi16ELi32ELi8ELc67ELc67ELc85ELb0ELb0EffPKfPfEviT_T9_T10_S3_lS5_S3_lS4_T11_S3_li.numbered_sgpr, 30
	.set _ZL29rocblas_internal_gemmt_kernelIlLi16ELi32ELi8ELc67ELc67ELc85ELb0ELb0EffPKfPfEviT_T9_T10_S3_lS5_S3_lS4_T11_S3_li.num_named_barrier, 0
	.set _ZL29rocblas_internal_gemmt_kernelIlLi16ELi32ELi8ELc67ELc67ELc85ELb0ELb0EffPKfPfEviT_T9_T10_S3_lS5_S3_lS4_T11_S3_li.private_seg_size, 0
	.set _ZL29rocblas_internal_gemmt_kernelIlLi16ELi32ELi8ELc67ELc67ELc85ELb0ELb0EffPKfPfEviT_T9_T10_S3_lS5_S3_lS4_T11_S3_li.uses_vcc, 1
	.set _ZL29rocblas_internal_gemmt_kernelIlLi16ELi32ELi8ELc67ELc67ELc85ELb0ELb0EffPKfPfEviT_T9_T10_S3_lS5_S3_lS4_T11_S3_li.uses_flat_scratch, 0
	.set _ZL29rocblas_internal_gemmt_kernelIlLi16ELi32ELi8ELc67ELc67ELc85ELb0ELb0EffPKfPfEviT_T9_T10_S3_lS5_S3_lS4_T11_S3_li.has_dyn_sized_stack, 0
	.set _ZL29rocblas_internal_gemmt_kernelIlLi16ELi32ELi8ELc67ELc67ELc85ELb0ELb0EffPKfPfEviT_T9_T10_S3_lS5_S3_lS4_T11_S3_li.has_recursion, 0
	.set _ZL29rocblas_internal_gemmt_kernelIlLi16ELi32ELi8ELc67ELc67ELc85ELb0ELb0EffPKfPfEviT_T9_T10_S3_lS5_S3_lS4_T11_S3_li.has_indirect_call, 0
	.section	.AMDGPU.csdata,"",@progbits
; Kernel info:
; codeLenInByte = 1608
; TotalNumSgprs: 32
; NumVgprs: 54
; ScratchSize: 0
; MemoryBound: 0
; FloatMode: 240
; IeeeMode: 1
; LDSByteSize: 2048 bytes/workgroup (compile time only)
; SGPRBlocks: 0
; VGPRBlocks: 3
; NumSGPRsForWavesPerEU: 32
; NumVGPRsForWavesPerEU: 54
; NamedBarCnt: 0
; Occupancy: 16
; WaveLimiterHint : 0
; COMPUTE_PGM_RSRC2:SCRATCH_EN: 0
; COMPUTE_PGM_RSRC2:USER_SGPR: 2
; COMPUTE_PGM_RSRC2:TRAP_HANDLER: 0
; COMPUTE_PGM_RSRC2:TGID_X_EN: 1
; COMPUTE_PGM_RSRC2:TGID_Y_EN: 1
; COMPUTE_PGM_RSRC2:TGID_Z_EN: 1
; COMPUTE_PGM_RSRC2:TIDIG_COMP_CNT: 1
	.section	.text._ZL29rocblas_internal_gemmt_kernelIlLi16ELi32ELi8ELc78ELc78ELc76ELb0ELb0EffPKfPfEviT_T9_T10_S3_lS5_S3_lS4_T11_S3_li,"axG",@progbits,_ZL29rocblas_internal_gemmt_kernelIlLi16ELi32ELi8ELc78ELc78ELc76ELb0ELb0EffPKfPfEviT_T9_T10_S3_lS5_S3_lS4_T11_S3_li,comdat
	.globl	_ZL29rocblas_internal_gemmt_kernelIlLi16ELi32ELi8ELc78ELc78ELc76ELb0ELb0EffPKfPfEviT_T9_T10_S3_lS5_S3_lS4_T11_S3_li ; -- Begin function _ZL29rocblas_internal_gemmt_kernelIlLi16ELi32ELi8ELc78ELc78ELc76ELb0ELb0EffPKfPfEviT_T9_T10_S3_lS5_S3_lS4_T11_S3_li
	.p2align	8
	.type	_ZL29rocblas_internal_gemmt_kernelIlLi16ELi32ELi8ELc78ELc78ELc76ELb0ELb0EffPKfPfEviT_T9_T10_S3_lS5_S3_lS4_T11_S3_li,@function
_ZL29rocblas_internal_gemmt_kernelIlLi16ELi32ELi8ELc78ELc78ELc76ELb0ELb0EffPKfPfEviT_T9_T10_S3_lS5_S3_lS4_T11_S3_li: ; @_ZL29rocblas_internal_gemmt_kernelIlLi16ELi32ELi8ELc78ELc78ELc76ELb0ELb0EffPKfPfEviT_T9_T10_S3_lS5_S3_lS4_T11_S3_li
; %bb.0:
	s_clause 0x1
	s_load_b32 s23, s[0:1], 0x48
	s_load_b96 s[20:22], s[0:1], 0x8
	s_wait_kmcnt 0x0
	s_cmp_neq_f32 s23, 1.0
	s_cselect_b32 s2, -1, 0
	s_delay_alu instid0(SALU_CYCLE_1)
	s_and_b32 vcc_lo, exec_lo, s2
	s_cbranch_vccnz .LBB171_2
; %bb.1:
	s_cmp_lg_u64 s[20:21], 0
	s_cselect_b32 s2, -1, 0
	s_cmp_neq_f32 s22, 0
	s_cselect_b32 s3, -1, 0
	s_delay_alu instid0(SALU_CYCLE_1)
	s_and_b32 s2, s2, s3
.LBB171_2:
	s_delay_alu instid0(SALU_CYCLE_1)
	s_and_not1_b32 vcc_lo, exec_lo, s2
	s_cbranch_vccnz .LBB171_35
; %bb.3:
	s_load_b32 s26, s[0:1], 0x68
	s_bfe_u32 s2, ttmp6, 0x40014
	s_lshr_b32 s3, ttmp7, 16
	s_add_co_i32 s2, s2, 1
	s_bfe_u32 s5, ttmp6, 0x40008
	s_mul_i32 s4, s3, s2
	s_getreg_b32 s2, hwreg(HW_REG_IB_STS2, 6, 4)
	s_add_co_i32 s5, s5, s4
	s_cmp_eq_u32 s2, 0
	s_mov_b32 s25, 0
	s_cselect_b32 s24, s3, s5
	s_wait_kmcnt 0x0
	s_cmp_ge_u32 s24, s26
	s_cbranch_scc1 .LBB171_35
; %bb.4:
	s_bfe_u32 s4, ttmp6, 0x4000c
	s_bfe_u32 s5, ttmp6, 0x40010
	v_and_b32_e32 v8, 0x3ff, v0
	v_bfe_u32 v2, v0, 10, 10
	s_add_co_i32 s4, s4, 1
	s_and_b32 s6, ttmp7, 0xffff
	s_add_co_i32 s5, s5, 1
	s_and_b32 s3, ttmp6, 15
	s_mul_i32 s4, ttmp9, s4
	s_mul_i32 s5, s6, s5
	s_bfe_u32 s7, ttmp6, 0x40004
	s_clause 0x1
	s_load_b128 s[12:15], s[0:1], 0x38
	s_load_b32 s27, s[0:1], 0x0
	v_lshl_add_u32 v4, v2, 4, v8
	s_add_co_i32 s3, s3, s4
	s_add_co_i32 s7, s7, s5
	s_cmp_eq_u32 s2, 0
	s_load_b128 s[16:19], s[0:1], 0x50
	s_cselect_b32 s2, s6, s7
	s_cselect_b32 s3, ttmp9, s3
	s_lshl_b32 s2, s2, 5
	s_delay_alu instid0(SALU_CYCLE_1) | instskip(SKIP_3) | instid1(VALU_DEP_4)
	v_dual_lshrrev_b32 v9, 3, v4 :: v_dual_add_nc_u32 v16, s2, v2
	v_and_b32_e32 v0, 7, v0
	v_lshl_add_u32 v3, v2, 5, 0x400
	v_dual_lshrrev_b32 v2, 5, v4 :: v_dual_bitop2_b32 v11, 31, v4 bitop3:0x40
	v_dual_add_nc_u32 v12, s2, v9 :: v_dual_add_nc_u32 v18, 16, v16
	v_ashrrev_i32_e32 v17, 31, v16
	v_cmp_gt_i64_e64 s28, s[20:21], 0
	s_delay_alu instid0(VALU_DEP_3) | instskip(SKIP_1) | instid1(VALU_DEP_1)
	v_dual_ashrrev_i32 v13, 31, v12 :: v_dual_ashrrev_i32 v19, 31, v18
	s_wait_kmcnt 0x0
	v_mul_u64_e32 v[14:15], s[12:13], v[12:13]
	v_mul_u64_e32 v[4:5], s[18:19], v[16:17]
	s_delay_alu instid0(VALU_DEP_3)
	v_mul_u64_e32 v[6:7], s[18:19], v[18:19]
	s_clause 0x1
	s_load_b256 s[4:11], s[0:1], 0x18
	s_load_b64 s[12:13], s[0:1], 0x60
	s_wait_xcnt 0x0
	s_lshl_b32 s0, s3, 5
	s_delay_alu instid0(SALU_CYCLE_1) | instskip(SKIP_3) | instid1(VALU_DEP_3)
	v_dual_lshlrev_b32 v10, 2, v0 :: v_dual_bitop2_b32 v20, s0, v11 bitop3:0x54
	v_dual_lshlrev_b32 v1, 2, v8 :: v_dual_add_nc_u32 v8, s0, v8
	s_cmp_neq_f32 s22, 0
	v_lshlrev_b32_e32 v11, 2, v11
	v_lshl_or_b32 v9, v9, 5, v10
	v_cmp_gt_i32_e64 s1, s27, v12
	v_cmp_le_i32_e32 vcc_lo, v16, v8
	v_add_nc_u32_e32 v10, 16, v8
	v_ashrrev_i32_e32 v21, 31, v20
	v_cmp_gt_i32_e64 s2, s27, v8
	s_cselect_b32 s18, -1, 0
	s_cmp_neq_f32 s23, 0
	v_lshl_or_b32 v26, v2, 7, v11
	v_cmp_gt_i32_e64 s3, s27, v10
	v_ashrrev_i32_e32 v11, 31, v10
	s_wait_kmcnt 0x0
	v_lshl_add_u64 v[12:13], v[20:21], 2, s[4:5]
	v_cmp_le_i32_e64 s4, v18, v8
	v_cmp_le_i32_e64 s5, v18, v10
	v_cmp_gt_i32_e64 s0, s27, v20
	v_add_nc_u32_e32 v27, 0x400, v9
	v_dual_ashrrev_i32 v9, 31, v8 :: v_dual_mov_b32 v17, 0
	v_lshl_add_u64 v[14:15], v[14:15], 2, s[10:11]
	s_cselect_b32 s10, -1, 0
	s_and_b32 s11, vcc_lo, s2
	v_cmp_le_i32_e32 vcc_lo, v16, v10
	s_and_b32 s18, s18, s28
	s_and_b32 s4, s4, s2
	;; [unrolled: 1-line block ×3, first 2 shown]
	s_and_b32 s19, vcc_lo, s3
	s_branch .LBB171_6
.LBB171_5:                              ;   in Loop: Header=BB171_6 Depth=1
	s_wait_xcnt 0x0
	s_or_b32 exec_lo, exec_lo, s2
	s_add_co_i32 s24, s24, 0x10000
	s_delay_alu instid0(SALU_CYCLE_1)
	s_cmp_lt_u32 s24, s26
	s_cbranch_scc0 .LBB171_35
.LBB171_6:                              ; =>This Loop Header: Depth=1
                                        ;     Child Loop BB171_9 Depth 2
	v_dual_mov_b32 v25, v17 :: v_dual_mov_b32 v24, v17
	v_dual_mov_b32 v19, v17 :: v_dual_mov_b32 v18, v17
	s_and_not1_b32 vcc_lo, exec_lo, s18
	s_cbranch_vccnz .LBB171_15
; %bb.7:                                ;   in Loop: Header=BB171_6 Depth=1
	v_mov_b32_e32 v18, 0
	s_mul_u64 s[2:3], s[8:9], s[24:25]
	s_mul_u64 s[28:29], s[14:15], s[24:25]
	v_lshl_add_u64 v[20:21], s[2:3], 2, v[12:13]
	v_lshl_add_u64 v[22:23], s[28:29], 2, v[14:15]
	v_dual_mov_b32 v19, v18 :: v_dual_mov_b32 v24, v18
	v_mov_b32_e32 v25, v18
	s_mov_b64 s[2:3], 0
	s_branch .LBB171_9
.LBB171_8:                              ;   in Loop: Header=BB171_9 Depth=2
	s_wait_xcnt 0x0
	s_or_b32 exec_lo, exec_lo, s27
	s_wait_loadcnt 0x0
	ds_store_b32 v27, v29
	s_wait_dscnt 0x0
	s_barrier_signal -1
	s_barrier_wait -1
	ds_load_b128 v[28:31], v3
	ds_load_2addr_b32 v[44:45], v1 offset1:16
	ds_load_b128 v[32:35], v3 offset:512
	ds_load_2addr_b32 v[46:47], v1 offset0:32 offset1:48
	ds_load_2addr_b32 v[48:49], v1 offset0:64 offset1:80
	ds_load_2addr_b32 v[50:51], v1 offset0:96 offset1:112
	ds_load_b128 v[36:39], v3 offset:16
	ds_load_2addr_b32 v[52:53], v1 offset0:128 offset1:144
	ds_load_b128 v[40:43], v3 offset:528
	s_add_nc_u64 s[2:3], s[2:3], 8
	s_delay_alu instid0(SALU_CYCLE_1)
	v_cmp_gt_i64_e64 s27, s[20:21], s[2:3]
	s_and_b32 vcc_lo, exec_lo, s27
	s_wait_dscnt 0x8
	v_mov_b32_e32 v16, v31
	s_wait_dscnt 0x7
	v_pk_fma_f32 v[24:25], v[44:45], v[28:29], v[24:25] op_sel_hi:[1,0,1]
	s_wait_dscnt 0x6
	v_pk_fma_f32 v[18:19], v[44:45], v[32:33], v[18:19] op_sel_hi:[1,0,1]
	ds_load_2addr_b32 v[44:45], v1 offset0:160 offset1:176
	s_wait_dscnt 0x6
	v_pk_fma_f32 v[24:25], v[46:47], v[28:29], v[24:25] op_sel:[0,1,0]
	v_pk_fma_f32 v[18:19], v[46:47], v[32:33], v[18:19] op_sel:[0,1,0]
	ds_load_2addr_b32 v[28:29], v1 offset0:192 offset1:208
	v_mov_b32_e32 v32, v35
	s_wait_dscnt 0x6
	v_pk_fma_f32 v[24:25], v[48:49], v[30:31], v[24:25] op_sel_hi:[1,0,1]
	v_pk_fma_f32 v[18:19], v[48:49], v[34:35], v[18:19] op_sel_hi:[1,0,1]
	ds_load_2addr_b32 v[30:31], v1 offset0:224 offset1:240
	s_wait_dscnt 0x0
	s_barrier_signal -1
	v_pk_fma_f32 v[24:25], v[50:51], v[16:17], v[24:25] op_sel_hi:[1,0,1]
	v_pk_fma_f32 v[18:19], v[50:51], v[32:33], v[18:19] op_sel_hi:[1,0,1]
	v_dual_mov_b32 v16, v39 :: v_dual_mov_b32 v32, v43
	s_barrier_wait -1
	s_delay_alu instid0(VALU_DEP_3) | instskip(NEXT) | instid1(VALU_DEP_3)
	v_pk_fma_f32 v[24:25], v[52:53], v[36:37], v[24:25] op_sel_hi:[1,0,1]
	v_pk_fma_f32 v[18:19], v[52:53], v[40:41], v[18:19] op_sel_hi:[1,0,1]
	s_delay_alu instid0(VALU_DEP_2) | instskip(NEXT) | instid1(VALU_DEP_2)
	v_pk_fma_f32 v[24:25], v[44:45], v[36:37], v[24:25] op_sel:[0,1,0]
	v_pk_fma_f32 v[18:19], v[44:45], v[40:41], v[18:19] op_sel:[0,1,0]
	s_delay_alu instid0(VALU_DEP_2) | instskip(NEXT) | instid1(VALU_DEP_2)
	v_pk_fma_f32 v[24:25], v[28:29], v[38:39], v[24:25] op_sel_hi:[1,0,1]
	v_pk_fma_f32 v[18:19], v[28:29], v[42:43], v[18:19] op_sel_hi:[1,0,1]
	s_delay_alu instid0(VALU_DEP_2) | instskip(NEXT) | instid1(VALU_DEP_2)
	v_pk_fma_f32 v[24:25], v[30:31], v[16:17], v[24:25] op_sel_hi:[1,0,1]
	v_pk_fma_f32 v[18:19], v[30:31], v[32:33], v[18:19] op_sel_hi:[1,0,1]
	s_cbranch_vccz .LBB171_15
.LBB171_9:                              ;   Parent Loop BB171_6 Depth=1
                                        ; =>  This Inner Loop Header: Depth=2
	v_mov_b32_e32 v28, 0
	s_and_saveexec_b32 s27, s0
	s_cbranch_execz .LBB171_13
; %bb.10:                               ;   in Loop: Header=BB171_9 Depth=2
	v_dual_add_nc_u32 v16, s2, v2 :: v_dual_mov_b32 v28, 0
	s_mov_b32 s28, exec_lo
	s_delay_alu instid0(VALU_DEP_1)
	v_cmpx_gt_u64_e64 s[20:21], v[16:17]
	s_cbranch_execz .LBB171_12
; %bb.11:                               ;   in Loop: Header=BB171_9 Depth=2
	v_mul_u64_e32 v[28:29], s[6:7], v[16:17]
	s_delay_alu instid0(VALU_DEP_1)
	v_lshl_add_u64 v[28:29], v[28:29], 2, v[20:21]
	global_load_b32 v28, v[28:29], off
.LBB171_12:                             ;   in Loop: Header=BB171_9 Depth=2
	s_wait_xcnt 0x0
	s_or_b32 exec_lo, exec_lo, s28
.LBB171_13:                             ;   in Loop: Header=BB171_9 Depth=2
	s_delay_alu instid0(SALU_CYCLE_1)
	s_or_b32 exec_lo, exec_lo, s27
	v_dual_mov_b32 v29, 0 :: v_dual_add_nc_u32 v16, s2, v0
	s_wait_loadcnt 0x0
	ds_store_b32 v26, v28
	v_cmp_gt_u64_e32 vcc_lo, s[20:21], v[16:17]
	s_and_b32 s28, vcc_lo, s1
	s_delay_alu instid0(SALU_CYCLE_1)
	s_and_saveexec_b32 s27, s28
	s_cbranch_execz .LBB171_8
; %bb.14:                               ;   in Loop: Header=BB171_9 Depth=2
	v_lshl_add_u64 v[28:29], v[16:17], 2, v[22:23]
	global_load_b32 v29, v[28:29], off
	s_branch .LBB171_8
.LBB171_15:                             ;   in Loop: Header=BB171_6 Depth=1
	s_mul_u64 s[2:3], s[12:13], s[24:25]
	s_delay_alu instid0(SALU_CYCLE_1) | instskip(NEXT) | instid1(SALU_CYCLE_1)
	s_lshl_b64 s[2:3], s[2:3], 2
	s_add_nc_u64 s[2:3], s[16:17], s[2:3]
	s_delay_alu instid0(SALU_CYCLE_1)
	v_lshl_add_u64 v[20:21], v[4:5], 2, s[2:3]
	s_and_saveexec_b32 s27, s11
	s_cbranch_execz .LBB171_19
; %bb.16:                               ;   in Loop: Header=BB171_6 Depth=1
	v_mul_f32_e32 v16, s22, v24
	s_delay_alu instid0(VALU_DEP_2)
	v_lshl_add_u64 v[22:23], v[8:9], 2, v[20:21]
	s_and_b32 vcc_lo, exec_lo, s10
	s_cbranch_vccz .LBB171_30
; %bb.17:                               ;   in Loop: Header=BB171_6 Depth=1
	global_load_b32 v24, v[22:23], off
	s_wait_loadcnt 0x0
	v_fma_f32 v24, s23, v24, v16
	global_store_b32 v[22:23], v24, off
	s_cbranch_execnz .LBB171_19
.LBB171_18:                             ;   in Loop: Header=BB171_6 Depth=1
	global_store_b32 v[22:23], v16, off
.LBB171_19:                             ;   in Loop: Header=BB171_6 Depth=1
	s_wait_xcnt 0x0
	s_or_b32 exec_lo, exec_lo, s27
	s_and_saveexec_b32 s27, s19
	s_cbranch_execz .LBB171_23
; %bb.20:                               ;   in Loop: Header=BB171_6 Depth=1
	v_mul_f32_e32 v16, s22, v25
	v_lshl_add_u64 v[20:21], v[10:11], 2, v[20:21]
	s_and_not1_b32 vcc_lo, exec_lo, s10
	s_cbranch_vccnz .LBB171_31
; %bb.21:                               ;   in Loop: Header=BB171_6 Depth=1
	global_load_b32 v22, v[20:21], off
	s_wait_loadcnt 0x0
	v_fma_f32 v22, s23, v22, v16
	global_store_b32 v[20:21], v22, off
	s_cbranch_execnz .LBB171_23
.LBB171_22:                             ;   in Loop: Header=BB171_6 Depth=1
	global_store_b32 v[20:21], v16, off
.LBB171_23:                             ;   in Loop: Header=BB171_6 Depth=1
	s_wait_xcnt 0x0
	s_or_b32 exec_lo, exec_lo, s27
	v_lshl_add_u64 v[20:21], v[6:7], 2, s[2:3]
	s_and_saveexec_b32 s2, s4
	s_cbranch_execz .LBB171_27
; %bb.24:                               ;   in Loop: Header=BB171_6 Depth=1
	v_mul_f32_e32 v16, s22, v18
	s_delay_alu instid0(VALU_DEP_2)
	v_lshl_add_u64 v[22:23], v[8:9], 2, v[20:21]
	s_and_not1_b32 vcc_lo, exec_lo, s10
	s_cbranch_vccnz .LBB171_32
; %bb.25:                               ;   in Loop: Header=BB171_6 Depth=1
	global_load_b32 v18, v[22:23], off
	s_wait_loadcnt 0x0
	v_fma_f32 v18, s23, v18, v16
	global_store_b32 v[22:23], v18, off
	s_cbranch_execnz .LBB171_27
.LBB171_26:                             ;   in Loop: Header=BB171_6 Depth=1
	global_store_b32 v[22:23], v16, off
.LBB171_27:                             ;   in Loop: Header=BB171_6 Depth=1
	s_wait_xcnt 0x0
	s_or_b32 exec_lo, exec_lo, s2
	s_and_saveexec_b32 s2, s5
	s_cbranch_execz .LBB171_5
; %bb.28:                               ;   in Loop: Header=BB171_6 Depth=1
	v_mul_f32_e32 v16, s22, v19
	v_lshl_add_u64 v[18:19], v[10:11], 2, v[20:21]
	s_and_not1_b32 vcc_lo, exec_lo, s10
	s_cbranch_vccnz .LBB171_33
; %bb.29:                               ;   in Loop: Header=BB171_6 Depth=1
	global_load_b32 v20, v[18:19], off
	s_wait_loadcnt 0x0
	v_fma_f32 v20, s23, v20, v16
	global_store_b32 v[18:19], v20, off
	s_cbranch_execnz .LBB171_5
	s_branch .LBB171_34
.LBB171_30:                             ;   in Loop: Header=BB171_6 Depth=1
	s_branch .LBB171_18
.LBB171_31:                             ;   in Loop: Header=BB171_6 Depth=1
	s_branch .LBB171_22
.LBB171_32:                             ;   in Loop: Header=BB171_6 Depth=1
	s_branch .LBB171_26
.LBB171_33:                             ;   in Loop: Header=BB171_6 Depth=1
.LBB171_34:                             ;   in Loop: Header=BB171_6 Depth=1
	global_store_b32 v[18:19], v16, off
	s_branch .LBB171_5
.LBB171_35:
	s_endpgm
	.section	.rodata,"a",@progbits
	.p2align	6, 0x0
	.amdhsa_kernel _ZL29rocblas_internal_gemmt_kernelIlLi16ELi32ELi8ELc78ELc78ELc76ELb0ELb0EffPKfPfEviT_T9_T10_S3_lS5_S3_lS4_T11_S3_li
		.amdhsa_group_segment_fixed_size 2048
		.amdhsa_private_segment_fixed_size 0
		.amdhsa_kernarg_size 108
		.amdhsa_user_sgpr_count 2
		.amdhsa_user_sgpr_dispatch_ptr 0
		.amdhsa_user_sgpr_queue_ptr 0
		.amdhsa_user_sgpr_kernarg_segment_ptr 1
		.amdhsa_user_sgpr_dispatch_id 0
		.amdhsa_user_sgpr_kernarg_preload_length 0
		.amdhsa_user_sgpr_kernarg_preload_offset 0
		.amdhsa_user_sgpr_private_segment_size 0
		.amdhsa_wavefront_size32 1
		.amdhsa_uses_dynamic_stack 0
		.amdhsa_enable_private_segment 0
		.amdhsa_system_sgpr_workgroup_id_x 1
		.amdhsa_system_sgpr_workgroup_id_y 1
		.amdhsa_system_sgpr_workgroup_id_z 1
		.amdhsa_system_sgpr_workgroup_info 0
		.amdhsa_system_vgpr_workitem_id 1
		.amdhsa_next_free_vgpr 54
		.amdhsa_next_free_sgpr 30
		.amdhsa_named_barrier_count 0
		.amdhsa_reserve_vcc 1
		.amdhsa_float_round_mode_32 0
		.amdhsa_float_round_mode_16_64 0
		.amdhsa_float_denorm_mode_32 3
		.amdhsa_float_denorm_mode_16_64 3
		.amdhsa_fp16_overflow 0
		.amdhsa_memory_ordered 1
		.amdhsa_forward_progress 1
		.amdhsa_inst_pref_size 13
		.amdhsa_round_robin_scheduling 0
		.amdhsa_exception_fp_ieee_invalid_op 0
		.amdhsa_exception_fp_denorm_src 0
		.amdhsa_exception_fp_ieee_div_zero 0
		.amdhsa_exception_fp_ieee_overflow 0
		.amdhsa_exception_fp_ieee_underflow 0
		.amdhsa_exception_fp_ieee_inexact 0
		.amdhsa_exception_int_div_zero 0
	.end_amdhsa_kernel
	.section	.text._ZL29rocblas_internal_gemmt_kernelIlLi16ELi32ELi8ELc78ELc78ELc76ELb0ELb0EffPKfPfEviT_T9_T10_S3_lS5_S3_lS4_T11_S3_li,"axG",@progbits,_ZL29rocblas_internal_gemmt_kernelIlLi16ELi32ELi8ELc78ELc78ELc76ELb0ELb0EffPKfPfEviT_T9_T10_S3_lS5_S3_lS4_T11_S3_li,comdat
.Lfunc_end171:
	.size	_ZL29rocblas_internal_gemmt_kernelIlLi16ELi32ELi8ELc78ELc78ELc76ELb0ELb0EffPKfPfEviT_T9_T10_S3_lS5_S3_lS4_T11_S3_li, .Lfunc_end171-_ZL29rocblas_internal_gemmt_kernelIlLi16ELi32ELi8ELc78ELc78ELc76ELb0ELb0EffPKfPfEviT_T9_T10_S3_lS5_S3_lS4_T11_S3_li
                                        ; -- End function
	.set _ZL29rocblas_internal_gemmt_kernelIlLi16ELi32ELi8ELc78ELc78ELc76ELb0ELb0EffPKfPfEviT_T9_T10_S3_lS5_S3_lS4_T11_S3_li.num_vgpr, 54
	.set _ZL29rocblas_internal_gemmt_kernelIlLi16ELi32ELi8ELc78ELc78ELc76ELb0ELb0EffPKfPfEviT_T9_T10_S3_lS5_S3_lS4_T11_S3_li.num_agpr, 0
	.set _ZL29rocblas_internal_gemmt_kernelIlLi16ELi32ELi8ELc78ELc78ELc76ELb0ELb0EffPKfPfEviT_T9_T10_S3_lS5_S3_lS4_T11_S3_li.numbered_sgpr, 30
	.set _ZL29rocblas_internal_gemmt_kernelIlLi16ELi32ELi8ELc78ELc78ELc76ELb0ELb0EffPKfPfEviT_T9_T10_S3_lS5_S3_lS4_T11_S3_li.num_named_barrier, 0
	.set _ZL29rocblas_internal_gemmt_kernelIlLi16ELi32ELi8ELc78ELc78ELc76ELb0ELb0EffPKfPfEviT_T9_T10_S3_lS5_S3_lS4_T11_S3_li.private_seg_size, 0
	.set _ZL29rocblas_internal_gemmt_kernelIlLi16ELi32ELi8ELc78ELc78ELc76ELb0ELb0EffPKfPfEviT_T9_T10_S3_lS5_S3_lS4_T11_S3_li.uses_vcc, 1
	.set _ZL29rocblas_internal_gemmt_kernelIlLi16ELi32ELi8ELc78ELc78ELc76ELb0ELb0EffPKfPfEviT_T9_T10_S3_lS5_S3_lS4_T11_S3_li.uses_flat_scratch, 0
	.set _ZL29rocblas_internal_gemmt_kernelIlLi16ELi32ELi8ELc78ELc78ELc76ELb0ELb0EffPKfPfEviT_T9_T10_S3_lS5_S3_lS4_T11_S3_li.has_dyn_sized_stack, 0
	.set _ZL29rocblas_internal_gemmt_kernelIlLi16ELi32ELi8ELc78ELc78ELc76ELb0ELb0EffPKfPfEviT_T9_T10_S3_lS5_S3_lS4_T11_S3_li.has_recursion, 0
	.set _ZL29rocblas_internal_gemmt_kernelIlLi16ELi32ELi8ELc78ELc78ELc76ELb0ELb0EffPKfPfEviT_T9_T10_S3_lS5_S3_lS4_T11_S3_li.has_indirect_call, 0
	.section	.AMDGPU.csdata,"",@progbits
; Kernel info:
; codeLenInByte = 1616
; TotalNumSgprs: 32
; NumVgprs: 54
; ScratchSize: 0
; MemoryBound: 0
; FloatMode: 240
; IeeeMode: 1
; LDSByteSize: 2048 bytes/workgroup (compile time only)
; SGPRBlocks: 0
; VGPRBlocks: 3
; NumSGPRsForWavesPerEU: 32
; NumVGPRsForWavesPerEU: 54
; NamedBarCnt: 0
; Occupancy: 16
; WaveLimiterHint : 0
; COMPUTE_PGM_RSRC2:SCRATCH_EN: 0
; COMPUTE_PGM_RSRC2:USER_SGPR: 2
; COMPUTE_PGM_RSRC2:TRAP_HANDLER: 0
; COMPUTE_PGM_RSRC2:TGID_X_EN: 1
; COMPUTE_PGM_RSRC2:TGID_Y_EN: 1
; COMPUTE_PGM_RSRC2:TGID_Z_EN: 1
; COMPUTE_PGM_RSRC2:TIDIG_COMP_CNT: 1
	.section	.text._ZL29rocblas_internal_gemmt_kernelIlLi16ELi32ELi8ELc78ELc84ELc76ELb0ELb0EffPKfPfEviT_T9_T10_S3_lS5_S3_lS4_T11_S3_li,"axG",@progbits,_ZL29rocblas_internal_gemmt_kernelIlLi16ELi32ELi8ELc78ELc84ELc76ELb0ELb0EffPKfPfEviT_T9_T10_S3_lS5_S3_lS4_T11_S3_li,comdat
	.globl	_ZL29rocblas_internal_gemmt_kernelIlLi16ELi32ELi8ELc78ELc84ELc76ELb0ELb0EffPKfPfEviT_T9_T10_S3_lS5_S3_lS4_T11_S3_li ; -- Begin function _ZL29rocblas_internal_gemmt_kernelIlLi16ELi32ELi8ELc78ELc84ELc76ELb0ELb0EffPKfPfEviT_T9_T10_S3_lS5_S3_lS4_T11_S3_li
	.p2align	8
	.type	_ZL29rocblas_internal_gemmt_kernelIlLi16ELi32ELi8ELc78ELc84ELc76ELb0ELb0EffPKfPfEviT_T9_T10_S3_lS5_S3_lS4_T11_S3_li,@function
_ZL29rocblas_internal_gemmt_kernelIlLi16ELi32ELi8ELc78ELc84ELc76ELb0ELb0EffPKfPfEviT_T9_T10_S3_lS5_S3_lS4_T11_S3_li: ; @_ZL29rocblas_internal_gemmt_kernelIlLi16ELi32ELi8ELc78ELc84ELc76ELb0ELb0EffPKfPfEviT_T9_T10_S3_lS5_S3_lS4_T11_S3_li
; %bb.0:
	s_clause 0x1
	s_load_b32 s23, s[0:1], 0x48
	s_load_b96 s[20:22], s[0:1], 0x8
	s_wait_kmcnt 0x0
	s_cmp_neq_f32 s23, 1.0
	s_cselect_b32 s2, -1, 0
	s_delay_alu instid0(SALU_CYCLE_1)
	s_and_b32 vcc_lo, exec_lo, s2
	s_cbranch_vccnz .LBB172_2
; %bb.1:
	s_cmp_lg_u64 s[20:21], 0
	s_cselect_b32 s2, -1, 0
	s_cmp_neq_f32 s22, 0
	s_cselect_b32 s3, -1, 0
	s_delay_alu instid0(SALU_CYCLE_1)
	s_and_b32 s2, s2, s3
.LBB172_2:
	s_delay_alu instid0(SALU_CYCLE_1)
	s_and_not1_b32 vcc_lo, exec_lo, s2
	s_cbranch_vccnz .LBB172_35
; %bb.3:
	s_load_b32 s28, s[0:1], 0x68
	s_bfe_u32 s2, ttmp6, 0x40014
	s_lshr_b32 s3, ttmp7, 16
	s_add_co_i32 s2, s2, 1
	s_bfe_u32 s5, ttmp6, 0x40008
	s_mul_i32 s4, s3, s2
	s_getreg_b32 s2, hwreg(HW_REG_IB_STS2, 6, 4)
	s_add_co_i32 s5, s5, s4
	s_cmp_eq_u32 s2, 0
	s_mov_b32 s25, 0
	s_cselect_b32 s24, s3, s5
	s_wait_kmcnt 0x0
	s_cmp_ge_u32 s24, s28
	s_cbranch_scc1 .LBB172_35
; %bb.4:
	s_bfe_u32 s4, ttmp6, 0x4000c
	s_bfe_u32 s6, ttmp6, 0x40010
	s_add_co_i32 s4, s4, 1
	s_and_b32 s26, ttmp7, 0xffff
	s_add_co_i32 s6, s6, 1
	s_and_b32 s5, ttmp6, 15
	s_mul_i32 s4, ttmp9, s4
	s_mul_i32 s6, s26, s6
	s_bfe_u32 s7, ttmp6, 0x40004
	s_add_co_i32 s27, s5, s4
	s_add_co_i32 s29, s7, s6
	s_cmp_eq_u32 s2, 0
	v_and_b32_e32 v11, 0x3ff, v0
	v_bfe_u32 v15, v0, 10, 10
	s_clause 0x1
	s_load_b128 s[12:15], s[0:1], 0x38
	s_load_b128 s[16:19], s[0:1], 0x50
	s_cselect_b32 s2, s26, s29
	s_cselect_b32 s29, ttmp9, s27
	s_lshl_b32 s2, s2, 5
	v_lshl_add_u32 v1, v15, 4, v11
	v_add_nc_u32_e32 v16, s2, v15
	s_load_b32 s3, s[0:1], 0x0
	v_and_b32_e32 v0, 7, v0
	s_load_b256 s[4:11], s[0:1], 0x18
	v_dual_lshrrev_b32 v10, 3, v1 :: v_dual_bitop2_b32 v3, 31, v1 bitop3:0x40
	v_dual_add_nc_u32 v18, 16, v16 :: v_dual_ashrrev_i32 v17, 31, v16
	s_load_b64 s[26:27], s[0:1], 0x60
	s_wait_xcnt 0x0
	s_lshl_b32 s1, s29, 5
	s_delay_alu instid0(VALU_DEP_1)
	v_dual_lshrrev_b32 v2, 5, v1 :: v_dual_ashrrev_i32 v19, 31, v18
	v_dual_add_nc_u32 v12, s2, v10 :: v_dual_bitop2_b32 v8, s1, v3 bitop3:0x54
	v_dual_lshlrev_b32 v1, 2, v3 :: v_dual_lshlrev_b32 v3, 2, v0
	s_wait_kmcnt 0x0
	v_mul_u64_e32 v[4:5], s[18:19], v[16:17]
	v_mul_u64_e32 v[6:7], s[18:19], v[18:19]
	v_ashrrev_i32_e32 v9, 31, v8
	s_cmp_neq_f32 s22, 0
	v_lshl_or_b32 v3, v10, 5, v3
	v_dual_add_nc_u32 v10, s1, v11 :: v_dual_ashrrev_i32 v13, 31, v12
	v_lshlrev_b32_e32 v26, 2, v11
	s_cselect_b32 s29, -1, 0
	s_cmp_neq_f32 s23, 0
	s_delay_alu instid0(VALU_DEP_2)
	v_cmp_le_i32_e32 vcc_lo, v16, v10
	v_cmp_gt_i32_e64 s2, s3, v10
	v_dual_add_nc_u32 v14, 16, v10 :: v_dual_ashrrev_i32 v11, 31, v10
	v_cmp_gt_i64_e64 s30, s[20:21], 0
	v_cmp_gt_i32_e64 s0, s3, v8
	v_lshl_add_u64 v[8:9], v[8:9], 2, s[4:5]
	v_cmp_gt_i32_e64 s1, s3, v12
	v_lshl_add_u64 v[12:13], v[12:13], 2, s[10:11]
	s_cselect_b32 s10, -1, 0
	s_and_b32 s11, vcc_lo, s2
	v_cmp_le_i32_e32 vcc_lo, v16, v14
	v_cmp_gt_i32_e64 s3, s3, v14
	v_cmp_le_i32_e64 s4, v18, v10
	v_cmp_le_i32_e64 s5, v18, v14
	v_lshl_or_b32 v1, v2, 7, v1
	v_add_nc_u32_e32 v3, 0x400, v3
	v_lshl_add_u32 v27, v15, 5, 0x400
	v_dual_ashrrev_i32 v15, 31, v14 :: v_dual_mov_b32 v17, 0
	s_and_b32 s18, s29, s30
	s_and_b32 s19, vcc_lo, s3
	s_and_b32 s4, s4, s2
	s_and_b32 s5, s5, s3
	s_branch .LBB172_6
.LBB172_5:                              ;   in Loop: Header=BB172_6 Depth=1
	s_wait_xcnt 0x0
	s_or_b32 exec_lo, exec_lo, s2
	s_add_co_i32 s24, s24, 0x10000
	s_delay_alu instid0(SALU_CYCLE_1)
	s_cmp_lt_u32 s24, s28
	s_cbranch_scc0 .LBB172_35
.LBB172_6:                              ; =>This Loop Header: Depth=1
                                        ;     Child Loop BB172_9 Depth 2
	v_dual_mov_b32 v25, v17 :: v_dual_mov_b32 v24, v17
	v_dual_mov_b32 v19, v17 :: v_dual_mov_b32 v18, v17
	s_and_not1_b32 vcc_lo, exec_lo, s18
	s_cbranch_vccnz .LBB172_15
; %bb.7:                                ;   in Loop: Header=BB172_6 Depth=1
	v_mov_b32_e32 v18, 0
	s_mul_u64 s[2:3], s[8:9], s[24:25]
	s_mul_u64 s[30:31], s[14:15], s[24:25]
	v_lshl_add_u64 v[20:21], s[2:3], 2, v[8:9]
	v_lshl_add_u64 v[22:23], s[30:31], 2, v[12:13]
	v_dual_mov_b32 v19, v18 :: v_dual_mov_b32 v24, v18
	v_mov_b32_e32 v25, v18
	s_mov_b64 s[2:3], 0
	s_branch .LBB172_9
.LBB172_8:                              ;   in Loop: Header=BB172_9 Depth=2
	s_wait_xcnt 0x0
	s_or_b32 exec_lo, exec_lo, s29
	s_wait_loadcnt 0x0
	ds_store_b32 v3, v29
	s_wait_dscnt 0x0
	s_barrier_signal -1
	s_barrier_wait -1
	ds_load_b128 v[28:31], v27
	ds_load_2addr_b32 v[44:45], v26 offset1:16
	ds_load_b128 v[32:35], v27 offset:512
	ds_load_2addr_b32 v[46:47], v26 offset0:32 offset1:48
	ds_load_2addr_b32 v[48:49], v26 offset0:64 offset1:80
	;; [unrolled: 1-line block ×3, first 2 shown]
	ds_load_b128 v[36:39], v27 offset:16
	ds_load_2addr_b32 v[52:53], v26 offset0:128 offset1:144
	ds_load_b128 v[40:43], v27 offset:528
	s_add_nc_u64 s[2:3], s[2:3], 8
	s_delay_alu instid0(SALU_CYCLE_1)
	v_cmp_gt_i64_e64 s29, s[20:21], s[2:3]
	s_and_b32 vcc_lo, exec_lo, s29
	s_wait_dscnt 0x8
	v_mov_b32_e32 v16, v31
	s_wait_dscnt 0x7
	v_pk_fma_f32 v[24:25], v[44:45], v[28:29], v[24:25] op_sel_hi:[1,0,1]
	s_wait_dscnt 0x6
	v_pk_fma_f32 v[18:19], v[44:45], v[32:33], v[18:19] op_sel_hi:[1,0,1]
	ds_load_2addr_b32 v[44:45], v26 offset0:160 offset1:176
	s_wait_dscnt 0x6
	v_pk_fma_f32 v[24:25], v[46:47], v[28:29], v[24:25] op_sel:[0,1,0]
	v_pk_fma_f32 v[18:19], v[46:47], v[32:33], v[18:19] op_sel:[0,1,0]
	ds_load_2addr_b32 v[28:29], v26 offset0:192 offset1:208
	v_mov_b32_e32 v32, v35
	s_wait_dscnt 0x6
	v_pk_fma_f32 v[24:25], v[48:49], v[30:31], v[24:25] op_sel_hi:[1,0,1]
	v_pk_fma_f32 v[18:19], v[48:49], v[34:35], v[18:19] op_sel_hi:[1,0,1]
	ds_load_2addr_b32 v[30:31], v26 offset0:224 offset1:240
	s_wait_dscnt 0x0
	s_barrier_signal -1
	v_pk_fma_f32 v[24:25], v[50:51], v[16:17], v[24:25] op_sel_hi:[1,0,1]
	v_pk_fma_f32 v[18:19], v[50:51], v[32:33], v[18:19] op_sel_hi:[1,0,1]
	v_dual_mov_b32 v16, v39 :: v_dual_mov_b32 v32, v43
	s_barrier_wait -1
	s_delay_alu instid0(VALU_DEP_3) | instskip(NEXT) | instid1(VALU_DEP_3)
	v_pk_fma_f32 v[24:25], v[52:53], v[36:37], v[24:25] op_sel_hi:[1,0,1]
	v_pk_fma_f32 v[18:19], v[52:53], v[40:41], v[18:19] op_sel_hi:[1,0,1]
	s_delay_alu instid0(VALU_DEP_2) | instskip(NEXT) | instid1(VALU_DEP_2)
	v_pk_fma_f32 v[24:25], v[44:45], v[36:37], v[24:25] op_sel:[0,1,0]
	v_pk_fma_f32 v[18:19], v[44:45], v[40:41], v[18:19] op_sel:[0,1,0]
	s_delay_alu instid0(VALU_DEP_2) | instskip(NEXT) | instid1(VALU_DEP_2)
	v_pk_fma_f32 v[24:25], v[28:29], v[38:39], v[24:25] op_sel_hi:[1,0,1]
	v_pk_fma_f32 v[18:19], v[28:29], v[42:43], v[18:19] op_sel_hi:[1,0,1]
	s_delay_alu instid0(VALU_DEP_2) | instskip(NEXT) | instid1(VALU_DEP_2)
	v_pk_fma_f32 v[24:25], v[30:31], v[16:17], v[24:25] op_sel_hi:[1,0,1]
	v_pk_fma_f32 v[18:19], v[30:31], v[32:33], v[18:19] op_sel_hi:[1,0,1]
	s_cbranch_vccz .LBB172_15
.LBB172_9:                              ;   Parent Loop BB172_6 Depth=1
                                        ; =>  This Inner Loop Header: Depth=2
	v_mov_b32_e32 v28, 0
	s_and_saveexec_b32 s29, s0
	s_cbranch_execz .LBB172_13
; %bb.10:                               ;   in Loop: Header=BB172_9 Depth=2
	v_dual_add_nc_u32 v16, s2, v2 :: v_dual_mov_b32 v28, 0
	s_mov_b32 s30, exec_lo
	s_delay_alu instid0(VALU_DEP_1)
	v_cmpx_gt_u64_e64 s[20:21], v[16:17]
	s_cbranch_execz .LBB172_12
; %bb.11:                               ;   in Loop: Header=BB172_9 Depth=2
	v_mul_u64_e32 v[28:29], s[6:7], v[16:17]
	s_delay_alu instid0(VALU_DEP_1)
	v_lshl_add_u64 v[28:29], v[28:29], 2, v[20:21]
	global_load_b32 v28, v[28:29], off
.LBB172_12:                             ;   in Loop: Header=BB172_9 Depth=2
	s_wait_xcnt 0x0
	s_or_b32 exec_lo, exec_lo, s30
.LBB172_13:                             ;   in Loop: Header=BB172_9 Depth=2
	s_delay_alu instid0(SALU_CYCLE_1)
	s_or_b32 exec_lo, exec_lo, s29
	v_dual_mov_b32 v29, 0 :: v_dual_add_nc_u32 v16, s2, v0
	s_wait_loadcnt 0x0
	ds_store_b32 v1, v28
	v_cmp_gt_u64_e32 vcc_lo, s[20:21], v[16:17]
	s_and_b32 s30, vcc_lo, s1
	s_delay_alu instid0(SALU_CYCLE_1)
	s_and_saveexec_b32 s29, s30
	s_cbranch_execz .LBB172_8
; %bb.14:                               ;   in Loop: Header=BB172_9 Depth=2
	v_mul_u64_e32 v[28:29], s[12:13], v[16:17]
	s_delay_alu instid0(VALU_DEP_1)
	v_lshl_add_u64 v[28:29], v[28:29], 2, v[22:23]
	global_load_b32 v29, v[28:29], off
	s_branch .LBB172_8
.LBB172_15:                             ;   in Loop: Header=BB172_6 Depth=1
	s_mul_u64 s[2:3], s[26:27], s[24:25]
	s_delay_alu instid0(SALU_CYCLE_1) | instskip(NEXT) | instid1(SALU_CYCLE_1)
	s_lshl_b64 s[2:3], s[2:3], 2
	s_add_nc_u64 s[2:3], s[16:17], s[2:3]
	s_delay_alu instid0(SALU_CYCLE_1)
	v_lshl_add_u64 v[20:21], v[4:5], 2, s[2:3]
	s_and_saveexec_b32 s29, s11
	s_cbranch_execz .LBB172_19
; %bb.16:                               ;   in Loop: Header=BB172_6 Depth=1
	v_mul_f32_e32 v16, s22, v24
	s_delay_alu instid0(VALU_DEP_2)
	v_lshl_add_u64 v[22:23], v[10:11], 2, v[20:21]
	s_and_b32 vcc_lo, exec_lo, s10
	s_cbranch_vccz .LBB172_30
; %bb.17:                               ;   in Loop: Header=BB172_6 Depth=1
	global_load_b32 v24, v[22:23], off
	s_wait_loadcnt 0x0
	v_fma_f32 v24, s23, v24, v16
	global_store_b32 v[22:23], v24, off
	s_cbranch_execnz .LBB172_19
.LBB172_18:                             ;   in Loop: Header=BB172_6 Depth=1
	global_store_b32 v[22:23], v16, off
.LBB172_19:                             ;   in Loop: Header=BB172_6 Depth=1
	s_wait_xcnt 0x0
	s_or_b32 exec_lo, exec_lo, s29
	s_and_saveexec_b32 s29, s19
	s_cbranch_execz .LBB172_23
; %bb.20:                               ;   in Loop: Header=BB172_6 Depth=1
	v_mul_f32_e32 v16, s22, v25
	v_lshl_add_u64 v[20:21], v[14:15], 2, v[20:21]
	s_and_not1_b32 vcc_lo, exec_lo, s10
	s_cbranch_vccnz .LBB172_31
; %bb.21:                               ;   in Loop: Header=BB172_6 Depth=1
	global_load_b32 v22, v[20:21], off
	s_wait_loadcnt 0x0
	v_fma_f32 v22, s23, v22, v16
	global_store_b32 v[20:21], v22, off
	s_cbranch_execnz .LBB172_23
.LBB172_22:                             ;   in Loop: Header=BB172_6 Depth=1
	global_store_b32 v[20:21], v16, off
.LBB172_23:                             ;   in Loop: Header=BB172_6 Depth=1
	s_wait_xcnt 0x0
	s_or_b32 exec_lo, exec_lo, s29
	v_lshl_add_u64 v[20:21], v[6:7], 2, s[2:3]
	s_and_saveexec_b32 s2, s4
	s_cbranch_execz .LBB172_27
; %bb.24:                               ;   in Loop: Header=BB172_6 Depth=1
	v_mul_f32_e32 v16, s22, v18
	s_delay_alu instid0(VALU_DEP_2)
	v_lshl_add_u64 v[22:23], v[10:11], 2, v[20:21]
	s_and_not1_b32 vcc_lo, exec_lo, s10
	s_cbranch_vccnz .LBB172_32
; %bb.25:                               ;   in Loop: Header=BB172_6 Depth=1
	global_load_b32 v18, v[22:23], off
	s_wait_loadcnt 0x0
	v_fma_f32 v18, s23, v18, v16
	global_store_b32 v[22:23], v18, off
	s_cbranch_execnz .LBB172_27
.LBB172_26:                             ;   in Loop: Header=BB172_6 Depth=1
	global_store_b32 v[22:23], v16, off
.LBB172_27:                             ;   in Loop: Header=BB172_6 Depth=1
	s_wait_xcnt 0x0
	s_or_b32 exec_lo, exec_lo, s2
	s_and_saveexec_b32 s2, s5
	s_cbranch_execz .LBB172_5
; %bb.28:                               ;   in Loop: Header=BB172_6 Depth=1
	v_mul_f32_e32 v16, s22, v19
	v_lshl_add_u64 v[18:19], v[14:15], 2, v[20:21]
	s_and_not1_b32 vcc_lo, exec_lo, s10
	s_cbranch_vccnz .LBB172_33
; %bb.29:                               ;   in Loop: Header=BB172_6 Depth=1
	global_load_b32 v20, v[18:19], off
	s_wait_loadcnt 0x0
	v_fma_f32 v20, s23, v20, v16
	global_store_b32 v[18:19], v20, off
	s_cbranch_execnz .LBB172_5
	s_branch .LBB172_34
.LBB172_30:                             ;   in Loop: Header=BB172_6 Depth=1
	s_branch .LBB172_18
.LBB172_31:                             ;   in Loop: Header=BB172_6 Depth=1
	s_branch .LBB172_22
.LBB172_32:                             ;   in Loop: Header=BB172_6 Depth=1
	s_branch .LBB172_26
.LBB172_33:                             ;   in Loop: Header=BB172_6 Depth=1
.LBB172_34:                             ;   in Loop: Header=BB172_6 Depth=1
	global_store_b32 v[18:19], v16, off
	s_branch .LBB172_5
.LBB172_35:
	s_endpgm
	.section	.rodata,"a",@progbits
	.p2align	6, 0x0
	.amdhsa_kernel _ZL29rocblas_internal_gemmt_kernelIlLi16ELi32ELi8ELc78ELc84ELc76ELb0ELb0EffPKfPfEviT_T9_T10_S3_lS5_S3_lS4_T11_S3_li
		.amdhsa_group_segment_fixed_size 2048
		.amdhsa_private_segment_fixed_size 0
		.amdhsa_kernarg_size 108
		.amdhsa_user_sgpr_count 2
		.amdhsa_user_sgpr_dispatch_ptr 0
		.amdhsa_user_sgpr_queue_ptr 0
		.amdhsa_user_sgpr_kernarg_segment_ptr 1
		.amdhsa_user_sgpr_dispatch_id 0
		.amdhsa_user_sgpr_kernarg_preload_length 0
		.amdhsa_user_sgpr_kernarg_preload_offset 0
		.amdhsa_user_sgpr_private_segment_size 0
		.amdhsa_wavefront_size32 1
		.amdhsa_uses_dynamic_stack 0
		.amdhsa_enable_private_segment 0
		.amdhsa_system_sgpr_workgroup_id_x 1
		.amdhsa_system_sgpr_workgroup_id_y 1
		.amdhsa_system_sgpr_workgroup_id_z 1
		.amdhsa_system_sgpr_workgroup_info 0
		.amdhsa_system_vgpr_workitem_id 1
		.amdhsa_next_free_vgpr 54
		.amdhsa_next_free_sgpr 32
		.amdhsa_named_barrier_count 0
		.amdhsa_reserve_vcc 1
		.amdhsa_float_round_mode_32 0
		.amdhsa_float_round_mode_16_64 0
		.amdhsa_float_denorm_mode_32 3
		.amdhsa_float_denorm_mode_16_64 3
		.amdhsa_fp16_overflow 0
		.amdhsa_memory_ordered 1
		.amdhsa_forward_progress 1
		.amdhsa_inst_pref_size 13
		.amdhsa_round_robin_scheduling 0
		.amdhsa_exception_fp_ieee_invalid_op 0
		.amdhsa_exception_fp_denorm_src 0
		.amdhsa_exception_fp_ieee_div_zero 0
		.amdhsa_exception_fp_ieee_overflow 0
		.amdhsa_exception_fp_ieee_underflow 0
		.amdhsa_exception_fp_ieee_inexact 0
		.amdhsa_exception_int_div_zero 0
	.end_amdhsa_kernel
	.section	.text._ZL29rocblas_internal_gemmt_kernelIlLi16ELi32ELi8ELc78ELc84ELc76ELb0ELb0EffPKfPfEviT_T9_T10_S3_lS5_S3_lS4_T11_S3_li,"axG",@progbits,_ZL29rocblas_internal_gemmt_kernelIlLi16ELi32ELi8ELc78ELc84ELc76ELb0ELb0EffPKfPfEviT_T9_T10_S3_lS5_S3_lS4_T11_S3_li,comdat
.Lfunc_end172:
	.size	_ZL29rocblas_internal_gemmt_kernelIlLi16ELi32ELi8ELc78ELc84ELc76ELb0ELb0EffPKfPfEviT_T9_T10_S3_lS5_S3_lS4_T11_S3_li, .Lfunc_end172-_ZL29rocblas_internal_gemmt_kernelIlLi16ELi32ELi8ELc78ELc84ELc76ELb0ELb0EffPKfPfEviT_T9_T10_S3_lS5_S3_lS4_T11_S3_li
                                        ; -- End function
	.set _ZL29rocblas_internal_gemmt_kernelIlLi16ELi32ELi8ELc78ELc84ELc76ELb0ELb0EffPKfPfEviT_T9_T10_S3_lS5_S3_lS4_T11_S3_li.num_vgpr, 54
	.set _ZL29rocblas_internal_gemmt_kernelIlLi16ELi32ELi8ELc78ELc84ELc76ELb0ELb0EffPKfPfEviT_T9_T10_S3_lS5_S3_lS4_T11_S3_li.num_agpr, 0
	.set _ZL29rocblas_internal_gemmt_kernelIlLi16ELi32ELi8ELc78ELc84ELc76ELb0ELb0EffPKfPfEviT_T9_T10_S3_lS5_S3_lS4_T11_S3_li.numbered_sgpr, 32
	.set _ZL29rocblas_internal_gemmt_kernelIlLi16ELi32ELi8ELc78ELc84ELc76ELb0ELb0EffPKfPfEviT_T9_T10_S3_lS5_S3_lS4_T11_S3_li.num_named_barrier, 0
	.set _ZL29rocblas_internal_gemmt_kernelIlLi16ELi32ELi8ELc78ELc84ELc76ELb0ELb0EffPKfPfEviT_T9_T10_S3_lS5_S3_lS4_T11_S3_li.private_seg_size, 0
	.set _ZL29rocblas_internal_gemmt_kernelIlLi16ELi32ELi8ELc78ELc84ELc76ELb0ELb0EffPKfPfEviT_T9_T10_S3_lS5_S3_lS4_T11_S3_li.uses_vcc, 1
	.set _ZL29rocblas_internal_gemmt_kernelIlLi16ELi32ELi8ELc78ELc84ELc76ELb0ELb0EffPKfPfEviT_T9_T10_S3_lS5_S3_lS4_T11_S3_li.uses_flat_scratch, 0
	.set _ZL29rocblas_internal_gemmt_kernelIlLi16ELi32ELi8ELc78ELc84ELc76ELb0ELb0EffPKfPfEviT_T9_T10_S3_lS5_S3_lS4_T11_S3_li.has_dyn_sized_stack, 0
	.set _ZL29rocblas_internal_gemmt_kernelIlLi16ELi32ELi8ELc78ELc84ELc76ELb0ELb0EffPKfPfEviT_T9_T10_S3_lS5_S3_lS4_T11_S3_li.has_recursion, 0
	.set _ZL29rocblas_internal_gemmt_kernelIlLi16ELi32ELi8ELc78ELc84ELc76ELb0ELb0EffPKfPfEviT_T9_T10_S3_lS5_S3_lS4_T11_S3_li.has_indirect_call, 0
	.section	.AMDGPU.csdata,"",@progbits
; Kernel info:
; codeLenInByte = 1608
; TotalNumSgprs: 34
; NumVgprs: 54
; ScratchSize: 0
; MemoryBound: 0
; FloatMode: 240
; IeeeMode: 1
; LDSByteSize: 2048 bytes/workgroup (compile time only)
; SGPRBlocks: 0
; VGPRBlocks: 3
; NumSGPRsForWavesPerEU: 34
; NumVGPRsForWavesPerEU: 54
; NamedBarCnt: 0
; Occupancy: 16
; WaveLimiterHint : 0
; COMPUTE_PGM_RSRC2:SCRATCH_EN: 0
; COMPUTE_PGM_RSRC2:USER_SGPR: 2
; COMPUTE_PGM_RSRC2:TRAP_HANDLER: 0
; COMPUTE_PGM_RSRC2:TGID_X_EN: 1
; COMPUTE_PGM_RSRC2:TGID_Y_EN: 1
; COMPUTE_PGM_RSRC2:TGID_Z_EN: 1
; COMPUTE_PGM_RSRC2:TIDIG_COMP_CNT: 1
	.section	.text._ZL29rocblas_internal_gemmt_kernelIlLi16ELi32ELi8ELc78ELc67ELc76ELb0ELb0EffPKfPfEviT_T9_T10_S3_lS5_S3_lS4_T11_S3_li,"axG",@progbits,_ZL29rocblas_internal_gemmt_kernelIlLi16ELi32ELi8ELc78ELc67ELc76ELb0ELb0EffPKfPfEviT_T9_T10_S3_lS5_S3_lS4_T11_S3_li,comdat
	.globl	_ZL29rocblas_internal_gemmt_kernelIlLi16ELi32ELi8ELc78ELc67ELc76ELb0ELb0EffPKfPfEviT_T9_T10_S3_lS5_S3_lS4_T11_S3_li ; -- Begin function _ZL29rocblas_internal_gemmt_kernelIlLi16ELi32ELi8ELc78ELc67ELc76ELb0ELb0EffPKfPfEviT_T9_T10_S3_lS5_S3_lS4_T11_S3_li
	.p2align	8
	.type	_ZL29rocblas_internal_gemmt_kernelIlLi16ELi32ELi8ELc78ELc67ELc76ELb0ELb0EffPKfPfEviT_T9_T10_S3_lS5_S3_lS4_T11_S3_li,@function
_ZL29rocblas_internal_gemmt_kernelIlLi16ELi32ELi8ELc78ELc67ELc76ELb0ELb0EffPKfPfEviT_T9_T10_S3_lS5_S3_lS4_T11_S3_li: ; @_ZL29rocblas_internal_gemmt_kernelIlLi16ELi32ELi8ELc78ELc67ELc76ELb0ELb0EffPKfPfEviT_T9_T10_S3_lS5_S3_lS4_T11_S3_li
; %bb.0:
	s_clause 0x1
	s_load_b32 s23, s[0:1], 0x48
	s_load_b96 s[20:22], s[0:1], 0x8
	s_wait_kmcnt 0x0
	s_cmp_neq_f32 s23, 1.0
	s_cselect_b32 s2, -1, 0
	s_delay_alu instid0(SALU_CYCLE_1)
	s_and_b32 vcc_lo, exec_lo, s2
	s_cbranch_vccnz .LBB173_2
; %bb.1:
	s_cmp_lg_u64 s[20:21], 0
	s_cselect_b32 s2, -1, 0
	s_cmp_neq_f32 s22, 0
	s_cselect_b32 s3, -1, 0
	s_delay_alu instid0(SALU_CYCLE_1)
	s_and_b32 s2, s2, s3
.LBB173_2:
	s_delay_alu instid0(SALU_CYCLE_1)
	s_and_not1_b32 vcc_lo, exec_lo, s2
	s_cbranch_vccnz .LBB173_35
; %bb.3:
	s_load_b32 s28, s[0:1], 0x68
	s_bfe_u32 s2, ttmp6, 0x40014
	s_lshr_b32 s3, ttmp7, 16
	s_add_co_i32 s2, s2, 1
	s_bfe_u32 s5, ttmp6, 0x40008
	s_mul_i32 s4, s3, s2
	s_getreg_b32 s2, hwreg(HW_REG_IB_STS2, 6, 4)
	s_add_co_i32 s5, s5, s4
	s_cmp_eq_u32 s2, 0
	s_mov_b32 s25, 0
	s_cselect_b32 s24, s3, s5
	s_wait_kmcnt 0x0
	s_cmp_ge_u32 s24, s28
	s_cbranch_scc1 .LBB173_35
; %bb.4:
	s_bfe_u32 s4, ttmp6, 0x4000c
	s_bfe_u32 s6, ttmp6, 0x40010
	s_add_co_i32 s4, s4, 1
	s_and_b32 s26, ttmp7, 0xffff
	s_add_co_i32 s6, s6, 1
	s_and_b32 s5, ttmp6, 15
	s_mul_i32 s4, ttmp9, s4
	s_mul_i32 s6, s26, s6
	s_bfe_u32 s7, ttmp6, 0x40004
	s_add_co_i32 s27, s5, s4
	s_add_co_i32 s29, s7, s6
	s_cmp_eq_u32 s2, 0
	v_and_b32_e32 v11, 0x3ff, v0
	v_bfe_u32 v15, v0, 10, 10
	s_clause 0x1
	s_load_b128 s[12:15], s[0:1], 0x38
	s_load_b128 s[16:19], s[0:1], 0x50
	s_cselect_b32 s2, s26, s29
	s_cselect_b32 s29, ttmp9, s27
	s_lshl_b32 s2, s2, 5
	v_lshl_add_u32 v1, v15, 4, v11
	v_add_nc_u32_e32 v16, s2, v15
	s_load_b32 s3, s[0:1], 0x0
	v_and_b32_e32 v0, 7, v0
	s_load_b256 s[4:11], s[0:1], 0x18
	v_dual_lshrrev_b32 v10, 3, v1 :: v_dual_bitop2_b32 v3, 31, v1 bitop3:0x40
	v_dual_add_nc_u32 v18, 16, v16 :: v_dual_ashrrev_i32 v17, 31, v16
	s_load_b64 s[26:27], s[0:1], 0x60
	s_wait_xcnt 0x0
	s_lshl_b32 s1, s29, 5
	s_delay_alu instid0(VALU_DEP_1)
	v_dual_lshrrev_b32 v2, 5, v1 :: v_dual_ashrrev_i32 v19, 31, v18
	v_dual_add_nc_u32 v12, s2, v10 :: v_dual_bitop2_b32 v8, s1, v3 bitop3:0x54
	v_dual_lshlrev_b32 v1, 2, v3 :: v_dual_lshlrev_b32 v3, 2, v0
	s_wait_kmcnt 0x0
	v_mul_u64_e32 v[4:5], s[18:19], v[16:17]
	v_mul_u64_e32 v[6:7], s[18:19], v[18:19]
	v_ashrrev_i32_e32 v9, 31, v8
	s_cmp_neq_f32 s22, 0
	v_lshl_or_b32 v3, v10, 5, v3
	v_dual_add_nc_u32 v10, s1, v11 :: v_dual_ashrrev_i32 v13, 31, v12
	v_lshlrev_b32_e32 v26, 2, v11
	s_cselect_b32 s29, -1, 0
	s_cmp_neq_f32 s23, 0
	s_delay_alu instid0(VALU_DEP_2)
	v_cmp_le_i32_e32 vcc_lo, v16, v10
	v_cmp_gt_i32_e64 s2, s3, v10
	v_dual_add_nc_u32 v14, 16, v10 :: v_dual_ashrrev_i32 v11, 31, v10
	v_cmp_gt_i64_e64 s30, s[20:21], 0
	v_cmp_gt_i32_e64 s0, s3, v8
	v_lshl_add_u64 v[8:9], v[8:9], 2, s[4:5]
	v_cmp_gt_i32_e64 s1, s3, v12
	v_lshl_add_u64 v[12:13], v[12:13], 2, s[10:11]
	s_cselect_b32 s10, -1, 0
	s_and_b32 s11, vcc_lo, s2
	v_cmp_le_i32_e32 vcc_lo, v16, v14
	v_cmp_gt_i32_e64 s3, s3, v14
	v_cmp_le_i32_e64 s4, v18, v10
	v_cmp_le_i32_e64 s5, v18, v14
	v_lshl_or_b32 v1, v2, 7, v1
	v_add_nc_u32_e32 v3, 0x400, v3
	v_lshl_add_u32 v27, v15, 5, 0x400
	v_dual_ashrrev_i32 v15, 31, v14 :: v_dual_mov_b32 v17, 0
	s_and_b32 s18, s29, s30
	s_and_b32 s19, vcc_lo, s3
	s_and_b32 s4, s4, s2
	s_and_b32 s5, s5, s3
	s_branch .LBB173_6
.LBB173_5:                              ;   in Loop: Header=BB173_6 Depth=1
	s_wait_xcnt 0x0
	s_or_b32 exec_lo, exec_lo, s2
	s_add_co_i32 s24, s24, 0x10000
	s_delay_alu instid0(SALU_CYCLE_1)
	s_cmp_lt_u32 s24, s28
	s_cbranch_scc0 .LBB173_35
.LBB173_6:                              ; =>This Loop Header: Depth=1
                                        ;     Child Loop BB173_9 Depth 2
	v_dual_mov_b32 v25, v17 :: v_dual_mov_b32 v24, v17
	v_dual_mov_b32 v19, v17 :: v_dual_mov_b32 v18, v17
	s_and_not1_b32 vcc_lo, exec_lo, s18
	s_cbranch_vccnz .LBB173_15
; %bb.7:                                ;   in Loop: Header=BB173_6 Depth=1
	v_mov_b32_e32 v18, 0
	s_mul_u64 s[2:3], s[8:9], s[24:25]
	s_mul_u64 s[30:31], s[14:15], s[24:25]
	v_lshl_add_u64 v[20:21], s[2:3], 2, v[8:9]
	v_lshl_add_u64 v[22:23], s[30:31], 2, v[12:13]
	v_dual_mov_b32 v19, v18 :: v_dual_mov_b32 v24, v18
	v_mov_b32_e32 v25, v18
	s_mov_b64 s[2:3], 0
	s_branch .LBB173_9
.LBB173_8:                              ;   in Loop: Header=BB173_9 Depth=2
	s_wait_xcnt 0x0
	s_or_b32 exec_lo, exec_lo, s29
	s_wait_loadcnt 0x0
	ds_store_b32 v3, v29
	s_wait_dscnt 0x0
	s_barrier_signal -1
	s_barrier_wait -1
	ds_load_b128 v[28:31], v27
	ds_load_2addr_b32 v[44:45], v26 offset1:16
	ds_load_b128 v[32:35], v27 offset:512
	ds_load_2addr_b32 v[46:47], v26 offset0:32 offset1:48
	ds_load_2addr_b32 v[48:49], v26 offset0:64 offset1:80
	;; [unrolled: 1-line block ×3, first 2 shown]
	ds_load_b128 v[36:39], v27 offset:16
	ds_load_2addr_b32 v[52:53], v26 offset0:128 offset1:144
	ds_load_b128 v[40:43], v27 offset:528
	s_add_nc_u64 s[2:3], s[2:3], 8
	s_delay_alu instid0(SALU_CYCLE_1)
	v_cmp_gt_i64_e64 s29, s[20:21], s[2:3]
	s_and_b32 vcc_lo, exec_lo, s29
	s_wait_dscnt 0x8
	v_mov_b32_e32 v16, v31
	s_wait_dscnt 0x7
	v_pk_fma_f32 v[24:25], v[44:45], v[28:29], v[24:25] op_sel_hi:[1,0,1]
	s_wait_dscnt 0x6
	v_pk_fma_f32 v[18:19], v[44:45], v[32:33], v[18:19] op_sel_hi:[1,0,1]
	ds_load_2addr_b32 v[44:45], v26 offset0:160 offset1:176
	s_wait_dscnt 0x6
	v_pk_fma_f32 v[24:25], v[46:47], v[28:29], v[24:25] op_sel:[0,1,0]
	v_pk_fma_f32 v[18:19], v[46:47], v[32:33], v[18:19] op_sel:[0,1,0]
	ds_load_2addr_b32 v[28:29], v26 offset0:192 offset1:208
	v_mov_b32_e32 v32, v35
	s_wait_dscnt 0x6
	v_pk_fma_f32 v[24:25], v[48:49], v[30:31], v[24:25] op_sel_hi:[1,0,1]
	v_pk_fma_f32 v[18:19], v[48:49], v[34:35], v[18:19] op_sel_hi:[1,0,1]
	ds_load_2addr_b32 v[30:31], v26 offset0:224 offset1:240
	s_wait_dscnt 0x0
	s_barrier_signal -1
	v_pk_fma_f32 v[24:25], v[50:51], v[16:17], v[24:25] op_sel_hi:[1,0,1]
	v_pk_fma_f32 v[18:19], v[50:51], v[32:33], v[18:19] op_sel_hi:[1,0,1]
	v_dual_mov_b32 v16, v39 :: v_dual_mov_b32 v32, v43
	s_barrier_wait -1
	s_delay_alu instid0(VALU_DEP_3) | instskip(NEXT) | instid1(VALU_DEP_3)
	v_pk_fma_f32 v[24:25], v[52:53], v[36:37], v[24:25] op_sel_hi:[1,0,1]
	v_pk_fma_f32 v[18:19], v[52:53], v[40:41], v[18:19] op_sel_hi:[1,0,1]
	s_delay_alu instid0(VALU_DEP_2) | instskip(NEXT) | instid1(VALU_DEP_2)
	v_pk_fma_f32 v[24:25], v[44:45], v[36:37], v[24:25] op_sel:[0,1,0]
	v_pk_fma_f32 v[18:19], v[44:45], v[40:41], v[18:19] op_sel:[0,1,0]
	s_delay_alu instid0(VALU_DEP_2) | instskip(NEXT) | instid1(VALU_DEP_2)
	v_pk_fma_f32 v[24:25], v[28:29], v[38:39], v[24:25] op_sel_hi:[1,0,1]
	v_pk_fma_f32 v[18:19], v[28:29], v[42:43], v[18:19] op_sel_hi:[1,0,1]
	s_delay_alu instid0(VALU_DEP_2) | instskip(NEXT) | instid1(VALU_DEP_2)
	v_pk_fma_f32 v[24:25], v[30:31], v[16:17], v[24:25] op_sel_hi:[1,0,1]
	v_pk_fma_f32 v[18:19], v[30:31], v[32:33], v[18:19] op_sel_hi:[1,0,1]
	s_cbranch_vccz .LBB173_15
.LBB173_9:                              ;   Parent Loop BB173_6 Depth=1
                                        ; =>  This Inner Loop Header: Depth=2
	v_mov_b32_e32 v28, 0
	s_and_saveexec_b32 s29, s0
	s_cbranch_execz .LBB173_13
; %bb.10:                               ;   in Loop: Header=BB173_9 Depth=2
	v_dual_add_nc_u32 v16, s2, v2 :: v_dual_mov_b32 v28, 0
	s_mov_b32 s30, exec_lo
	s_delay_alu instid0(VALU_DEP_1)
	v_cmpx_gt_u64_e64 s[20:21], v[16:17]
	s_cbranch_execz .LBB173_12
; %bb.11:                               ;   in Loop: Header=BB173_9 Depth=2
	v_mul_u64_e32 v[28:29], s[6:7], v[16:17]
	s_delay_alu instid0(VALU_DEP_1)
	v_lshl_add_u64 v[28:29], v[28:29], 2, v[20:21]
	global_load_b32 v28, v[28:29], off
.LBB173_12:                             ;   in Loop: Header=BB173_9 Depth=2
	s_wait_xcnt 0x0
	s_or_b32 exec_lo, exec_lo, s30
.LBB173_13:                             ;   in Loop: Header=BB173_9 Depth=2
	s_delay_alu instid0(SALU_CYCLE_1)
	s_or_b32 exec_lo, exec_lo, s29
	v_dual_mov_b32 v29, 0 :: v_dual_add_nc_u32 v16, s2, v0
	s_wait_loadcnt 0x0
	ds_store_b32 v1, v28
	v_cmp_gt_u64_e32 vcc_lo, s[20:21], v[16:17]
	s_and_b32 s30, vcc_lo, s1
	s_delay_alu instid0(SALU_CYCLE_1)
	s_and_saveexec_b32 s29, s30
	s_cbranch_execz .LBB173_8
; %bb.14:                               ;   in Loop: Header=BB173_9 Depth=2
	v_mul_u64_e32 v[28:29], s[12:13], v[16:17]
	s_delay_alu instid0(VALU_DEP_1)
	v_lshl_add_u64 v[28:29], v[28:29], 2, v[22:23]
	global_load_b32 v29, v[28:29], off
	s_branch .LBB173_8
.LBB173_15:                             ;   in Loop: Header=BB173_6 Depth=1
	s_mul_u64 s[2:3], s[26:27], s[24:25]
	s_delay_alu instid0(SALU_CYCLE_1) | instskip(NEXT) | instid1(SALU_CYCLE_1)
	s_lshl_b64 s[2:3], s[2:3], 2
	s_add_nc_u64 s[2:3], s[16:17], s[2:3]
	s_delay_alu instid0(SALU_CYCLE_1)
	v_lshl_add_u64 v[20:21], v[4:5], 2, s[2:3]
	s_and_saveexec_b32 s29, s11
	s_cbranch_execz .LBB173_19
; %bb.16:                               ;   in Loop: Header=BB173_6 Depth=1
	v_mul_f32_e32 v16, s22, v24
	s_delay_alu instid0(VALU_DEP_2)
	v_lshl_add_u64 v[22:23], v[10:11], 2, v[20:21]
	s_and_b32 vcc_lo, exec_lo, s10
	s_cbranch_vccz .LBB173_30
; %bb.17:                               ;   in Loop: Header=BB173_6 Depth=1
	global_load_b32 v24, v[22:23], off
	s_wait_loadcnt 0x0
	v_fma_f32 v24, s23, v24, v16
	global_store_b32 v[22:23], v24, off
	s_cbranch_execnz .LBB173_19
.LBB173_18:                             ;   in Loop: Header=BB173_6 Depth=1
	global_store_b32 v[22:23], v16, off
.LBB173_19:                             ;   in Loop: Header=BB173_6 Depth=1
	s_wait_xcnt 0x0
	s_or_b32 exec_lo, exec_lo, s29
	s_and_saveexec_b32 s29, s19
	s_cbranch_execz .LBB173_23
; %bb.20:                               ;   in Loop: Header=BB173_6 Depth=1
	v_mul_f32_e32 v16, s22, v25
	v_lshl_add_u64 v[20:21], v[14:15], 2, v[20:21]
	s_and_not1_b32 vcc_lo, exec_lo, s10
	s_cbranch_vccnz .LBB173_31
; %bb.21:                               ;   in Loop: Header=BB173_6 Depth=1
	global_load_b32 v22, v[20:21], off
	s_wait_loadcnt 0x0
	v_fma_f32 v22, s23, v22, v16
	global_store_b32 v[20:21], v22, off
	s_cbranch_execnz .LBB173_23
.LBB173_22:                             ;   in Loop: Header=BB173_6 Depth=1
	global_store_b32 v[20:21], v16, off
.LBB173_23:                             ;   in Loop: Header=BB173_6 Depth=1
	s_wait_xcnt 0x0
	s_or_b32 exec_lo, exec_lo, s29
	v_lshl_add_u64 v[20:21], v[6:7], 2, s[2:3]
	s_and_saveexec_b32 s2, s4
	s_cbranch_execz .LBB173_27
; %bb.24:                               ;   in Loop: Header=BB173_6 Depth=1
	v_mul_f32_e32 v16, s22, v18
	s_delay_alu instid0(VALU_DEP_2)
	v_lshl_add_u64 v[22:23], v[10:11], 2, v[20:21]
	s_and_not1_b32 vcc_lo, exec_lo, s10
	s_cbranch_vccnz .LBB173_32
; %bb.25:                               ;   in Loop: Header=BB173_6 Depth=1
	global_load_b32 v18, v[22:23], off
	s_wait_loadcnt 0x0
	v_fma_f32 v18, s23, v18, v16
	global_store_b32 v[22:23], v18, off
	s_cbranch_execnz .LBB173_27
.LBB173_26:                             ;   in Loop: Header=BB173_6 Depth=1
	global_store_b32 v[22:23], v16, off
.LBB173_27:                             ;   in Loop: Header=BB173_6 Depth=1
	s_wait_xcnt 0x0
	s_or_b32 exec_lo, exec_lo, s2
	s_and_saveexec_b32 s2, s5
	s_cbranch_execz .LBB173_5
; %bb.28:                               ;   in Loop: Header=BB173_6 Depth=1
	v_mul_f32_e32 v16, s22, v19
	v_lshl_add_u64 v[18:19], v[14:15], 2, v[20:21]
	s_and_not1_b32 vcc_lo, exec_lo, s10
	s_cbranch_vccnz .LBB173_33
; %bb.29:                               ;   in Loop: Header=BB173_6 Depth=1
	global_load_b32 v20, v[18:19], off
	s_wait_loadcnt 0x0
	v_fma_f32 v20, s23, v20, v16
	global_store_b32 v[18:19], v20, off
	s_cbranch_execnz .LBB173_5
	s_branch .LBB173_34
.LBB173_30:                             ;   in Loop: Header=BB173_6 Depth=1
	s_branch .LBB173_18
.LBB173_31:                             ;   in Loop: Header=BB173_6 Depth=1
	s_branch .LBB173_22
.LBB173_32:                             ;   in Loop: Header=BB173_6 Depth=1
	s_branch .LBB173_26
.LBB173_33:                             ;   in Loop: Header=BB173_6 Depth=1
.LBB173_34:                             ;   in Loop: Header=BB173_6 Depth=1
	global_store_b32 v[18:19], v16, off
	s_branch .LBB173_5
.LBB173_35:
	s_endpgm
	.section	.rodata,"a",@progbits
	.p2align	6, 0x0
	.amdhsa_kernel _ZL29rocblas_internal_gemmt_kernelIlLi16ELi32ELi8ELc78ELc67ELc76ELb0ELb0EffPKfPfEviT_T9_T10_S3_lS5_S3_lS4_T11_S3_li
		.amdhsa_group_segment_fixed_size 2048
		.amdhsa_private_segment_fixed_size 0
		.amdhsa_kernarg_size 108
		.amdhsa_user_sgpr_count 2
		.amdhsa_user_sgpr_dispatch_ptr 0
		.amdhsa_user_sgpr_queue_ptr 0
		.amdhsa_user_sgpr_kernarg_segment_ptr 1
		.amdhsa_user_sgpr_dispatch_id 0
		.amdhsa_user_sgpr_kernarg_preload_length 0
		.amdhsa_user_sgpr_kernarg_preload_offset 0
		.amdhsa_user_sgpr_private_segment_size 0
		.amdhsa_wavefront_size32 1
		.amdhsa_uses_dynamic_stack 0
		.amdhsa_enable_private_segment 0
		.amdhsa_system_sgpr_workgroup_id_x 1
		.amdhsa_system_sgpr_workgroup_id_y 1
		.amdhsa_system_sgpr_workgroup_id_z 1
		.amdhsa_system_sgpr_workgroup_info 0
		.amdhsa_system_vgpr_workitem_id 1
		.amdhsa_next_free_vgpr 54
		.amdhsa_next_free_sgpr 32
		.amdhsa_named_barrier_count 0
		.amdhsa_reserve_vcc 1
		.amdhsa_float_round_mode_32 0
		.amdhsa_float_round_mode_16_64 0
		.amdhsa_float_denorm_mode_32 3
		.amdhsa_float_denorm_mode_16_64 3
		.amdhsa_fp16_overflow 0
		.amdhsa_memory_ordered 1
		.amdhsa_forward_progress 1
		.amdhsa_inst_pref_size 13
		.amdhsa_round_robin_scheduling 0
		.amdhsa_exception_fp_ieee_invalid_op 0
		.amdhsa_exception_fp_denorm_src 0
		.amdhsa_exception_fp_ieee_div_zero 0
		.amdhsa_exception_fp_ieee_overflow 0
		.amdhsa_exception_fp_ieee_underflow 0
		.amdhsa_exception_fp_ieee_inexact 0
		.amdhsa_exception_int_div_zero 0
	.end_amdhsa_kernel
	.section	.text._ZL29rocblas_internal_gemmt_kernelIlLi16ELi32ELi8ELc78ELc67ELc76ELb0ELb0EffPKfPfEviT_T9_T10_S3_lS5_S3_lS4_T11_S3_li,"axG",@progbits,_ZL29rocblas_internal_gemmt_kernelIlLi16ELi32ELi8ELc78ELc67ELc76ELb0ELb0EffPKfPfEviT_T9_T10_S3_lS5_S3_lS4_T11_S3_li,comdat
.Lfunc_end173:
	.size	_ZL29rocblas_internal_gemmt_kernelIlLi16ELi32ELi8ELc78ELc67ELc76ELb0ELb0EffPKfPfEviT_T9_T10_S3_lS5_S3_lS4_T11_S3_li, .Lfunc_end173-_ZL29rocblas_internal_gemmt_kernelIlLi16ELi32ELi8ELc78ELc67ELc76ELb0ELb0EffPKfPfEviT_T9_T10_S3_lS5_S3_lS4_T11_S3_li
                                        ; -- End function
	.set _ZL29rocblas_internal_gemmt_kernelIlLi16ELi32ELi8ELc78ELc67ELc76ELb0ELb0EffPKfPfEviT_T9_T10_S3_lS5_S3_lS4_T11_S3_li.num_vgpr, 54
	.set _ZL29rocblas_internal_gemmt_kernelIlLi16ELi32ELi8ELc78ELc67ELc76ELb0ELb0EffPKfPfEviT_T9_T10_S3_lS5_S3_lS4_T11_S3_li.num_agpr, 0
	.set _ZL29rocblas_internal_gemmt_kernelIlLi16ELi32ELi8ELc78ELc67ELc76ELb0ELb0EffPKfPfEviT_T9_T10_S3_lS5_S3_lS4_T11_S3_li.numbered_sgpr, 32
	.set _ZL29rocblas_internal_gemmt_kernelIlLi16ELi32ELi8ELc78ELc67ELc76ELb0ELb0EffPKfPfEviT_T9_T10_S3_lS5_S3_lS4_T11_S3_li.num_named_barrier, 0
	.set _ZL29rocblas_internal_gemmt_kernelIlLi16ELi32ELi8ELc78ELc67ELc76ELb0ELb0EffPKfPfEviT_T9_T10_S3_lS5_S3_lS4_T11_S3_li.private_seg_size, 0
	.set _ZL29rocblas_internal_gemmt_kernelIlLi16ELi32ELi8ELc78ELc67ELc76ELb0ELb0EffPKfPfEviT_T9_T10_S3_lS5_S3_lS4_T11_S3_li.uses_vcc, 1
	.set _ZL29rocblas_internal_gemmt_kernelIlLi16ELi32ELi8ELc78ELc67ELc76ELb0ELb0EffPKfPfEviT_T9_T10_S3_lS5_S3_lS4_T11_S3_li.uses_flat_scratch, 0
	.set _ZL29rocblas_internal_gemmt_kernelIlLi16ELi32ELi8ELc78ELc67ELc76ELb0ELb0EffPKfPfEviT_T9_T10_S3_lS5_S3_lS4_T11_S3_li.has_dyn_sized_stack, 0
	.set _ZL29rocblas_internal_gemmt_kernelIlLi16ELi32ELi8ELc78ELc67ELc76ELb0ELb0EffPKfPfEviT_T9_T10_S3_lS5_S3_lS4_T11_S3_li.has_recursion, 0
	.set _ZL29rocblas_internal_gemmt_kernelIlLi16ELi32ELi8ELc78ELc67ELc76ELb0ELb0EffPKfPfEviT_T9_T10_S3_lS5_S3_lS4_T11_S3_li.has_indirect_call, 0
	.section	.AMDGPU.csdata,"",@progbits
; Kernel info:
; codeLenInByte = 1608
; TotalNumSgprs: 34
; NumVgprs: 54
; ScratchSize: 0
; MemoryBound: 0
; FloatMode: 240
; IeeeMode: 1
; LDSByteSize: 2048 bytes/workgroup (compile time only)
; SGPRBlocks: 0
; VGPRBlocks: 3
; NumSGPRsForWavesPerEU: 34
; NumVGPRsForWavesPerEU: 54
; NamedBarCnt: 0
; Occupancy: 16
; WaveLimiterHint : 0
; COMPUTE_PGM_RSRC2:SCRATCH_EN: 0
; COMPUTE_PGM_RSRC2:USER_SGPR: 2
; COMPUTE_PGM_RSRC2:TRAP_HANDLER: 0
; COMPUTE_PGM_RSRC2:TGID_X_EN: 1
; COMPUTE_PGM_RSRC2:TGID_Y_EN: 1
; COMPUTE_PGM_RSRC2:TGID_Z_EN: 1
; COMPUTE_PGM_RSRC2:TIDIG_COMP_CNT: 1
	.section	.text._ZL29rocblas_internal_gemmt_kernelIlLi16ELi32ELi8ELc84ELc78ELc76ELb0ELb0EffPKfPfEviT_T9_T10_S3_lS5_S3_lS4_T11_S3_li,"axG",@progbits,_ZL29rocblas_internal_gemmt_kernelIlLi16ELi32ELi8ELc84ELc78ELc76ELb0ELb0EffPKfPfEviT_T9_T10_S3_lS5_S3_lS4_T11_S3_li,comdat
	.globl	_ZL29rocblas_internal_gemmt_kernelIlLi16ELi32ELi8ELc84ELc78ELc76ELb0ELb0EffPKfPfEviT_T9_T10_S3_lS5_S3_lS4_T11_S3_li ; -- Begin function _ZL29rocblas_internal_gemmt_kernelIlLi16ELi32ELi8ELc84ELc78ELc76ELb0ELb0EffPKfPfEviT_T9_T10_S3_lS5_S3_lS4_T11_S3_li
	.p2align	8
	.type	_ZL29rocblas_internal_gemmt_kernelIlLi16ELi32ELi8ELc84ELc78ELc76ELb0ELb0EffPKfPfEviT_T9_T10_S3_lS5_S3_lS4_T11_S3_li,@function
_ZL29rocblas_internal_gemmt_kernelIlLi16ELi32ELi8ELc84ELc78ELc76ELb0ELb0EffPKfPfEviT_T9_T10_S3_lS5_S3_lS4_T11_S3_li: ; @_ZL29rocblas_internal_gemmt_kernelIlLi16ELi32ELi8ELc84ELc78ELc76ELb0ELb0EffPKfPfEviT_T9_T10_S3_lS5_S3_lS4_T11_S3_li
; %bb.0:
	s_clause 0x1
	s_load_b32 s23, s[0:1], 0x48
	s_load_b96 s[20:22], s[0:1], 0x8
	s_wait_kmcnt 0x0
	s_cmp_neq_f32 s23, 1.0
	s_cselect_b32 s2, -1, 0
	s_delay_alu instid0(SALU_CYCLE_1)
	s_and_b32 vcc_lo, exec_lo, s2
	s_cbranch_vccnz .LBB174_2
; %bb.1:
	s_cmp_lg_u64 s[20:21], 0
	s_cselect_b32 s2, -1, 0
	s_cmp_neq_f32 s22, 0
	s_cselect_b32 s3, -1, 0
	s_delay_alu instid0(SALU_CYCLE_1)
	s_and_b32 s2, s2, s3
.LBB174_2:
	s_delay_alu instid0(SALU_CYCLE_1)
	s_and_not1_b32 vcc_lo, exec_lo, s2
	s_cbranch_vccnz .LBB174_35
; %bb.3:
	s_load_b32 s26, s[0:1], 0x68
	s_bfe_u32 s2, ttmp6, 0x40014
	s_lshr_b32 s3, ttmp7, 16
	s_add_co_i32 s2, s2, 1
	s_bfe_u32 s5, ttmp6, 0x40008
	s_mul_i32 s4, s3, s2
	s_getreg_b32 s2, hwreg(HW_REG_IB_STS2, 6, 4)
	s_add_co_i32 s5, s5, s4
	s_cmp_eq_u32 s2, 0
	s_mov_b32 s25, 0
	s_cselect_b32 s24, s3, s5
	s_wait_kmcnt 0x0
	s_cmp_ge_u32 s24, s26
	s_cbranch_scc1 .LBB174_35
; %bb.4:
	v_and_b32_e32 v3, 0x3ff, v0
	v_bfe_u32 v9, v0, 10, 10
	s_bfe_u32 s16, ttmp6, 0x4000c
	s_bfe_u32 s18, ttmp6, 0x40010
	s_and_b32 s17, ttmp7, 0xffff
	s_add_co_i32 s16, s16, 1
	s_add_co_i32 s18, s18, 1
	s_clause 0x1
	s_load_b256 s[4:11], s[0:1], 0x18
	s_load_b128 s[12:15], s[0:1], 0x38
	v_lshl_add_u32 v2, v9, 4, v3
	s_and_b32 s3, ttmp6, 15
	s_mul_i32 s16, ttmp9, s16
	s_mul_i32 s18, s17, s18
	s_bfe_u32 s19, ttmp6, 0x40004
	s_add_co_i32 s3, s3, s16
	s_add_co_i32 s19, s19, s18
	s_cmp_eq_u32 s2, 0
	v_dual_lshrrev_b32 v10, 3, v2 :: v_dual_bitop2_b32 v11, 31, v2 bitop3:0x40
	s_cselect_b32 s2, ttmp9, s3
	s_cselect_b32 s3, s17, s19
	s_load_b128 s[16:19], s[0:1], 0x50
	s_lshl_b32 s2, s2, 5
	s_lshl_b32 s3, s3, 5
	s_delay_alu instid0(SALU_CYCLE_1) | instskip(SKIP_2) | instid1(VALU_DEP_2)
	v_dual_add_nc_u32 v14, s3, v10 :: v_dual_bitop2_b32 v12, s2, v11 bitop3:0x54
	v_dual_add_nc_u32 v20, s3, v9 :: v_dual_bitop2_b32 v0, 7, v0 bitop3:0x40
	s_load_b32 s3, s[0:1], 0x0
	v_dual_ashrrev_i32 v13, 31, v12 :: v_dual_ashrrev_i32 v15, 31, v14
	s_delay_alu instid0(VALU_DEP_2) | instskip(SKIP_2) | instid1(VALU_DEP_3)
	v_dual_add_nc_u32 v22, 16, v20 :: v_dual_ashrrev_i32 v21, 31, v20
	v_add_nc_u32_e32 v8, s2, v3
	s_wait_kmcnt 0x0
	v_mul_u64_e32 v[16:17], s[6:7], v[12:13]
	v_mul_u64_e32 v[18:19], s[12:13], v[14:15]
	v_dual_ashrrev_i32 v23, 31, v22 :: v_dual_lshlrev_b32 v13, 2, v0
	s_load_b64 s[6:7], s[0:1], 0x60
	v_dual_lshlrev_b32 v1, 2, v3 :: v_dual_lshrrev_b32 v2, 5, v2
	v_mul_u64_e32 v[4:5], s[18:19], v[20:21]
	s_delay_alu instid0(VALU_DEP_3)
	v_mul_u64_e32 v[6:7], s[18:19], v[22:23]
	v_lshlrev_b32_e32 v3, 2, v11
	v_lshl_or_b32 v11, v10, 5, v13
	v_add_nc_u32_e32 v10, 16, v8
	s_cmp_neq_f32 s22, 0
	v_cmp_gt_i64_e64 s12, s[20:21], 0
	s_wait_xcnt 0x0
	v_cmp_gt_i32_e64 s0, s3, v12
	v_add_nc_u32_e32 v26, 0x400, v11
	v_ashrrev_i32_e32 v11, 31, v10
	v_cmp_le_i32_e32 vcc_lo, v20, v8
	v_cmp_gt_i32_e64 s2, s3, v8
	s_cselect_b32 s13, -1, 0
	s_cmp_neq_f32 s23, 0
	v_cmp_gt_i32_e64 s1, s3, v14
	v_cmp_gt_i32_e64 s3, s3, v10
	v_lshl_or_b32 v3, v2, 7, v3
	v_lshl_add_u32 v27, v9, 5, 0x400
	v_ashrrev_i32_e32 v9, 31, v8
	v_lshl_add_u64 v[12:13], v[16:17], 2, s[4:5]
	v_lshl_add_u64 v[14:15], v[18:19], 2, s[10:11]
	s_cselect_b32 s10, -1, 0
	s_and_b32 s11, vcc_lo, s2
	v_cmp_le_i32_e32 vcc_lo, v20, v10
	v_cmp_le_i32_e64 s4, v22, v8
	v_cmp_le_i32_e64 s5, v22, v10
	v_mov_b32_e32 v17, 0
	s_and_b32 s12, s13, s12
	s_and_b32 s13, vcc_lo, s3
	s_and_b32 s4, s4, s2
	s_and_b32 s5, s5, s3
	s_branch .LBB174_6
.LBB174_5:                              ;   in Loop: Header=BB174_6 Depth=1
	s_wait_xcnt 0x0
	s_or_b32 exec_lo, exec_lo, s2
	s_add_co_i32 s24, s24, 0x10000
	s_delay_alu instid0(SALU_CYCLE_1)
	s_cmp_lt_u32 s24, s26
	s_cbranch_scc0 .LBB174_35
.LBB174_6:                              ; =>This Loop Header: Depth=1
                                        ;     Child Loop BB174_9 Depth 2
	v_dual_mov_b32 v25, v17 :: v_dual_mov_b32 v24, v17
	v_dual_mov_b32 v19, v17 :: v_dual_mov_b32 v18, v17
	s_and_not1_b32 vcc_lo, exec_lo, s12
	s_cbranch_vccnz .LBB174_15
; %bb.7:                                ;   in Loop: Header=BB174_6 Depth=1
	v_mov_b32_e32 v18, 0
	s_mul_u64 s[2:3], s[8:9], s[24:25]
	s_mul_u64 s[18:19], s[14:15], s[24:25]
	v_lshl_add_u64 v[20:21], s[2:3], 2, v[12:13]
	v_lshl_add_u64 v[22:23], s[18:19], 2, v[14:15]
	v_dual_mov_b32 v19, v18 :: v_dual_mov_b32 v24, v18
	v_mov_b32_e32 v25, v18
	s_mov_b64 s[2:3], 0
	s_branch .LBB174_9
.LBB174_8:                              ;   in Loop: Header=BB174_9 Depth=2
	s_wait_xcnt 0x0
	s_or_b32 exec_lo, exec_lo, s18
	s_wait_loadcnt 0x0
	ds_store_b32 v26, v29
	s_wait_dscnt 0x0
	s_barrier_signal -1
	s_barrier_wait -1
	ds_load_b128 v[28:31], v27
	ds_load_2addr_b32 v[44:45], v1 offset1:16
	ds_load_b128 v[32:35], v27 offset:512
	ds_load_2addr_b32 v[46:47], v1 offset0:32 offset1:48
	ds_load_2addr_b32 v[48:49], v1 offset0:64 offset1:80
	;; [unrolled: 1-line block ×3, first 2 shown]
	ds_load_b128 v[36:39], v27 offset:16
	ds_load_2addr_b32 v[52:53], v1 offset0:128 offset1:144
	ds_load_b128 v[40:43], v27 offset:528
	s_add_nc_u64 s[2:3], s[2:3], 8
	s_delay_alu instid0(SALU_CYCLE_1)
	v_cmp_gt_i64_e64 s18, s[20:21], s[2:3]
	s_and_b32 vcc_lo, exec_lo, s18
	s_wait_dscnt 0x8
	v_mov_b32_e32 v16, v31
	s_wait_dscnt 0x7
	v_pk_fma_f32 v[24:25], v[44:45], v[28:29], v[24:25] op_sel_hi:[1,0,1]
	s_wait_dscnt 0x6
	v_pk_fma_f32 v[18:19], v[44:45], v[32:33], v[18:19] op_sel_hi:[1,0,1]
	ds_load_2addr_b32 v[44:45], v1 offset0:160 offset1:176
	s_wait_dscnt 0x6
	v_pk_fma_f32 v[24:25], v[46:47], v[28:29], v[24:25] op_sel:[0,1,0]
	v_pk_fma_f32 v[18:19], v[46:47], v[32:33], v[18:19] op_sel:[0,1,0]
	ds_load_2addr_b32 v[28:29], v1 offset0:192 offset1:208
	v_mov_b32_e32 v32, v35
	s_wait_dscnt 0x6
	v_pk_fma_f32 v[24:25], v[48:49], v[30:31], v[24:25] op_sel_hi:[1,0,1]
	v_pk_fma_f32 v[18:19], v[48:49], v[34:35], v[18:19] op_sel_hi:[1,0,1]
	ds_load_2addr_b32 v[30:31], v1 offset0:224 offset1:240
	s_wait_dscnt 0x0
	s_barrier_signal -1
	v_pk_fma_f32 v[24:25], v[50:51], v[16:17], v[24:25] op_sel_hi:[1,0,1]
	v_pk_fma_f32 v[18:19], v[50:51], v[32:33], v[18:19] op_sel_hi:[1,0,1]
	v_dual_mov_b32 v16, v39 :: v_dual_mov_b32 v32, v43
	s_barrier_wait -1
	s_delay_alu instid0(VALU_DEP_3) | instskip(NEXT) | instid1(VALU_DEP_3)
	v_pk_fma_f32 v[24:25], v[52:53], v[36:37], v[24:25] op_sel_hi:[1,0,1]
	v_pk_fma_f32 v[18:19], v[52:53], v[40:41], v[18:19] op_sel_hi:[1,0,1]
	s_delay_alu instid0(VALU_DEP_2) | instskip(NEXT) | instid1(VALU_DEP_2)
	v_pk_fma_f32 v[24:25], v[44:45], v[36:37], v[24:25] op_sel:[0,1,0]
	v_pk_fma_f32 v[18:19], v[44:45], v[40:41], v[18:19] op_sel:[0,1,0]
	s_delay_alu instid0(VALU_DEP_2) | instskip(NEXT) | instid1(VALU_DEP_2)
	v_pk_fma_f32 v[24:25], v[28:29], v[38:39], v[24:25] op_sel_hi:[1,0,1]
	v_pk_fma_f32 v[18:19], v[28:29], v[42:43], v[18:19] op_sel_hi:[1,0,1]
	s_delay_alu instid0(VALU_DEP_2) | instskip(NEXT) | instid1(VALU_DEP_2)
	v_pk_fma_f32 v[24:25], v[30:31], v[16:17], v[24:25] op_sel_hi:[1,0,1]
	v_pk_fma_f32 v[18:19], v[30:31], v[32:33], v[18:19] op_sel_hi:[1,0,1]
	s_cbranch_vccz .LBB174_15
.LBB174_9:                              ;   Parent Loop BB174_6 Depth=1
                                        ; =>  This Inner Loop Header: Depth=2
	v_mov_b32_e32 v28, 0
	s_and_saveexec_b32 s18, s0
	s_cbranch_execz .LBB174_13
; %bb.10:                               ;   in Loop: Header=BB174_9 Depth=2
	v_dual_add_nc_u32 v16, s2, v2 :: v_dual_mov_b32 v28, 0
	s_mov_b32 s19, exec_lo
	s_delay_alu instid0(VALU_DEP_1)
	v_cmpx_gt_u64_e64 s[20:21], v[16:17]
	s_cbranch_execz .LBB174_12
; %bb.11:                               ;   in Loop: Header=BB174_9 Depth=2
	v_lshl_add_u64 v[28:29], v[16:17], 2, v[20:21]
	global_load_b32 v28, v[28:29], off
.LBB174_12:                             ;   in Loop: Header=BB174_9 Depth=2
	s_wait_xcnt 0x0
	s_or_b32 exec_lo, exec_lo, s19
.LBB174_13:                             ;   in Loop: Header=BB174_9 Depth=2
	s_delay_alu instid0(SALU_CYCLE_1)
	s_or_b32 exec_lo, exec_lo, s18
	v_dual_mov_b32 v29, 0 :: v_dual_add_nc_u32 v16, s2, v0
	s_wait_loadcnt 0x0
	ds_store_b32 v3, v28
	v_cmp_gt_u64_e32 vcc_lo, s[20:21], v[16:17]
	s_and_b32 s19, vcc_lo, s1
	s_delay_alu instid0(SALU_CYCLE_1)
	s_and_saveexec_b32 s18, s19
	s_cbranch_execz .LBB174_8
; %bb.14:                               ;   in Loop: Header=BB174_9 Depth=2
	v_lshl_add_u64 v[28:29], v[16:17], 2, v[22:23]
	global_load_b32 v29, v[28:29], off
	s_branch .LBB174_8
.LBB174_15:                             ;   in Loop: Header=BB174_6 Depth=1
	s_wait_kmcnt 0x0
	s_mul_u64 s[2:3], s[6:7], s[24:25]
	s_delay_alu instid0(SALU_CYCLE_1) | instskip(NEXT) | instid1(SALU_CYCLE_1)
	s_lshl_b64 s[2:3], s[2:3], 2
	s_add_nc_u64 s[2:3], s[16:17], s[2:3]
	s_delay_alu instid0(SALU_CYCLE_1)
	v_lshl_add_u64 v[20:21], v[4:5], 2, s[2:3]
	s_and_saveexec_b32 s18, s11
	s_cbranch_execz .LBB174_19
; %bb.16:                               ;   in Loop: Header=BB174_6 Depth=1
	v_mul_f32_e32 v16, s22, v24
	s_delay_alu instid0(VALU_DEP_2)
	v_lshl_add_u64 v[22:23], v[8:9], 2, v[20:21]
	s_and_b32 vcc_lo, exec_lo, s10
	s_cbranch_vccz .LBB174_30
; %bb.17:                               ;   in Loop: Header=BB174_6 Depth=1
	global_load_b32 v24, v[22:23], off
	s_wait_loadcnt 0x0
	v_fma_f32 v24, s23, v24, v16
	global_store_b32 v[22:23], v24, off
	s_cbranch_execnz .LBB174_19
.LBB174_18:                             ;   in Loop: Header=BB174_6 Depth=1
	global_store_b32 v[22:23], v16, off
.LBB174_19:                             ;   in Loop: Header=BB174_6 Depth=1
	s_wait_xcnt 0x0
	s_or_b32 exec_lo, exec_lo, s18
	s_and_saveexec_b32 s18, s13
	s_cbranch_execz .LBB174_23
; %bb.20:                               ;   in Loop: Header=BB174_6 Depth=1
	v_mul_f32_e32 v16, s22, v25
	v_lshl_add_u64 v[20:21], v[10:11], 2, v[20:21]
	s_and_not1_b32 vcc_lo, exec_lo, s10
	s_cbranch_vccnz .LBB174_31
; %bb.21:                               ;   in Loop: Header=BB174_6 Depth=1
	global_load_b32 v22, v[20:21], off
	s_wait_loadcnt 0x0
	v_fma_f32 v22, s23, v22, v16
	global_store_b32 v[20:21], v22, off
	s_cbranch_execnz .LBB174_23
.LBB174_22:                             ;   in Loop: Header=BB174_6 Depth=1
	global_store_b32 v[20:21], v16, off
.LBB174_23:                             ;   in Loop: Header=BB174_6 Depth=1
	s_wait_xcnt 0x0
	s_or_b32 exec_lo, exec_lo, s18
	v_lshl_add_u64 v[20:21], v[6:7], 2, s[2:3]
	s_and_saveexec_b32 s2, s4
	s_cbranch_execz .LBB174_27
; %bb.24:                               ;   in Loop: Header=BB174_6 Depth=1
	v_mul_f32_e32 v16, s22, v18
	s_delay_alu instid0(VALU_DEP_2)
	v_lshl_add_u64 v[22:23], v[8:9], 2, v[20:21]
	s_and_not1_b32 vcc_lo, exec_lo, s10
	s_cbranch_vccnz .LBB174_32
; %bb.25:                               ;   in Loop: Header=BB174_6 Depth=1
	global_load_b32 v18, v[22:23], off
	s_wait_loadcnt 0x0
	v_fma_f32 v18, s23, v18, v16
	global_store_b32 v[22:23], v18, off
	s_cbranch_execnz .LBB174_27
.LBB174_26:                             ;   in Loop: Header=BB174_6 Depth=1
	global_store_b32 v[22:23], v16, off
.LBB174_27:                             ;   in Loop: Header=BB174_6 Depth=1
	s_wait_xcnt 0x0
	s_or_b32 exec_lo, exec_lo, s2
	s_and_saveexec_b32 s2, s5
	s_cbranch_execz .LBB174_5
; %bb.28:                               ;   in Loop: Header=BB174_6 Depth=1
	v_mul_f32_e32 v16, s22, v19
	v_lshl_add_u64 v[18:19], v[10:11], 2, v[20:21]
	s_and_not1_b32 vcc_lo, exec_lo, s10
	s_cbranch_vccnz .LBB174_33
; %bb.29:                               ;   in Loop: Header=BB174_6 Depth=1
	global_load_b32 v20, v[18:19], off
	s_wait_loadcnt 0x0
	v_fma_f32 v20, s23, v20, v16
	global_store_b32 v[18:19], v20, off
	s_cbranch_execnz .LBB174_5
	s_branch .LBB174_34
.LBB174_30:                             ;   in Loop: Header=BB174_6 Depth=1
	s_branch .LBB174_18
.LBB174_31:                             ;   in Loop: Header=BB174_6 Depth=1
	s_branch .LBB174_22
.LBB174_32:                             ;   in Loop: Header=BB174_6 Depth=1
	s_branch .LBB174_26
.LBB174_33:                             ;   in Loop: Header=BB174_6 Depth=1
.LBB174_34:                             ;   in Loop: Header=BB174_6 Depth=1
	global_store_b32 v[18:19], v16, off
	s_branch .LBB174_5
.LBB174_35:
	s_endpgm
	.section	.rodata,"a",@progbits
	.p2align	6, 0x0
	.amdhsa_kernel _ZL29rocblas_internal_gemmt_kernelIlLi16ELi32ELi8ELc84ELc78ELc76ELb0ELb0EffPKfPfEviT_T9_T10_S3_lS5_S3_lS4_T11_S3_li
		.amdhsa_group_segment_fixed_size 2048
		.amdhsa_private_segment_fixed_size 0
		.amdhsa_kernarg_size 108
		.amdhsa_user_sgpr_count 2
		.amdhsa_user_sgpr_dispatch_ptr 0
		.amdhsa_user_sgpr_queue_ptr 0
		.amdhsa_user_sgpr_kernarg_segment_ptr 1
		.amdhsa_user_sgpr_dispatch_id 0
		.amdhsa_user_sgpr_kernarg_preload_length 0
		.amdhsa_user_sgpr_kernarg_preload_offset 0
		.amdhsa_user_sgpr_private_segment_size 0
		.amdhsa_wavefront_size32 1
		.amdhsa_uses_dynamic_stack 0
		.amdhsa_enable_private_segment 0
		.amdhsa_system_sgpr_workgroup_id_x 1
		.amdhsa_system_sgpr_workgroup_id_y 1
		.amdhsa_system_sgpr_workgroup_id_z 1
		.amdhsa_system_sgpr_workgroup_info 0
		.amdhsa_system_vgpr_workitem_id 1
		.amdhsa_next_free_vgpr 54
		.amdhsa_next_free_sgpr 27
		.amdhsa_named_barrier_count 0
		.amdhsa_reserve_vcc 1
		.amdhsa_float_round_mode_32 0
		.amdhsa_float_round_mode_16_64 0
		.amdhsa_float_denorm_mode_32 3
		.amdhsa_float_denorm_mode_16_64 3
		.amdhsa_fp16_overflow 0
		.amdhsa_memory_ordered 1
		.amdhsa_forward_progress 1
		.amdhsa_inst_pref_size 13
		.amdhsa_round_robin_scheduling 0
		.amdhsa_exception_fp_ieee_invalid_op 0
		.amdhsa_exception_fp_denorm_src 0
		.amdhsa_exception_fp_ieee_div_zero 0
		.amdhsa_exception_fp_ieee_overflow 0
		.amdhsa_exception_fp_ieee_underflow 0
		.amdhsa_exception_fp_ieee_inexact 0
		.amdhsa_exception_int_div_zero 0
	.end_amdhsa_kernel
	.section	.text._ZL29rocblas_internal_gemmt_kernelIlLi16ELi32ELi8ELc84ELc78ELc76ELb0ELb0EffPKfPfEviT_T9_T10_S3_lS5_S3_lS4_T11_S3_li,"axG",@progbits,_ZL29rocblas_internal_gemmt_kernelIlLi16ELi32ELi8ELc84ELc78ELc76ELb0ELb0EffPKfPfEviT_T9_T10_S3_lS5_S3_lS4_T11_S3_li,comdat
.Lfunc_end174:
	.size	_ZL29rocblas_internal_gemmt_kernelIlLi16ELi32ELi8ELc84ELc78ELc76ELb0ELb0EffPKfPfEviT_T9_T10_S3_lS5_S3_lS4_T11_S3_li, .Lfunc_end174-_ZL29rocblas_internal_gemmt_kernelIlLi16ELi32ELi8ELc84ELc78ELc76ELb0ELb0EffPKfPfEviT_T9_T10_S3_lS5_S3_lS4_T11_S3_li
                                        ; -- End function
	.set _ZL29rocblas_internal_gemmt_kernelIlLi16ELi32ELi8ELc84ELc78ELc76ELb0ELb0EffPKfPfEviT_T9_T10_S3_lS5_S3_lS4_T11_S3_li.num_vgpr, 54
	.set _ZL29rocblas_internal_gemmt_kernelIlLi16ELi32ELi8ELc84ELc78ELc76ELb0ELb0EffPKfPfEviT_T9_T10_S3_lS5_S3_lS4_T11_S3_li.num_agpr, 0
	.set _ZL29rocblas_internal_gemmt_kernelIlLi16ELi32ELi8ELc84ELc78ELc76ELb0ELb0EffPKfPfEviT_T9_T10_S3_lS5_S3_lS4_T11_S3_li.numbered_sgpr, 27
	.set _ZL29rocblas_internal_gemmt_kernelIlLi16ELi32ELi8ELc84ELc78ELc76ELb0ELb0EffPKfPfEviT_T9_T10_S3_lS5_S3_lS4_T11_S3_li.num_named_barrier, 0
	.set _ZL29rocblas_internal_gemmt_kernelIlLi16ELi32ELi8ELc84ELc78ELc76ELb0ELb0EffPKfPfEviT_T9_T10_S3_lS5_S3_lS4_T11_S3_li.private_seg_size, 0
	.set _ZL29rocblas_internal_gemmt_kernelIlLi16ELi32ELi8ELc84ELc78ELc76ELb0ELb0EffPKfPfEviT_T9_T10_S3_lS5_S3_lS4_T11_S3_li.uses_vcc, 1
	.set _ZL29rocblas_internal_gemmt_kernelIlLi16ELi32ELi8ELc84ELc78ELc76ELb0ELb0EffPKfPfEviT_T9_T10_S3_lS5_S3_lS4_T11_S3_li.uses_flat_scratch, 0
	.set _ZL29rocblas_internal_gemmt_kernelIlLi16ELi32ELi8ELc84ELc78ELc76ELb0ELb0EffPKfPfEviT_T9_T10_S3_lS5_S3_lS4_T11_S3_li.has_dyn_sized_stack, 0
	.set _ZL29rocblas_internal_gemmt_kernelIlLi16ELi32ELi8ELc84ELc78ELc76ELb0ELb0EffPKfPfEviT_T9_T10_S3_lS5_S3_lS4_T11_S3_li.has_recursion, 0
	.set _ZL29rocblas_internal_gemmt_kernelIlLi16ELi32ELi8ELc84ELc78ELc76ELb0ELb0EffPKfPfEviT_T9_T10_S3_lS5_S3_lS4_T11_S3_li.has_indirect_call, 0
	.section	.AMDGPU.csdata,"",@progbits
; Kernel info:
; codeLenInByte = 1604
; TotalNumSgprs: 29
; NumVgprs: 54
; ScratchSize: 0
; MemoryBound: 0
; FloatMode: 240
; IeeeMode: 1
; LDSByteSize: 2048 bytes/workgroup (compile time only)
; SGPRBlocks: 0
; VGPRBlocks: 3
; NumSGPRsForWavesPerEU: 29
; NumVGPRsForWavesPerEU: 54
; NamedBarCnt: 0
; Occupancy: 16
; WaveLimiterHint : 0
; COMPUTE_PGM_RSRC2:SCRATCH_EN: 0
; COMPUTE_PGM_RSRC2:USER_SGPR: 2
; COMPUTE_PGM_RSRC2:TRAP_HANDLER: 0
; COMPUTE_PGM_RSRC2:TGID_X_EN: 1
; COMPUTE_PGM_RSRC2:TGID_Y_EN: 1
; COMPUTE_PGM_RSRC2:TGID_Z_EN: 1
; COMPUTE_PGM_RSRC2:TIDIG_COMP_CNT: 1
	.section	.text._ZL29rocblas_internal_gemmt_kernelIlLi16ELi32ELi8ELc84ELc84ELc76ELb0ELb0EffPKfPfEviT_T9_T10_S3_lS5_S3_lS4_T11_S3_li,"axG",@progbits,_ZL29rocblas_internal_gemmt_kernelIlLi16ELi32ELi8ELc84ELc84ELc76ELb0ELb0EffPKfPfEviT_T9_T10_S3_lS5_S3_lS4_T11_S3_li,comdat
	.globl	_ZL29rocblas_internal_gemmt_kernelIlLi16ELi32ELi8ELc84ELc84ELc76ELb0ELb0EffPKfPfEviT_T9_T10_S3_lS5_S3_lS4_T11_S3_li ; -- Begin function _ZL29rocblas_internal_gemmt_kernelIlLi16ELi32ELi8ELc84ELc84ELc76ELb0ELb0EffPKfPfEviT_T9_T10_S3_lS5_S3_lS4_T11_S3_li
	.p2align	8
	.type	_ZL29rocblas_internal_gemmt_kernelIlLi16ELi32ELi8ELc84ELc84ELc76ELb0ELb0EffPKfPfEviT_T9_T10_S3_lS5_S3_lS4_T11_S3_li,@function
_ZL29rocblas_internal_gemmt_kernelIlLi16ELi32ELi8ELc84ELc84ELc76ELb0ELb0EffPKfPfEviT_T9_T10_S3_lS5_S3_lS4_T11_S3_li: ; @_ZL29rocblas_internal_gemmt_kernelIlLi16ELi32ELi8ELc84ELc84ELc76ELb0ELb0EffPKfPfEviT_T9_T10_S3_lS5_S3_lS4_T11_S3_li
; %bb.0:
	s_clause 0x1
	s_load_b32 s23, s[0:1], 0x48
	s_load_b96 s[20:22], s[0:1], 0x8
	s_wait_kmcnt 0x0
	s_cmp_neq_f32 s23, 1.0
	s_cselect_b32 s2, -1, 0
	s_delay_alu instid0(SALU_CYCLE_1)
	s_and_b32 vcc_lo, exec_lo, s2
	s_cbranch_vccnz .LBB175_2
; %bb.1:
	s_cmp_lg_u64 s[20:21], 0
	s_cselect_b32 s2, -1, 0
	s_cmp_neq_f32 s22, 0
	s_cselect_b32 s3, -1, 0
	s_delay_alu instid0(SALU_CYCLE_1)
	s_and_b32 s2, s2, s3
.LBB175_2:
	s_delay_alu instid0(SALU_CYCLE_1)
	s_and_not1_b32 vcc_lo, exec_lo, s2
	s_cbranch_vccnz .LBB175_35
; %bb.3:
	s_load_b32 s26, s[0:1], 0x68
	s_bfe_u32 s2, ttmp6, 0x40014
	s_lshr_b32 s3, ttmp7, 16
	s_add_co_i32 s2, s2, 1
	s_bfe_u32 s5, ttmp6, 0x40008
	s_mul_i32 s4, s3, s2
	s_getreg_b32 s2, hwreg(HW_REG_IB_STS2, 6, 4)
	s_add_co_i32 s5, s5, s4
	s_cmp_eq_u32 s2, 0
	s_mov_b32 s25, 0
	s_cselect_b32 s24, s3, s5
	s_wait_kmcnt 0x0
	s_cmp_ge_u32 s24, s26
	s_cbranch_scc1 .LBB175_35
; %bb.4:
	s_bfe_u32 s12, ttmp6, 0x4000c
	s_bfe_u32 s13, ttmp6, 0x40010
	v_and_b32_e32 v8, 0x3ff, v0
	v_bfe_u32 v2, v0, 10, 10
	s_add_co_i32 s12, s12, 1
	s_and_b32 s14, ttmp7, 0xffff
	s_add_co_i32 s13, s13, 1
	s_and_b32 s3, ttmp6, 15
	s_mul_i32 s12, ttmp9, s12
	s_mul_i32 s13, s14, s13
	s_bfe_u32 s15, ttmp6, 0x40004
	s_load_b256 s[4:11], s[0:1], 0x18
	v_lshl_add_u32 v4, v2, 4, v8
	s_add_co_i32 s3, s3, s12
	s_add_co_i32 s15, s15, s13
	s_cmp_eq_u32 s2, 0
	v_lshl_add_u32 v3, v2, 5, 0x400
	s_cselect_b32 s2, ttmp9, s3
	s_cselect_b32 s3, s14, s15
	s_lshl_b32 s2, s2, 5
	s_lshl_b32 s3, s3, 5
	s_delay_alu instid0(SALU_CYCLE_1)
	v_dual_add_nc_u32 v16, s3, v2 :: v_dual_bitop2_b32 v9, 31, v4 bitop3:0x40
	s_clause 0x1
	s_load_b128 s[12:15], s[0:1], 0x50
	s_load_b128 s[16:19], s[0:1], 0x38
	v_dual_lshrrev_b32 v2, 5, v4 :: v_dual_lshrrev_b32 v11, 3, v4
	v_dual_add_nc_u32 v18, 16, v16 :: v_dual_bitop2_b32 v12, s2, v9 bitop3:0x54
	v_and_b32_e32 v0, 7, v0
	v_dual_lshlrev_b32 v1, 2, v8 :: v_dual_add_nc_u32 v8, s2, v8
	s_delay_alu instid0(VALU_DEP_3) | instskip(NEXT) | instid1(VALU_DEP_3)
	v_dual_ashrrev_i32 v13, 31, v12 :: v_dual_ashrrev_i32 v19, 31, v18
	v_dual_add_nc_u32 v20, s3, v11 :: v_dual_lshlrev_b32 v10, 2, v0
	v_lshlrev_b32_e32 v9, 2, v9
	s_wait_kmcnt 0x0
	s_delay_alu instid0(VALU_DEP_3)
	v_mul_u64_e32 v[14:15], s[6:7], v[12:13]
	s_clause 0x1
	s_load_b32 s27, s[0:1], 0x0
	s_load_b64 s[6:7], s[0:1], 0x60
	s_cmp_neq_f32 s22, 0
	v_lshl_or_b32 v11, v11, 5, v10
	v_add_nc_u32_e32 v10, 16, v8
	v_lshl_or_b32 v26, v2, 7, v9
	v_ashrrev_i32_e32 v9, 31, v8
	v_ashrrev_i32_e32 v17, 31, v16
	v_mul_u64_e32 v[6:7], s[14:15], v[18:19]
	v_add_nc_u32_e32 v27, 0x400, v11
	v_ashrrev_i32_e32 v11, 31, v10
	v_cmp_le_i32_e32 vcc_lo, v16, v8
	v_mul_u64_e32 v[4:5], s[14:15], v[16:17]
	v_dual_ashrrev_i32 v21, 31, v20 :: v_dual_mov_b32 v17, 0
	s_cselect_b32 s14, -1, 0
	s_cmp_neq_f32 s23, 0
	v_cmp_gt_i64_e64 s28, s[20:21], 0
	s_wait_kmcnt 0x0
	v_cmp_gt_i32_e64 s2, s27, v8
	v_cmp_gt_i32_e64 s0, s27, v12
	v_lshl_add_u64 v[12:13], v[20:21], 2, s[10:11]
	s_cselect_b32 s10, -1, 0
	v_cmp_gt_i32_e64 s3, s27, v10
	s_and_b32 s11, vcc_lo, s2
	v_cmp_le_i32_e32 vcc_lo, v16, v10
	v_cmp_gt_i32_e64 s1, s27, v20
	s_and_b32 s14, s14, s28
	s_and_b32 s15, vcc_lo, s3
	v_lshl_add_u64 v[14:15], v[14:15], 2, s[4:5]
	v_cmp_le_i32_e64 s4, v18, v8
	v_cmp_le_i32_e64 s5, v18, v10
	s_and_b32 s4, s4, s2
	s_and_b32 s5, s5, s3
	s_branch .LBB175_6
.LBB175_5:                              ;   in Loop: Header=BB175_6 Depth=1
	s_wait_xcnt 0x0
	s_or_b32 exec_lo, exec_lo, s2
	s_add_co_i32 s24, s24, 0x10000
	s_delay_alu instid0(SALU_CYCLE_1)
	s_cmp_lt_u32 s24, s26
	s_cbranch_scc0 .LBB175_35
.LBB175_6:                              ; =>This Loop Header: Depth=1
                                        ;     Child Loop BB175_9 Depth 2
	v_dual_mov_b32 v25, v17 :: v_dual_mov_b32 v24, v17
	v_dual_mov_b32 v19, v17 :: v_dual_mov_b32 v18, v17
	s_and_not1_b32 vcc_lo, exec_lo, s14
	s_cbranch_vccnz .LBB175_15
; %bb.7:                                ;   in Loop: Header=BB175_6 Depth=1
	v_mov_b32_e32 v18, 0
	s_mul_u64 s[2:3], s[8:9], s[24:25]
	s_mul_u64 s[28:29], s[18:19], s[24:25]
	v_lshl_add_u64 v[20:21], s[2:3], 2, v[14:15]
	v_lshl_add_u64 v[22:23], s[28:29], 2, v[12:13]
	v_dual_mov_b32 v19, v18 :: v_dual_mov_b32 v24, v18
	v_mov_b32_e32 v25, v18
	s_mov_b64 s[2:3], 0
	s_branch .LBB175_9
.LBB175_8:                              ;   in Loop: Header=BB175_9 Depth=2
	s_wait_xcnt 0x0
	s_or_b32 exec_lo, exec_lo, s27
	s_wait_loadcnt 0x0
	ds_store_b32 v27, v29
	s_wait_dscnt 0x0
	s_barrier_signal -1
	s_barrier_wait -1
	ds_load_b128 v[28:31], v3
	ds_load_2addr_b32 v[44:45], v1 offset1:16
	ds_load_b128 v[32:35], v3 offset:512
	ds_load_2addr_b32 v[46:47], v1 offset0:32 offset1:48
	ds_load_2addr_b32 v[48:49], v1 offset0:64 offset1:80
	ds_load_2addr_b32 v[50:51], v1 offset0:96 offset1:112
	ds_load_b128 v[36:39], v3 offset:16
	ds_load_2addr_b32 v[52:53], v1 offset0:128 offset1:144
	ds_load_b128 v[40:43], v3 offset:528
	s_add_nc_u64 s[2:3], s[2:3], 8
	s_delay_alu instid0(SALU_CYCLE_1)
	v_cmp_gt_i64_e64 s27, s[20:21], s[2:3]
	s_and_b32 vcc_lo, exec_lo, s27
	s_wait_dscnt 0x8
	v_mov_b32_e32 v16, v31
	s_wait_dscnt 0x7
	v_pk_fma_f32 v[24:25], v[44:45], v[28:29], v[24:25] op_sel_hi:[1,0,1]
	s_wait_dscnt 0x6
	v_pk_fma_f32 v[18:19], v[44:45], v[32:33], v[18:19] op_sel_hi:[1,0,1]
	ds_load_2addr_b32 v[44:45], v1 offset0:160 offset1:176
	s_wait_dscnt 0x6
	v_pk_fma_f32 v[24:25], v[46:47], v[28:29], v[24:25] op_sel:[0,1,0]
	v_pk_fma_f32 v[18:19], v[46:47], v[32:33], v[18:19] op_sel:[0,1,0]
	ds_load_2addr_b32 v[28:29], v1 offset0:192 offset1:208
	v_mov_b32_e32 v32, v35
	s_wait_dscnt 0x6
	v_pk_fma_f32 v[24:25], v[48:49], v[30:31], v[24:25] op_sel_hi:[1,0,1]
	v_pk_fma_f32 v[18:19], v[48:49], v[34:35], v[18:19] op_sel_hi:[1,0,1]
	ds_load_2addr_b32 v[30:31], v1 offset0:224 offset1:240
	s_wait_dscnt 0x0
	s_barrier_signal -1
	v_pk_fma_f32 v[24:25], v[50:51], v[16:17], v[24:25] op_sel_hi:[1,0,1]
	v_pk_fma_f32 v[18:19], v[50:51], v[32:33], v[18:19] op_sel_hi:[1,0,1]
	v_dual_mov_b32 v16, v39 :: v_dual_mov_b32 v32, v43
	s_barrier_wait -1
	s_delay_alu instid0(VALU_DEP_3) | instskip(NEXT) | instid1(VALU_DEP_3)
	v_pk_fma_f32 v[24:25], v[52:53], v[36:37], v[24:25] op_sel_hi:[1,0,1]
	v_pk_fma_f32 v[18:19], v[52:53], v[40:41], v[18:19] op_sel_hi:[1,0,1]
	s_delay_alu instid0(VALU_DEP_2) | instskip(NEXT) | instid1(VALU_DEP_2)
	v_pk_fma_f32 v[24:25], v[44:45], v[36:37], v[24:25] op_sel:[0,1,0]
	v_pk_fma_f32 v[18:19], v[44:45], v[40:41], v[18:19] op_sel:[0,1,0]
	s_delay_alu instid0(VALU_DEP_2) | instskip(NEXT) | instid1(VALU_DEP_2)
	v_pk_fma_f32 v[24:25], v[28:29], v[38:39], v[24:25] op_sel_hi:[1,0,1]
	v_pk_fma_f32 v[18:19], v[28:29], v[42:43], v[18:19] op_sel_hi:[1,0,1]
	s_delay_alu instid0(VALU_DEP_2) | instskip(NEXT) | instid1(VALU_DEP_2)
	v_pk_fma_f32 v[24:25], v[30:31], v[16:17], v[24:25] op_sel_hi:[1,0,1]
	v_pk_fma_f32 v[18:19], v[30:31], v[32:33], v[18:19] op_sel_hi:[1,0,1]
	s_cbranch_vccz .LBB175_15
.LBB175_9:                              ;   Parent Loop BB175_6 Depth=1
                                        ; =>  This Inner Loop Header: Depth=2
	v_mov_b32_e32 v28, 0
	s_and_saveexec_b32 s27, s0
	s_cbranch_execz .LBB175_13
; %bb.10:                               ;   in Loop: Header=BB175_9 Depth=2
	v_dual_add_nc_u32 v16, s2, v2 :: v_dual_mov_b32 v28, 0
	s_mov_b32 s28, exec_lo
	s_delay_alu instid0(VALU_DEP_1)
	v_cmpx_gt_u64_e64 s[20:21], v[16:17]
	s_cbranch_execz .LBB175_12
; %bb.11:                               ;   in Loop: Header=BB175_9 Depth=2
	v_lshl_add_u64 v[28:29], v[16:17], 2, v[20:21]
	global_load_b32 v28, v[28:29], off
.LBB175_12:                             ;   in Loop: Header=BB175_9 Depth=2
	s_wait_xcnt 0x0
	s_or_b32 exec_lo, exec_lo, s28
.LBB175_13:                             ;   in Loop: Header=BB175_9 Depth=2
	s_delay_alu instid0(SALU_CYCLE_1)
	s_or_b32 exec_lo, exec_lo, s27
	v_dual_mov_b32 v29, 0 :: v_dual_add_nc_u32 v16, s2, v0
	s_wait_loadcnt 0x0
	ds_store_b32 v26, v28
	v_cmp_gt_u64_e32 vcc_lo, s[20:21], v[16:17]
	s_and_b32 s28, vcc_lo, s1
	s_delay_alu instid0(SALU_CYCLE_1)
	s_and_saveexec_b32 s27, s28
	s_cbranch_execz .LBB175_8
; %bb.14:                               ;   in Loop: Header=BB175_9 Depth=2
	v_mul_u64_e32 v[28:29], s[16:17], v[16:17]
	s_delay_alu instid0(VALU_DEP_1)
	v_lshl_add_u64 v[28:29], v[28:29], 2, v[22:23]
	global_load_b32 v29, v[28:29], off
	s_branch .LBB175_8
.LBB175_15:                             ;   in Loop: Header=BB175_6 Depth=1
	s_mul_u64 s[2:3], s[6:7], s[24:25]
	s_delay_alu instid0(SALU_CYCLE_1) | instskip(NEXT) | instid1(SALU_CYCLE_1)
	s_lshl_b64 s[2:3], s[2:3], 2
	s_add_nc_u64 s[2:3], s[12:13], s[2:3]
	s_delay_alu instid0(SALU_CYCLE_1)
	v_lshl_add_u64 v[20:21], v[4:5], 2, s[2:3]
	s_and_saveexec_b32 s27, s11
	s_cbranch_execz .LBB175_19
; %bb.16:                               ;   in Loop: Header=BB175_6 Depth=1
	v_mul_f32_e32 v16, s22, v24
	s_delay_alu instid0(VALU_DEP_2)
	v_lshl_add_u64 v[22:23], v[8:9], 2, v[20:21]
	s_and_b32 vcc_lo, exec_lo, s10
	s_cbranch_vccz .LBB175_30
; %bb.17:                               ;   in Loop: Header=BB175_6 Depth=1
	global_load_b32 v24, v[22:23], off
	s_wait_loadcnt 0x0
	v_fma_f32 v24, s23, v24, v16
	global_store_b32 v[22:23], v24, off
	s_cbranch_execnz .LBB175_19
.LBB175_18:                             ;   in Loop: Header=BB175_6 Depth=1
	global_store_b32 v[22:23], v16, off
.LBB175_19:                             ;   in Loop: Header=BB175_6 Depth=1
	s_wait_xcnt 0x0
	s_or_b32 exec_lo, exec_lo, s27
	s_and_saveexec_b32 s27, s15
	s_cbranch_execz .LBB175_23
; %bb.20:                               ;   in Loop: Header=BB175_6 Depth=1
	v_mul_f32_e32 v16, s22, v25
	v_lshl_add_u64 v[20:21], v[10:11], 2, v[20:21]
	s_and_not1_b32 vcc_lo, exec_lo, s10
	s_cbranch_vccnz .LBB175_31
; %bb.21:                               ;   in Loop: Header=BB175_6 Depth=1
	global_load_b32 v22, v[20:21], off
	s_wait_loadcnt 0x0
	v_fma_f32 v22, s23, v22, v16
	global_store_b32 v[20:21], v22, off
	s_cbranch_execnz .LBB175_23
.LBB175_22:                             ;   in Loop: Header=BB175_6 Depth=1
	global_store_b32 v[20:21], v16, off
.LBB175_23:                             ;   in Loop: Header=BB175_6 Depth=1
	s_wait_xcnt 0x0
	s_or_b32 exec_lo, exec_lo, s27
	v_lshl_add_u64 v[20:21], v[6:7], 2, s[2:3]
	s_and_saveexec_b32 s2, s4
	s_cbranch_execz .LBB175_27
; %bb.24:                               ;   in Loop: Header=BB175_6 Depth=1
	v_mul_f32_e32 v16, s22, v18
	s_delay_alu instid0(VALU_DEP_2)
	v_lshl_add_u64 v[22:23], v[8:9], 2, v[20:21]
	s_and_not1_b32 vcc_lo, exec_lo, s10
	s_cbranch_vccnz .LBB175_32
; %bb.25:                               ;   in Loop: Header=BB175_6 Depth=1
	global_load_b32 v18, v[22:23], off
	s_wait_loadcnt 0x0
	v_fma_f32 v18, s23, v18, v16
	global_store_b32 v[22:23], v18, off
	s_cbranch_execnz .LBB175_27
.LBB175_26:                             ;   in Loop: Header=BB175_6 Depth=1
	global_store_b32 v[22:23], v16, off
.LBB175_27:                             ;   in Loop: Header=BB175_6 Depth=1
	s_wait_xcnt 0x0
	s_or_b32 exec_lo, exec_lo, s2
	s_and_saveexec_b32 s2, s5
	s_cbranch_execz .LBB175_5
; %bb.28:                               ;   in Loop: Header=BB175_6 Depth=1
	v_mul_f32_e32 v16, s22, v19
	v_lshl_add_u64 v[18:19], v[10:11], 2, v[20:21]
	s_and_not1_b32 vcc_lo, exec_lo, s10
	s_cbranch_vccnz .LBB175_33
; %bb.29:                               ;   in Loop: Header=BB175_6 Depth=1
	global_load_b32 v20, v[18:19], off
	s_wait_loadcnt 0x0
	v_fma_f32 v20, s23, v20, v16
	global_store_b32 v[18:19], v20, off
	s_cbranch_execnz .LBB175_5
	s_branch .LBB175_34
.LBB175_30:                             ;   in Loop: Header=BB175_6 Depth=1
	s_branch .LBB175_18
.LBB175_31:                             ;   in Loop: Header=BB175_6 Depth=1
	s_branch .LBB175_22
.LBB175_32:                             ;   in Loop: Header=BB175_6 Depth=1
	s_branch .LBB175_26
.LBB175_33:                             ;   in Loop: Header=BB175_6 Depth=1
.LBB175_34:                             ;   in Loop: Header=BB175_6 Depth=1
	global_store_b32 v[18:19], v16, off
	s_branch .LBB175_5
.LBB175_35:
	s_endpgm
	.section	.rodata,"a",@progbits
	.p2align	6, 0x0
	.amdhsa_kernel _ZL29rocblas_internal_gemmt_kernelIlLi16ELi32ELi8ELc84ELc84ELc76ELb0ELb0EffPKfPfEviT_T9_T10_S3_lS5_S3_lS4_T11_S3_li
		.amdhsa_group_segment_fixed_size 2048
		.amdhsa_private_segment_fixed_size 0
		.amdhsa_kernarg_size 108
		.amdhsa_user_sgpr_count 2
		.amdhsa_user_sgpr_dispatch_ptr 0
		.amdhsa_user_sgpr_queue_ptr 0
		.amdhsa_user_sgpr_kernarg_segment_ptr 1
		.amdhsa_user_sgpr_dispatch_id 0
		.amdhsa_user_sgpr_kernarg_preload_length 0
		.amdhsa_user_sgpr_kernarg_preload_offset 0
		.amdhsa_user_sgpr_private_segment_size 0
		.amdhsa_wavefront_size32 1
		.amdhsa_uses_dynamic_stack 0
		.amdhsa_enable_private_segment 0
		.amdhsa_system_sgpr_workgroup_id_x 1
		.amdhsa_system_sgpr_workgroup_id_y 1
		.amdhsa_system_sgpr_workgroup_id_z 1
		.amdhsa_system_sgpr_workgroup_info 0
		.amdhsa_system_vgpr_workitem_id 1
		.amdhsa_next_free_vgpr 54
		.amdhsa_next_free_sgpr 30
		.amdhsa_named_barrier_count 0
		.amdhsa_reserve_vcc 1
		.amdhsa_float_round_mode_32 0
		.amdhsa_float_round_mode_16_64 0
		.amdhsa_float_denorm_mode_32 3
		.amdhsa_float_denorm_mode_16_64 3
		.amdhsa_fp16_overflow 0
		.amdhsa_memory_ordered 1
		.amdhsa_forward_progress 1
		.amdhsa_inst_pref_size 13
		.amdhsa_round_robin_scheduling 0
		.amdhsa_exception_fp_ieee_invalid_op 0
		.amdhsa_exception_fp_denorm_src 0
		.amdhsa_exception_fp_ieee_div_zero 0
		.amdhsa_exception_fp_ieee_overflow 0
		.amdhsa_exception_fp_ieee_underflow 0
		.amdhsa_exception_fp_ieee_inexact 0
		.amdhsa_exception_int_div_zero 0
	.end_amdhsa_kernel
	.section	.text._ZL29rocblas_internal_gemmt_kernelIlLi16ELi32ELi8ELc84ELc84ELc76ELb0ELb0EffPKfPfEviT_T9_T10_S3_lS5_S3_lS4_T11_S3_li,"axG",@progbits,_ZL29rocblas_internal_gemmt_kernelIlLi16ELi32ELi8ELc84ELc84ELc76ELb0ELb0EffPKfPfEviT_T9_T10_S3_lS5_S3_lS4_T11_S3_li,comdat
.Lfunc_end175:
	.size	_ZL29rocblas_internal_gemmt_kernelIlLi16ELi32ELi8ELc84ELc84ELc76ELb0ELb0EffPKfPfEviT_T9_T10_S3_lS5_S3_lS4_T11_S3_li, .Lfunc_end175-_ZL29rocblas_internal_gemmt_kernelIlLi16ELi32ELi8ELc84ELc84ELc76ELb0ELb0EffPKfPfEviT_T9_T10_S3_lS5_S3_lS4_T11_S3_li
                                        ; -- End function
	.set _ZL29rocblas_internal_gemmt_kernelIlLi16ELi32ELi8ELc84ELc84ELc76ELb0ELb0EffPKfPfEviT_T9_T10_S3_lS5_S3_lS4_T11_S3_li.num_vgpr, 54
	.set _ZL29rocblas_internal_gemmt_kernelIlLi16ELi32ELi8ELc84ELc84ELc76ELb0ELb0EffPKfPfEviT_T9_T10_S3_lS5_S3_lS4_T11_S3_li.num_agpr, 0
	.set _ZL29rocblas_internal_gemmt_kernelIlLi16ELi32ELi8ELc84ELc84ELc76ELb0ELb0EffPKfPfEviT_T9_T10_S3_lS5_S3_lS4_T11_S3_li.numbered_sgpr, 30
	.set _ZL29rocblas_internal_gemmt_kernelIlLi16ELi32ELi8ELc84ELc84ELc76ELb0ELb0EffPKfPfEviT_T9_T10_S3_lS5_S3_lS4_T11_S3_li.num_named_barrier, 0
	.set _ZL29rocblas_internal_gemmt_kernelIlLi16ELi32ELi8ELc84ELc84ELc76ELb0ELb0EffPKfPfEviT_T9_T10_S3_lS5_S3_lS4_T11_S3_li.private_seg_size, 0
	.set _ZL29rocblas_internal_gemmt_kernelIlLi16ELi32ELi8ELc84ELc84ELc76ELb0ELb0EffPKfPfEviT_T9_T10_S3_lS5_S3_lS4_T11_S3_li.uses_vcc, 1
	.set _ZL29rocblas_internal_gemmt_kernelIlLi16ELi32ELi8ELc84ELc84ELc76ELb0ELb0EffPKfPfEviT_T9_T10_S3_lS5_S3_lS4_T11_S3_li.uses_flat_scratch, 0
	.set _ZL29rocblas_internal_gemmt_kernelIlLi16ELi32ELi8ELc84ELc84ELc76ELb0ELb0EffPKfPfEviT_T9_T10_S3_lS5_S3_lS4_T11_S3_li.has_dyn_sized_stack, 0
	.set _ZL29rocblas_internal_gemmt_kernelIlLi16ELi32ELi8ELc84ELc84ELc76ELb0ELb0EffPKfPfEviT_T9_T10_S3_lS5_S3_lS4_T11_S3_li.has_recursion, 0
	.set _ZL29rocblas_internal_gemmt_kernelIlLi16ELi32ELi8ELc84ELc84ELc76ELb0ELb0EffPKfPfEviT_T9_T10_S3_lS5_S3_lS4_T11_S3_li.has_indirect_call, 0
	.section	.AMDGPU.csdata,"",@progbits
; Kernel info:
; codeLenInByte = 1608
; TotalNumSgprs: 32
; NumVgprs: 54
; ScratchSize: 0
; MemoryBound: 0
; FloatMode: 240
; IeeeMode: 1
; LDSByteSize: 2048 bytes/workgroup (compile time only)
; SGPRBlocks: 0
; VGPRBlocks: 3
; NumSGPRsForWavesPerEU: 32
; NumVGPRsForWavesPerEU: 54
; NamedBarCnt: 0
; Occupancy: 16
; WaveLimiterHint : 0
; COMPUTE_PGM_RSRC2:SCRATCH_EN: 0
; COMPUTE_PGM_RSRC2:USER_SGPR: 2
; COMPUTE_PGM_RSRC2:TRAP_HANDLER: 0
; COMPUTE_PGM_RSRC2:TGID_X_EN: 1
; COMPUTE_PGM_RSRC2:TGID_Y_EN: 1
; COMPUTE_PGM_RSRC2:TGID_Z_EN: 1
; COMPUTE_PGM_RSRC2:TIDIG_COMP_CNT: 1
	.section	.text._ZL29rocblas_internal_gemmt_kernelIlLi16ELi32ELi8ELc84ELc67ELc76ELb0ELb0EffPKfPfEviT_T9_T10_S3_lS5_S3_lS4_T11_S3_li,"axG",@progbits,_ZL29rocblas_internal_gemmt_kernelIlLi16ELi32ELi8ELc84ELc67ELc76ELb0ELb0EffPKfPfEviT_T9_T10_S3_lS5_S3_lS4_T11_S3_li,comdat
	.globl	_ZL29rocblas_internal_gemmt_kernelIlLi16ELi32ELi8ELc84ELc67ELc76ELb0ELb0EffPKfPfEviT_T9_T10_S3_lS5_S3_lS4_T11_S3_li ; -- Begin function _ZL29rocblas_internal_gemmt_kernelIlLi16ELi32ELi8ELc84ELc67ELc76ELb0ELb0EffPKfPfEviT_T9_T10_S3_lS5_S3_lS4_T11_S3_li
	.p2align	8
	.type	_ZL29rocblas_internal_gemmt_kernelIlLi16ELi32ELi8ELc84ELc67ELc76ELb0ELb0EffPKfPfEviT_T9_T10_S3_lS5_S3_lS4_T11_S3_li,@function
_ZL29rocblas_internal_gemmt_kernelIlLi16ELi32ELi8ELc84ELc67ELc76ELb0ELb0EffPKfPfEviT_T9_T10_S3_lS5_S3_lS4_T11_S3_li: ; @_ZL29rocblas_internal_gemmt_kernelIlLi16ELi32ELi8ELc84ELc67ELc76ELb0ELb0EffPKfPfEviT_T9_T10_S3_lS5_S3_lS4_T11_S3_li
; %bb.0:
	s_clause 0x1
	s_load_b32 s23, s[0:1], 0x48
	s_load_b96 s[20:22], s[0:1], 0x8
	s_wait_kmcnt 0x0
	s_cmp_neq_f32 s23, 1.0
	s_cselect_b32 s2, -1, 0
	s_delay_alu instid0(SALU_CYCLE_1)
	s_and_b32 vcc_lo, exec_lo, s2
	s_cbranch_vccnz .LBB176_2
; %bb.1:
	s_cmp_lg_u64 s[20:21], 0
	s_cselect_b32 s2, -1, 0
	s_cmp_neq_f32 s22, 0
	s_cselect_b32 s3, -1, 0
	s_delay_alu instid0(SALU_CYCLE_1)
	s_and_b32 s2, s2, s3
.LBB176_2:
	s_delay_alu instid0(SALU_CYCLE_1)
	s_and_not1_b32 vcc_lo, exec_lo, s2
	s_cbranch_vccnz .LBB176_35
; %bb.3:
	s_load_b32 s26, s[0:1], 0x68
	s_bfe_u32 s2, ttmp6, 0x40014
	s_lshr_b32 s3, ttmp7, 16
	s_add_co_i32 s2, s2, 1
	s_bfe_u32 s5, ttmp6, 0x40008
	s_mul_i32 s4, s3, s2
	s_getreg_b32 s2, hwreg(HW_REG_IB_STS2, 6, 4)
	s_add_co_i32 s5, s5, s4
	s_cmp_eq_u32 s2, 0
	s_mov_b32 s25, 0
	s_cselect_b32 s24, s3, s5
	s_wait_kmcnt 0x0
	s_cmp_ge_u32 s24, s26
	s_cbranch_scc1 .LBB176_35
; %bb.4:
	s_bfe_u32 s12, ttmp6, 0x4000c
	s_bfe_u32 s13, ttmp6, 0x40010
	v_and_b32_e32 v8, 0x3ff, v0
	v_bfe_u32 v2, v0, 10, 10
	s_add_co_i32 s12, s12, 1
	s_and_b32 s14, ttmp7, 0xffff
	s_add_co_i32 s13, s13, 1
	s_and_b32 s3, ttmp6, 15
	s_mul_i32 s12, ttmp9, s12
	s_mul_i32 s13, s14, s13
	s_bfe_u32 s15, ttmp6, 0x40004
	s_load_b256 s[4:11], s[0:1], 0x18
	v_lshl_add_u32 v4, v2, 4, v8
	s_add_co_i32 s3, s3, s12
	s_add_co_i32 s15, s15, s13
	s_cmp_eq_u32 s2, 0
	v_lshl_add_u32 v3, v2, 5, 0x400
	s_cselect_b32 s2, ttmp9, s3
	s_cselect_b32 s3, s14, s15
	s_lshl_b32 s2, s2, 5
	s_lshl_b32 s3, s3, 5
	s_delay_alu instid0(SALU_CYCLE_1)
	v_dual_add_nc_u32 v16, s3, v2 :: v_dual_bitop2_b32 v9, 31, v4 bitop3:0x40
	s_clause 0x1
	s_load_b128 s[12:15], s[0:1], 0x50
	s_load_b128 s[16:19], s[0:1], 0x38
	v_dual_lshrrev_b32 v2, 5, v4 :: v_dual_lshrrev_b32 v11, 3, v4
	v_dual_add_nc_u32 v18, 16, v16 :: v_dual_bitop2_b32 v12, s2, v9 bitop3:0x54
	v_and_b32_e32 v0, 7, v0
	v_dual_lshlrev_b32 v1, 2, v8 :: v_dual_add_nc_u32 v8, s2, v8
	s_delay_alu instid0(VALU_DEP_3) | instskip(NEXT) | instid1(VALU_DEP_3)
	v_dual_ashrrev_i32 v13, 31, v12 :: v_dual_ashrrev_i32 v19, 31, v18
	v_dual_add_nc_u32 v20, s3, v11 :: v_dual_lshlrev_b32 v10, 2, v0
	v_lshlrev_b32_e32 v9, 2, v9
	s_wait_kmcnt 0x0
	s_delay_alu instid0(VALU_DEP_3)
	v_mul_u64_e32 v[14:15], s[6:7], v[12:13]
	s_clause 0x1
	s_load_b32 s27, s[0:1], 0x0
	s_load_b64 s[6:7], s[0:1], 0x60
	s_cmp_neq_f32 s22, 0
	v_lshl_or_b32 v11, v11, 5, v10
	v_add_nc_u32_e32 v10, 16, v8
	v_lshl_or_b32 v26, v2, 7, v9
	v_ashrrev_i32_e32 v9, 31, v8
	v_ashrrev_i32_e32 v17, 31, v16
	v_mul_u64_e32 v[6:7], s[14:15], v[18:19]
	v_add_nc_u32_e32 v27, 0x400, v11
	v_ashrrev_i32_e32 v11, 31, v10
	v_cmp_le_i32_e32 vcc_lo, v16, v8
	v_mul_u64_e32 v[4:5], s[14:15], v[16:17]
	v_dual_ashrrev_i32 v21, 31, v20 :: v_dual_mov_b32 v17, 0
	s_cselect_b32 s14, -1, 0
	s_cmp_neq_f32 s23, 0
	v_cmp_gt_i64_e64 s28, s[20:21], 0
	s_wait_kmcnt 0x0
	v_cmp_gt_i32_e64 s2, s27, v8
	v_cmp_gt_i32_e64 s0, s27, v12
	v_lshl_add_u64 v[12:13], v[20:21], 2, s[10:11]
	s_cselect_b32 s10, -1, 0
	v_cmp_gt_i32_e64 s3, s27, v10
	s_and_b32 s11, vcc_lo, s2
	v_cmp_le_i32_e32 vcc_lo, v16, v10
	v_cmp_gt_i32_e64 s1, s27, v20
	s_and_b32 s14, s14, s28
	s_and_b32 s15, vcc_lo, s3
	v_lshl_add_u64 v[14:15], v[14:15], 2, s[4:5]
	v_cmp_le_i32_e64 s4, v18, v8
	v_cmp_le_i32_e64 s5, v18, v10
	s_and_b32 s4, s4, s2
	s_and_b32 s5, s5, s3
	s_branch .LBB176_6
.LBB176_5:                              ;   in Loop: Header=BB176_6 Depth=1
	s_wait_xcnt 0x0
	s_or_b32 exec_lo, exec_lo, s2
	s_add_co_i32 s24, s24, 0x10000
	s_delay_alu instid0(SALU_CYCLE_1)
	s_cmp_lt_u32 s24, s26
	s_cbranch_scc0 .LBB176_35
.LBB176_6:                              ; =>This Loop Header: Depth=1
                                        ;     Child Loop BB176_9 Depth 2
	v_dual_mov_b32 v25, v17 :: v_dual_mov_b32 v24, v17
	v_dual_mov_b32 v19, v17 :: v_dual_mov_b32 v18, v17
	s_and_not1_b32 vcc_lo, exec_lo, s14
	s_cbranch_vccnz .LBB176_15
; %bb.7:                                ;   in Loop: Header=BB176_6 Depth=1
	v_mov_b32_e32 v18, 0
	s_mul_u64 s[2:3], s[8:9], s[24:25]
	s_mul_u64 s[28:29], s[18:19], s[24:25]
	v_lshl_add_u64 v[20:21], s[2:3], 2, v[14:15]
	v_lshl_add_u64 v[22:23], s[28:29], 2, v[12:13]
	v_dual_mov_b32 v19, v18 :: v_dual_mov_b32 v24, v18
	v_mov_b32_e32 v25, v18
	s_mov_b64 s[2:3], 0
	s_branch .LBB176_9
.LBB176_8:                              ;   in Loop: Header=BB176_9 Depth=2
	s_wait_xcnt 0x0
	s_or_b32 exec_lo, exec_lo, s27
	s_wait_loadcnt 0x0
	ds_store_b32 v27, v29
	s_wait_dscnt 0x0
	s_barrier_signal -1
	s_barrier_wait -1
	ds_load_b128 v[28:31], v3
	ds_load_2addr_b32 v[44:45], v1 offset1:16
	ds_load_b128 v[32:35], v3 offset:512
	ds_load_2addr_b32 v[46:47], v1 offset0:32 offset1:48
	ds_load_2addr_b32 v[48:49], v1 offset0:64 offset1:80
	ds_load_2addr_b32 v[50:51], v1 offset0:96 offset1:112
	ds_load_b128 v[36:39], v3 offset:16
	ds_load_2addr_b32 v[52:53], v1 offset0:128 offset1:144
	ds_load_b128 v[40:43], v3 offset:528
	s_add_nc_u64 s[2:3], s[2:3], 8
	s_delay_alu instid0(SALU_CYCLE_1)
	v_cmp_gt_i64_e64 s27, s[20:21], s[2:3]
	s_and_b32 vcc_lo, exec_lo, s27
	s_wait_dscnt 0x8
	v_mov_b32_e32 v16, v31
	s_wait_dscnt 0x7
	v_pk_fma_f32 v[24:25], v[44:45], v[28:29], v[24:25] op_sel_hi:[1,0,1]
	s_wait_dscnt 0x6
	v_pk_fma_f32 v[18:19], v[44:45], v[32:33], v[18:19] op_sel_hi:[1,0,1]
	ds_load_2addr_b32 v[44:45], v1 offset0:160 offset1:176
	s_wait_dscnt 0x6
	v_pk_fma_f32 v[24:25], v[46:47], v[28:29], v[24:25] op_sel:[0,1,0]
	v_pk_fma_f32 v[18:19], v[46:47], v[32:33], v[18:19] op_sel:[0,1,0]
	ds_load_2addr_b32 v[28:29], v1 offset0:192 offset1:208
	v_mov_b32_e32 v32, v35
	s_wait_dscnt 0x6
	v_pk_fma_f32 v[24:25], v[48:49], v[30:31], v[24:25] op_sel_hi:[1,0,1]
	v_pk_fma_f32 v[18:19], v[48:49], v[34:35], v[18:19] op_sel_hi:[1,0,1]
	ds_load_2addr_b32 v[30:31], v1 offset0:224 offset1:240
	s_wait_dscnt 0x0
	s_barrier_signal -1
	v_pk_fma_f32 v[24:25], v[50:51], v[16:17], v[24:25] op_sel_hi:[1,0,1]
	v_pk_fma_f32 v[18:19], v[50:51], v[32:33], v[18:19] op_sel_hi:[1,0,1]
	v_dual_mov_b32 v16, v39 :: v_dual_mov_b32 v32, v43
	s_barrier_wait -1
	s_delay_alu instid0(VALU_DEP_3) | instskip(NEXT) | instid1(VALU_DEP_3)
	v_pk_fma_f32 v[24:25], v[52:53], v[36:37], v[24:25] op_sel_hi:[1,0,1]
	v_pk_fma_f32 v[18:19], v[52:53], v[40:41], v[18:19] op_sel_hi:[1,0,1]
	s_delay_alu instid0(VALU_DEP_2) | instskip(NEXT) | instid1(VALU_DEP_2)
	v_pk_fma_f32 v[24:25], v[44:45], v[36:37], v[24:25] op_sel:[0,1,0]
	v_pk_fma_f32 v[18:19], v[44:45], v[40:41], v[18:19] op_sel:[0,1,0]
	s_delay_alu instid0(VALU_DEP_2) | instskip(NEXT) | instid1(VALU_DEP_2)
	v_pk_fma_f32 v[24:25], v[28:29], v[38:39], v[24:25] op_sel_hi:[1,0,1]
	v_pk_fma_f32 v[18:19], v[28:29], v[42:43], v[18:19] op_sel_hi:[1,0,1]
	s_delay_alu instid0(VALU_DEP_2) | instskip(NEXT) | instid1(VALU_DEP_2)
	v_pk_fma_f32 v[24:25], v[30:31], v[16:17], v[24:25] op_sel_hi:[1,0,1]
	v_pk_fma_f32 v[18:19], v[30:31], v[32:33], v[18:19] op_sel_hi:[1,0,1]
	s_cbranch_vccz .LBB176_15
.LBB176_9:                              ;   Parent Loop BB176_6 Depth=1
                                        ; =>  This Inner Loop Header: Depth=2
	v_mov_b32_e32 v28, 0
	s_and_saveexec_b32 s27, s0
	s_cbranch_execz .LBB176_13
; %bb.10:                               ;   in Loop: Header=BB176_9 Depth=2
	v_dual_add_nc_u32 v16, s2, v2 :: v_dual_mov_b32 v28, 0
	s_mov_b32 s28, exec_lo
	s_delay_alu instid0(VALU_DEP_1)
	v_cmpx_gt_u64_e64 s[20:21], v[16:17]
	s_cbranch_execz .LBB176_12
; %bb.11:                               ;   in Loop: Header=BB176_9 Depth=2
	v_lshl_add_u64 v[28:29], v[16:17], 2, v[20:21]
	global_load_b32 v28, v[28:29], off
.LBB176_12:                             ;   in Loop: Header=BB176_9 Depth=2
	s_wait_xcnt 0x0
	s_or_b32 exec_lo, exec_lo, s28
.LBB176_13:                             ;   in Loop: Header=BB176_9 Depth=2
	s_delay_alu instid0(SALU_CYCLE_1)
	s_or_b32 exec_lo, exec_lo, s27
	v_dual_mov_b32 v29, 0 :: v_dual_add_nc_u32 v16, s2, v0
	s_wait_loadcnt 0x0
	ds_store_b32 v26, v28
	v_cmp_gt_u64_e32 vcc_lo, s[20:21], v[16:17]
	s_and_b32 s28, vcc_lo, s1
	s_delay_alu instid0(SALU_CYCLE_1)
	s_and_saveexec_b32 s27, s28
	s_cbranch_execz .LBB176_8
; %bb.14:                               ;   in Loop: Header=BB176_9 Depth=2
	v_mul_u64_e32 v[28:29], s[16:17], v[16:17]
	s_delay_alu instid0(VALU_DEP_1)
	v_lshl_add_u64 v[28:29], v[28:29], 2, v[22:23]
	global_load_b32 v29, v[28:29], off
	s_branch .LBB176_8
.LBB176_15:                             ;   in Loop: Header=BB176_6 Depth=1
	s_mul_u64 s[2:3], s[6:7], s[24:25]
	s_delay_alu instid0(SALU_CYCLE_1) | instskip(NEXT) | instid1(SALU_CYCLE_1)
	s_lshl_b64 s[2:3], s[2:3], 2
	s_add_nc_u64 s[2:3], s[12:13], s[2:3]
	s_delay_alu instid0(SALU_CYCLE_1)
	v_lshl_add_u64 v[20:21], v[4:5], 2, s[2:3]
	s_and_saveexec_b32 s27, s11
	s_cbranch_execz .LBB176_19
; %bb.16:                               ;   in Loop: Header=BB176_6 Depth=1
	v_mul_f32_e32 v16, s22, v24
	s_delay_alu instid0(VALU_DEP_2)
	v_lshl_add_u64 v[22:23], v[8:9], 2, v[20:21]
	s_and_b32 vcc_lo, exec_lo, s10
	s_cbranch_vccz .LBB176_30
; %bb.17:                               ;   in Loop: Header=BB176_6 Depth=1
	global_load_b32 v24, v[22:23], off
	s_wait_loadcnt 0x0
	v_fma_f32 v24, s23, v24, v16
	global_store_b32 v[22:23], v24, off
	s_cbranch_execnz .LBB176_19
.LBB176_18:                             ;   in Loop: Header=BB176_6 Depth=1
	global_store_b32 v[22:23], v16, off
.LBB176_19:                             ;   in Loop: Header=BB176_6 Depth=1
	s_wait_xcnt 0x0
	s_or_b32 exec_lo, exec_lo, s27
	s_and_saveexec_b32 s27, s15
	s_cbranch_execz .LBB176_23
; %bb.20:                               ;   in Loop: Header=BB176_6 Depth=1
	v_mul_f32_e32 v16, s22, v25
	v_lshl_add_u64 v[20:21], v[10:11], 2, v[20:21]
	s_and_not1_b32 vcc_lo, exec_lo, s10
	s_cbranch_vccnz .LBB176_31
; %bb.21:                               ;   in Loop: Header=BB176_6 Depth=1
	global_load_b32 v22, v[20:21], off
	s_wait_loadcnt 0x0
	v_fma_f32 v22, s23, v22, v16
	global_store_b32 v[20:21], v22, off
	s_cbranch_execnz .LBB176_23
.LBB176_22:                             ;   in Loop: Header=BB176_6 Depth=1
	global_store_b32 v[20:21], v16, off
.LBB176_23:                             ;   in Loop: Header=BB176_6 Depth=1
	s_wait_xcnt 0x0
	s_or_b32 exec_lo, exec_lo, s27
	v_lshl_add_u64 v[20:21], v[6:7], 2, s[2:3]
	s_and_saveexec_b32 s2, s4
	s_cbranch_execz .LBB176_27
; %bb.24:                               ;   in Loop: Header=BB176_6 Depth=1
	v_mul_f32_e32 v16, s22, v18
	s_delay_alu instid0(VALU_DEP_2)
	v_lshl_add_u64 v[22:23], v[8:9], 2, v[20:21]
	s_and_not1_b32 vcc_lo, exec_lo, s10
	s_cbranch_vccnz .LBB176_32
; %bb.25:                               ;   in Loop: Header=BB176_6 Depth=1
	global_load_b32 v18, v[22:23], off
	s_wait_loadcnt 0x0
	v_fma_f32 v18, s23, v18, v16
	global_store_b32 v[22:23], v18, off
	s_cbranch_execnz .LBB176_27
.LBB176_26:                             ;   in Loop: Header=BB176_6 Depth=1
	global_store_b32 v[22:23], v16, off
.LBB176_27:                             ;   in Loop: Header=BB176_6 Depth=1
	s_wait_xcnt 0x0
	s_or_b32 exec_lo, exec_lo, s2
	s_and_saveexec_b32 s2, s5
	s_cbranch_execz .LBB176_5
; %bb.28:                               ;   in Loop: Header=BB176_6 Depth=1
	v_mul_f32_e32 v16, s22, v19
	v_lshl_add_u64 v[18:19], v[10:11], 2, v[20:21]
	s_and_not1_b32 vcc_lo, exec_lo, s10
	s_cbranch_vccnz .LBB176_33
; %bb.29:                               ;   in Loop: Header=BB176_6 Depth=1
	global_load_b32 v20, v[18:19], off
	s_wait_loadcnt 0x0
	v_fma_f32 v20, s23, v20, v16
	global_store_b32 v[18:19], v20, off
	s_cbranch_execnz .LBB176_5
	s_branch .LBB176_34
.LBB176_30:                             ;   in Loop: Header=BB176_6 Depth=1
	s_branch .LBB176_18
.LBB176_31:                             ;   in Loop: Header=BB176_6 Depth=1
	s_branch .LBB176_22
.LBB176_32:                             ;   in Loop: Header=BB176_6 Depth=1
	s_branch .LBB176_26
.LBB176_33:                             ;   in Loop: Header=BB176_6 Depth=1
.LBB176_34:                             ;   in Loop: Header=BB176_6 Depth=1
	global_store_b32 v[18:19], v16, off
	s_branch .LBB176_5
.LBB176_35:
	s_endpgm
	.section	.rodata,"a",@progbits
	.p2align	6, 0x0
	.amdhsa_kernel _ZL29rocblas_internal_gemmt_kernelIlLi16ELi32ELi8ELc84ELc67ELc76ELb0ELb0EffPKfPfEviT_T9_T10_S3_lS5_S3_lS4_T11_S3_li
		.amdhsa_group_segment_fixed_size 2048
		.amdhsa_private_segment_fixed_size 0
		.amdhsa_kernarg_size 108
		.amdhsa_user_sgpr_count 2
		.amdhsa_user_sgpr_dispatch_ptr 0
		.amdhsa_user_sgpr_queue_ptr 0
		.amdhsa_user_sgpr_kernarg_segment_ptr 1
		.amdhsa_user_sgpr_dispatch_id 0
		.amdhsa_user_sgpr_kernarg_preload_length 0
		.amdhsa_user_sgpr_kernarg_preload_offset 0
		.amdhsa_user_sgpr_private_segment_size 0
		.amdhsa_wavefront_size32 1
		.amdhsa_uses_dynamic_stack 0
		.amdhsa_enable_private_segment 0
		.amdhsa_system_sgpr_workgroup_id_x 1
		.amdhsa_system_sgpr_workgroup_id_y 1
		.amdhsa_system_sgpr_workgroup_id_z 1
		.amdhsa_system_sgpr_workgroup_info 0
		.amdhsa_system_vgpr_workitem_id 1
		.amdhsa_next_free_vgpr 54
		.amdhsa_next_free_sgpr 30
		.amdhsa_named_barrier_count 0
		.amdhsa_reserve_vcc 1
		.amdhsa_float_round_mode_32 0
		.amdhsa_float_round_mode_16_64 0
		.amdhsa_float_denorm_mode_32 3
		.amdhsa_float_denorm_mode_16_64 3
		.amdhsa_fp16_overflow 0
		.amdhsa_memory_ordered 1
		.amdhsa_forward_progress 1
		.amdhsa_inst_pref_size 13
		.amdhsa_round_robin_scheduling 0
		.amdhsa_exception_fp_ieee_invalid_op 0
		.amdhsa_exception_fp_denorm_src 0
		.amdhsa_exception_fp_ieee_div_zero 0
		.amdhsa_exception_fp_ieee_overflow 0
		.amdhsa_exception_fp_ieee_underflow 0
		.amdhsa_exception_fp_ieee_inexact 0
		.amdhsa_exception_int_div_zero 0
	.end_amdhsa_kernel
	.section	.text._ZL29rocblas_internal_gemmt_kernelIlLi16ELi32ELi8ELc84ELc67ELc76ELb0ELb0EffPKfPfEviT_T9_T10_S3_lS5_S3_lS4_T11_S3_li,"axG",@progbits,_ZL29rocblas_internal_gemmt_kernelIlLi16ELi32ELi8ELc84ELc67ELc76ELb0ELb0EffPKfPfEviT_T9_T10_S3_lS5_S3_lS4_T11_S3_li,comdat
.Lfunc_end176:
	.size	_ZL29rocblas_internal_gemmt_kernelIlLi16ELi32ELi8ELc84ELc67ELc76ELb0ELb0EffPKfPfEviT_T9_T10_S3_lS5_S3_lS4_T11_S3_li, .Lfunc_end176-_ZL29rocblas_internal_gemmt_kernelIlLi16ELi32ELi8ELc84ELc67ELc76ELb0ELb0EffPKfPfEviT_T9_T10_S3_lS5_S3_lS4_T11_S3_li
                                        ; -- End function
	.set _ZL29rocblas_internal_gemmt_kernelIlLi16ELi32ELi8ELc84ELc67ELc76ELb0ELb0EffPKfPfEviT_T9_T10_S3_lS5_S3_lS4_T11_S3_li.num_vgpr, 54
	.set _ZL29rocblas_internal_gemmt_kernelIlLi16ELi32ELi8ELc84ELc67ELc76ELb0ELb0EffPKfPfEviT_T9_T10_S3_lS5_S3_lS4_T11_S3_li.num_agpr, 0
	.set _ZL29rocblas_internal_gemmt_kernelIlLi16ELi32ELi8ELc84ELc67ELc76ELb0ELb0EffPKfPfEviT_T9_T10_S3_lS5_S3_lS4_T11_S3_li.numbered_sgpr, 30
	.set _ZL29rocblas_internal_gemmt_kernelIlLi16ELi32ELi8ELc84ELc67ELc76ELb0ELb0EffPKfPfEviT_T9_T10_S3_lS5_S3_lS4_T11_S3_li.num_named_barrier, 0
	.set _ZL29rocblas_internal_gemmt_kernelIlLi16ELi32ELi8ELc84ELc67ELc76ELb0ELb0EffPKfPfEviT_T9_T10_S3_lS5_S3_lS4_T11_S3_li.private_seg_size, 0
	.set _ZL29rocblas_internal_gemmt_kernelIlLi16ELi32ELi8ELc84ELc67ELc76ELb0ELb0EffPKfPfEviT_T9_T10_S3_lS5_S3_lS4_T11_S3_li.uses_vcc, 1
	.set _ZL29rocblas_internal_gemmt_kernelIlLi16ELi32ELi8ELc84ELc67ELc76ELb0ELb0EffPKfPfEviT_T9_T10_S3_lS5_S3_lS4_T11_S3_li.uses_flat_scratch, 0
	.set _ZL29rocblas_internal_gemmt_kernelIlLi16ELi32ELi8ELc84ELc67ELc76ELb0ELb0EffPKfPfEviT_T9_T10_S3_lS5_S3_lS4_T11_S3_li.has_dyn_sized_stack, 0
	.set _ZL29rocblas_internal_gemmt_kernelIlLi16ELi32ELi8ELc84ELc67ELc76ELb0ELb0EffPKfPfEviT_T9_T10_S3_lS5_S3_lS4_T11_S3_li.has_recursion, 0
	.set _ZL29rocblas_internal_gemmt_kernelIlLi16ELi32ELi8ELc84ELc67ELc76ELb0ELb0EffPKfPfEviT_T9_T10_S3_lS5_S3_lS4_T11_S3_li.has_indirect_call, 0
	.section	.AMDGPU.csdata,"",@progbits
; Kernel info:
; codeLenInByte = 1608
; TotalNumSgprs: 32
; NumVgprs: 54
; ScratchSize: 0
; MemoryBound: 0
; FloatMode: 240
; IeeeMode: 1
; LDSByteSize: 2048 bytes/workgroup (compile time only)
; SGPRBlocks: 0
; VGPRBlocks: 3
; NumSGPRsForWavesPerEU: 32
; NumVGPRsForWavesPerEU: 54
; NamedBarCnt: 0
; Occupancy: 16
; WaveLimiterHint : 0
; COMPUTE_PGM_RSRC2:SCRATCH_EN: 0
; COMPUTE_PGM_RSRC2:USER_SGPR: 2
; COMPUTE_PGM_RSRC2:TRAP_HANDLER: 0
; COMPUTE_PGM_RSRC2:TGID_X_EN: 1
; COMPUTE_PGM_RSRC2:TGID_Y_EN: 1
; COMPUTE_PGM_RSRC2:TGID_Z_EN: 1
; COMPUTE_PGM_RSRC2:TIDIG_COMP_CNT: 1
	.section	.text._ZL29rocblas_internal_gemmt_kernelIlLi16ELi32ELi8ELc67ELc78ELc76ELb0ELb0EffPKfPfEviT_T9_T10_S3_lS5_S3_lS4_T11_S3_li,"axG",@progbits,_ZL29rocblas_internal_gemmt_kernelIlLi16ELi32ELi8ELc67ELc78ELc76ELb0ELb0EffPKfPfEviT_T9_T10_S3_lS5_S3_lS4_T11_S3_li,comdat
	.globl	_ZL29rocblas_internal_gemmt_kernelIlLi16ELi32ELi8ELc67ELc78ELc76ELb0ELb0EffPKfPfEviT_T9_T10_S3_lS5_S3_lS4_T11_S3_li ; -- Begin function _ZL29rocblas_internal_gemmt_kernelIlLi16ELi32ELi8ELc67ELc78ELc76ELb0ELb0EffPKfPfEviT_T9_T10_S3_lS5_S3_lS4_T11_S3_li
	.p2align	8
	.type	_ZL29rocblas_internal_gemmt_kernelIlLi16ELi32ELi8ELc67ELc78ELc76ELb0ELb0EffPKfPfEviT_T9_T10_S3_lS5_S3_lS4_T11_S3_li,@function
_ZL29rocblas_internal_gemmt_kernelIlLi16ELi32ELi8ELc67ELc78ELc76ELb0ELb0EffPKfPfEviT_T9_T10_S3_lS5_S3_lS4_T11_S3_li: ; @_ZL29rocblas_internal_gemmt_kernelIlLi16ELi32ELi8ELc67ELc78ELc76ELb0ELb0EffPKfPfEviT_T9_T10_S3_lS5_S3_lS4_T11_S3_li
; %bb.0:
	s_clause 0x1
	s_load_b32 s23, s[0:1], 0x48
	s_load_b96 s[20:22], s[0:1], 0x8
	s_wait_kmcnt 0x0
	s_cmp_neq_f32 s23, 1.0
	s_cselect_b32 s2, -1, 0
	s_delay_alu instid0(SALU_CYCLE_1)
	s_and_b32 vcc_lo, exec_lo, s2
	s_cbranch_vccnz .LBB177_2
; %bb.1:
	s_cmp_lg_u64 s[20:21], 0
	s_cselect_b32 s2, -1, 0
	s_cmp_neq_f32 s22, 0
	s_cselect_b32 s3, -1, 0
	s_delay_alu instid0(SALU_CYCLE_1)
	s_and_b32 s2, s2, s3
.LBB177_2:
	s_delay_alu instid0(SALU_CYCLE_1)
	s_and_not1_b32 vcc_lo, exec_lo, s2
	s_cbranch_vccnz .LBB177_35
; %bb.3:
	s_load_b32 s26, s[0:1], 0x68
	s_bfe_u32 s2, ttmp6, 0x40014
	s_lshr_b32 s3, ttmp7, 16
	s_add_co_i32 s2, s2, 1
	s_bfe_u32 s5, ttmp6, 0x40008
	s_mul_i32 s4, s3, s2
	s_getreg_b32 s2, hwreg(HW_REG_IB_STS2, 6, 4)
	s_add_co_i32 s5, s5, s4
	s_cmp_eq_u32 s2, 0
	s_mov_b32 s25, 0
	s_cselect_b32 s24, s3, s5
	s_wait_kmcnt 0x0
	s_cmp_ge_u32 s24, s26
	s_cbranch_scc1 .LBB177_35
; %bb.4:
	v_and_b32_e32 v3, 0x3ff, v0
	v_bfe_u32 v9, v0, 10, 10
	s_bfe_u32 s16, ttmp6, 0x4000c
	s_bfe_u32 s18, ttmp6, 0x40010
	s_and_b32 s17, ttmp7, 0xffff
	s_add_co_i32 s16, s16, 1
	s_add_co_i32 s18, s18, 1
	s_clause 0x1
	s_load_b256 s[4:11], s[0:1], 0x18
	s_load_b128 s[12:15], s[0:1], 0x38
	v_lshl_add_u32 v2, v9, 4, v3
	s_and_b32 s3, ttmp6, 15
	s_mul_i32 s16, ttmp9, s16
	s_mul_i32 s18, s17, s18
	s_bfe_u32 s19, ttmp6, 0x40004
	s_add_co_i32 s3, s3, s16
	s_add_co_i32 s19, s19, s18
	s_cmp_eq_u32 s2, 0
	v_dual_lshrrev_b32 v10, 3, v2 :: v_dual_bitop2_b32 v11, 31, v2 bitop3:0x40
	s_cselect_b32 s2, ttmp9, s3
	s_cselect_b32 s3, s17, s19
	s_load_b128 s[16:19], s[0:1], 0x50
	s_lshl_b32 s2, s2, 5
	s_lshl_b32 s3, s3, 5
	s_delay_alu instid0(SALU_CYCLE_1) | instskip(SKIP_2) | instid1(VALU_DEP_2)
	v_dual_add_nc_u32 v14, s3, v10 :: v_dual_bitop2_b32 v12, s2, v11 bitop3:0x54
	v_dual_add_nc_u32 v20, s3, v9 :: v_dual_bitop2_b32 v0, 7, v0 bitop3:0x40
	s_load_b32 s3, s[0:1], 0x0
	v_dual_ashrrev_i32 v13, 31, v12 :: v_dual_ashrrev_i32 v15, 31, v14
	s_delay_alu instid0(VALU_DEP_2) | instskip(SKIP_2) | instid1(VALU_DEP_3)
	v_dual_add_nc_u32 v22, 16, v20 :: v_dual_ashrrev_i32 v21, 31, v20
	v_add_nc_u32_e32 v8, s2, v3
	s_wait_kmcnt 0x0
	v_mul_u64_e32 v[16:17], s[6:7], v[12:13]
	v_mul_u64_e32 v[18:19], s[12:13], v[14:15]
	v_dual_ashrrev_i32 v23, 31, v22 :: v_dual_lshlrev_b32 v13, 2, v0
	s_load_b64 s[6:7], s[0:1], 0x60
	v_dual_lshlrev_b32 v1, 2, v3 :: v_dual_lshrrev_b32 v2, 5, v2
	v_mul_u64_e32 v[4:5], s[18:19], v[20:21]
	s_delay_alu instid0(VALU_DEP_3)
	v_mul_u64_e32 v[6:7], s[18:19], v[22:23]
	v_lshlrev_b32_e32 v3, 2, v11
	v_lshl_or_b32 v11, v10, 5, v13
	v_add_nc_u32_e32 v10, 16, v8
	s_cmp_neq_f32 s22, 0
	v_cmp_gt_i64_e64 s12, s[20:21], 0
	s_wait_xcnt 0x0
	v_cmp_gt_i32_e64 s0, s3, v12
	v_add_nc_u32_e32 v26, 0x400, v11
	v_ashrrev_i32_e32 v11, 31, v10
	v_cmp_le_i32_e32 vcc_lo, v20, v8
	v_cmp_gt_i32_e64 s2, s3, v8
	s_cselect_b32 s13, -1, 0
	s_cmp_neq_f32 s23, 0
	v_cmp_gt_i32_e64 s1, s3, v14
	v_cmp_gt_i32_e64 s3, s3, v10
	v_lshl_or_b32 v3, v2, 7, v3
	v_lshl_add_u32 v27, v9, 5, 0x400
	v_ashrrev_i32_e32 v9, 31, v8
	v_lshl_add_u64 v[12:13], v[16:17], 2, s[4:5]
	v_lshl_add_u64 v[14:15], v[18:19], 2, s[10:11]
	s_cselect_b32 s10, -1, 0
	s_and_b32 s11, vcc_lo, s2
	v_cmp_le_i32_e32 vcc_lo, v20, v10
	v_cmp_le_i32_e64 s4, v22, v8
	v_cmp_le_i32_e64 s5, v22, v10
	v_mov_b32_e32 v17, 0
	s_and_b32 s12, s13, s12
	s_and_b32 s13, vcc_lo, s3
	s_and_b32 s4, s4, s2
	s_and_b32 s5, s5, s3
	s_branch .LBB177_6
.LBB177_5:                              ;   in Loop: Header=BB177_6 Depth=1
	s_wait_xcnt 0x0
	s_or_b32 exec_lo, exec_lo, s2
	s_add_co_i32 s24, s24, 0x10000
	s_delay_alu instid0(SALU_CYCLE_1)
	s_cmp_lt_u32 s24, s26
	s_cbranch_scc0 .LBB177_35
.LBB177_6:                              ; =>This Loop Header: Depth=1
                                        ;     Child Loop BB177_9 Depth 2
	v_dual_mov_b32 v25, v17 :: v_dual_mov_b32 v24, v17
	v_dual_mov_b32 v19, v17 :: v_dual_mov_b32 v18, v17
	s_and_not1_b32 vcc_lo, exec_lo, s12
	s_cbranch_vccnz .LBB177_15
; %bb.7:                                ;   in Loop: Header=BB177_6 Depth=1
	v_mov_b32_e32 v18, 0
	s_mul_u64 s[2:3], s[8:9], s[24:25]
	s_mul_u64 s[18:19], s[14:15], s[24:25]
	v_lshl_add_u64 v[20:21], s[2:3], 2, v[12:13]
	v_lshl_add_u64 v[22:23], s[18:19], 2, v[14:15]
	v_dual_mov_b32 v19, v18 :: v_dual_mov_b32 v24, v18
	v_mov_b32_e32 v25, v18
	s_mov_b64 s[2:3], 0
	s_branch .LBB177_9
.LBB177_8:                              ;   in Loop: Header=BB177_9 Depth=2
	s_wait_xcnt 0x0
	s_or_b32 exec_lo, exec_lo, s18
	s_wait_loadcnt 0x0
	ds_store_b32 v26, v29
	s_wait_dscnt 0x0
	s_barrier_signal -1
	s_barrier_wait -1
	ds_load_b128 v[28:31], v27
	ds_load_2addr_b32 v[44:45], v1 offset1:16
	ds_load_b128 v[32:35], v27 offset:512
	ds_load_2addr_b32 v[46:47], v1 offset0:32 offset1:48
	ds_load_2addr_b32 v[48:49], v1 offset0:64 offset1:80
	;; [unrolled: 1-line block ×3, first 2 shown]
	ds_load_b128 v[36:39], v27 offset:16
	ds_load_2addr_b32 v[52:53], v1 offset0:128 offset1:144
	ds_load_b128 v[40:43], v27 offset:528
	s_add_nc_u64 s[2:3], s[2:3], 8
	s_delay_alu instid0(SALU_CYCLE_1)
	v_cmp_gt_i64_e64 s18, s[20:21], s[2:3]
	s_and_b32 vcc_lo, exec_lo, s18
	s_wait_dscnt 0x8
	v_mov_b32_e32 v16, v31
	s_wait_dscnt 0x7
	v_pk_fma_f32 v[24:25], v[44:45], v[28:29], v[24:25] op_sel_hi:[1,0,1]
	s_wait_dscnt 0x6
	v_pk_fma_f32 v[18:19], v[44:45], v[32:33], v[18:19] op_sel_hi:[1,0,1]
	ds_load_2addr_b32 v[44:45], v1 offset0:160 offset1:176
	s_wait_dscnt 0x6
	v_pk_fma_f32 v[24:25], v[46:47], v[28:29], v[24:25] op_sel:[0,1,0]
	v_pk_fma_f32 v[18:19], v[46:47], v[32:33], v[18:19] op_sel:[0,1,0]
	ds_load_2addr_b32 v[28:29], v1 offset0:192 offset1:208
	v_mov_b32_e32 v32, v35
	s_wait_dscnt 0x6
	v_pk_fma_f32 v[24:25], v[48:49], v[30:31], v[24:25] op_sel_hi:[1,0,1]
	v_pk_fma_f32 v[18:19], v[48:49], v[34:35], v[18:19] op_sel_hi:[1,0,1]
	ds_load_2addr_b32 v[30:31], v1 offset0:224 offset1:240
	s_wait_dscnt 0x0
	s_barrier_signal -1
	v_pk_fma_f32 v[24:25], v[50:51], v[16:17], v[24:25] op_sel_hi:[1,0,1]
	v_pk_fma_f32 v[18:19], v[50:51], v[32:33], v[18:19] op_sel_hi:[1,0,1]
	v_dual_mov_b32 v16, v39 :: v_dual_mov_b32 v32, v43
	s_barrier_wait -1
	s_delay_alu instid0(VALU_DEP_3) | instskip(NEXT) | instid1(VALU_DEP_3)
	v_pk_fma_f32 v[24:25], v[52:53], v[36:37], v[24:25] op_sel_hi:[1,0,1]
	v_pk_fma_f32 v[18:19], v[52:53], v[40:41], v[18:19] op_sel_hi:[1,0,1]
	s_delay_alu instid0(VALU_DEP_2) | instskip(NEXT) | instid1(VALU_DEP_2)
	v_pk_fma_f32 v[24:25], v[44:45], v[36:37], v[24:25] op_sel:[0,1,0]
	v_pk_fma_f32 v[18:19], v[44:45], v[40:41], v[18:19] op_sel:[0,1,0]
	s_delay_alu instid0(VALU_DEP_2) | instskip(NEXT) | instid1(VALU_DEP_2)
	v_pk_fma_f32 v[24:25], v[28:29], v[38:39], v[24:25] op_sel_hi:[1,0,1]
	v_pk_fma_f32 v[18:19], v[28:29], v[42:43], v[18:19] op_sel_hi:[1,0,1]
	s_delay_alu instid0(VALU_DEP_2) | instskip(NEXT) | instid1(VALU_DEP_2)
	v_pk_fma_f32 v[24:25], v[30:31], v[16:17], v[24:25] op_sel_hi:[1,0,1]
	v_pk_fma_f32 v[18:19], v[30:31], v[32:33], v[18:19] op_sel_hi:[1,0,1]
	s_cbranch_vccz .LBB177_15
.LBB177_9:                              ;   Parent Loop BB177_6 Depth=1
                                        ; =>  This Inner Loop Header: Depth=2
	v_mov_b32_e32 v28, 0
	s_and_saveexec_b32 s18, s0
	s_cbranch_execz .LBB177_13
; %bb.10:                               ;   in Loop: Header=BB177_9 Depth=2
	v_dual_add_nc_u32 v16, s2, v2 :: v_dual_mov_b32 v28, 0
	s_mov_b32 s19, exec_lo
	s_delay_alu instid0(VALU_DEP_1)
	v_cmpx_gt_u64_e64 s[20:21], v[16:17]
	s_cbranch_execz .LBB177_12
; %bb.11:                               ;   in Loop: Header=BB177_9 Depth=2
	v_lshl_add_u64 v[28:29], v[16:17], 2, v[20:21]
	global_load_b32 v28, v[28:29], off
.LBB177_12:                             ;   in Loop: Header=BB177_9 Depth=2
	s_wait_xcnt 0x0
	s_or_b32 exec_lo, exec_lo, s19
.LBB177_13:                             ;   in Loop: Header=BB177_9 Depth=2
	s_delay_alu instid0(SALU_CYCLE_1)
	s_or_b32 exec_lo, exec_lo, s18
	v_dual_mov_b32 v29, 0 :: v_dual_add_nc_u32 v16, s2, v0
	s_wait_loadcnt 0x0
	ds_store_b32 v3, v28
	v_cmp_gt_u64_e32 vcc_lo, s[20:21], v[16:17]
	s_and_b32 s19, vcc_lo, s1
	s_delay_alu instid0(SALU_CYCLE_1)
	s_and_saveexec_b32 s18, s19
	s_cbranch_execz .LBB177_8
; %bb.14:                               ;   in Loop: Header=BB177_9 Depth=2
	v_lshl_add_u64 v[28:29], v[16:17], 2, v[22:23]
	global_load_b32 v29, v[28:29], off
	s_branch .LBB177_8
.LBB177_15:                             ;   in Loop: Header=BB177_6 Depth=1
	s_wait_kmcnt 0x0
	s_mul_u64 s[2:3], s[6:7], s[24:25]
	s_delay_alu instid0(SALU_CYCLE_1) | instskip(NEXT) | instid1(SALU_CYCLE_1)
	s_lshl_b64 s[2:3], s[2:3], 2
	s_add_nc_u64 s[2:3], s[16:17], s[2:3]
	s_delay_alu instid0(SALU_CYCLE_1)
	v_lshl_add_u64 v[20:21], v[4:5], 2, s[2:3]
	s_and_saveexec_b32 s18, s11
	s_cbranch_execz .LBB177_19
; %bb.16:                               ;   in Loop: Header=BB177_6 Depth=1
	v_mul_f32_e32 v16, s22, v24
	s_delay_alu instid0(VALU_DEP_2)
	v_lshl_add_u64 v[22:23], v[8:9], 2, v[20:21]
	s_and_b32 vcc_lo, exec_lo, s10
	s_cbranch_vccz .LBB177_30
; %bb.17:                               ;   in Loop: Header=BB177_6 Depth=1
	global_load_b32 v24, v[22:23], off
	s_wait_loadcnt 0x0
	v_fma_f32 v24, s23, v24, v16
	global_store_b32 v[22:23], v24, off
	s_cbranch_execnz .LBB177_19
.LBB177_18:                             ;   in Loop: Header=BB177_6 Depth=1
	global_store_b32 v[22:23], v16, off
.LBB177_19:                             ;   in Loop: Header=BB177_6 Depth=1
	s_wait_xcnt 0x0
	s_or_b32 exec_lo, exec_lo, s18
	s_and_saveexec_b32 s18, s13
	s_cbranch_execz .LBB177_23
; %bb.20:                               ;   in Loop: Header=BB177_6 Depth=1
	v_mul_f32_e32 v16, s22, v25
	v_lshl_add_u64 v[20:21], v[10:11], 2, v[20:21]
	s_and_not1_b32 vcc_lo, exec_lo, s10
	s_cbranch_vccnz .LBB177_31
; %bb.21:                               ;   in Loop: Header=BB177_6 Depth=1
	global_load_b32 v22, v[20:21], off
	s_wait_loadcnt 0x0
	v_fma_f32 v22, s23, v22, v16
	global_store_b32 v[20:21], v22, off
	s_cbranch_execnz .LBB177_23
.LBB177_22:                             ;   in Loop: Header=BB177_6 Depth=1
	global_store_b32 v[20:21], v16, off
.LBB177_23:                             ;   in Loop: Header=BB177_6 Depth=1
	s_wait_xcnt 0x0
	s_or_b32 exec_lo, exec_lo, s18
	v_lshl_add_u64 v[20:21], v[6:7], 2, s[2:3]
	s_and_saveexec_b32 s2, s4
	s_cbranch_execz .LBB177_27
; %bb.24:                               ;   in Loop: Header=BB177_6 Depth=1
	v_mul_f32_e32 v16, s22, v18
	s_delay_alu instid0(VALU_DEP_2)
	v_lshl_add_u64 v[22:23], v[8:9], 2, v[20:21]
	s_and_not1_b32 vcc_lo, exec_lo, s10
	s_cbranch_vccnz .LBB177_32
; %bb.25:                               ;   in Loop: Header=BB177_6 Depth=1
	global_load_b32 v18, v[22:23], off
	s_wait_loadcnt 0x0
	v_fma_f32 v18, s23, v18, v16
	global_store_b32 v[22:23], v18, off
	s_cbranch_execnz .LBB177_27
.LBB177_26:                             ;   in Loop: Header=BB177_6 Depth=1
	global_store_b32 v[22:23], v16, off
.LBB177_27:                             ;   in Loop: Header=BB177_6 Depth=1
	s_wait_xcnt 0x0
	s_or_b32 exec_lo, exec_lo, s2
	s_and_saveexec_b32 s2, s5
	s_cbranch_execz .LBB177_5
; %bb.28:                               ;   in Loop: Header=BB177_6 Depth=1
	v_mul_f32_e32 v16, s22, v19
	v_lshl_add_u64 v[18:19], v[10:11], 2, v[20:21]
	s_and_not1_b32 vcc_lo, exec_lo, s10
	s_cbranch_vccnz .LBB177_33
; %bb.29:                               ;   in Loop: Header=BB177_6 Depth=1
	global_load_b32 v20, v[18:19], off
	s_wait_loadcnt 0x0
	v_fma_f32 v20, s23, v20, v16
	global_store_b32 v[18:19], v20, off
	s_cbranch_execnz .LBB177_5
	s_branch .LBB177_34
.LBB177_30:                             ;   in Loop: Header=BB177_6 Depth=1
	s_branch .LBB177_18
.LBB177_31:                             ;   in Loop: Header=BB177_6 Depth=1
	s_branch .LBB177_22
.LBB177_32:                             ;   in Loop: Header=BB177_6 Depth=1
	s_branch .LBB177_26
.LBB177_33:                             ;   in Loop: Header=BB177_6 Depth=1
.LBB177_34:                             ;   in Loop: Header=BB177_6 Depth=1
	global_store_b32 v[18:19], v16, off
	s_branch .LBB177_5
.LBB177_35:
	s_endpgm
	.section	.rodata,"a",@progbits
	.p2align	6, 0x0
	.amdhsa_kernel _ZL29rocblas_internal_gemmt_kernelIlLi16ELi32ELi8ELc67ELc78ELc76ELb0ELb0EffPKfPfEviT_T9_T10_S3_lS5_S3_lS4_T11_S3_li
		.amdhsa_group_segment_fixed_size 2048
		.amdhsa_private_segment_fixed_size 0
		.amdhsa_kernarg_size 108
		.amdhsa_user_sgpr_count 2
		.amdhsa_user_sgpr_dispatch_ptr 0
		.amdhsa_user_sgpr_queue_ptr 0
		.amdhsa_user_sgpr_kernarg_segment_ptr 1
		.amdhsa_user_sgpr_dispatch_id 0
		.amdhsa_user_sgpr_kernarg_preload_length 0
		.amdhsa_user_sgpr_kernarg_preload_offset 0
		.amdhsa_user_sgpr_private_segment_size 0
		.amdhsa_wavefront_size32 1
		.amdhsa_uses_dynamic_stack 0
		.amdhsa_enable_private_segment 0
		.amdhsa_system_sgpr_workgroup_id_x 1
		.amdhsa_system_sgpr_workgroup_id_y 1
		.amdhsa_system_sgpr_workgroup_id_z 1
		.amdhsa_system_sgpr_workgroup_info 0
		.amdhsa_system_vgpr_workitem_id 1
		.amdhsa_next_free_vgpr 54
		.amdhsa_next_free_sgpr 27
		.amdhsa_named_barrier_count 0
		.amdhsa_reserve_vcc 1
		.amdhsa_float_round_mode_32 0
		.amdhsa_float_round_mode_16_64 0
		.amdhsa_float_denorm_mode_32 3
		.amdhsa_float_denorm_mode_16_64 3
		.amdhsa_fp16_overflow 0
		.amdhsa_memory_ordered 1
		.amdhsa_forward_progress 1
		.amdhsa_inst_pref_size 13
		.amdhsa_round_robin_scheduling 0
		.amdhsa_exception_fp_ieee_invalid_op 0
		.amdhsa_exception_fp_denorm_src 0
		.amdhsa_exception_fp_ieee_div_zero 0
		.amdhsa_exception_fp_ieee_overflow 0
		.amdhsa_exception_fp_ieee_underflow 0
		.amdhsa_exception_fp_ieee_inexact 0
		.amdhsa_exception_int_div_zero 0
	.end_amdhsa_kernel
	.section	.text._ZL29rocblas_internal_gemmt_kernelIlLi16ELi32ELi8ELc67ELc78ELc76ELb0ELb0EffPKfPfEviT_T9_T10_S3_lS5_S3_lS4_T11_S3_li,"axG",@progbits,_ZL29rocblas_internal_gemmt_kernelIlLi16ELi32ELi8ELc67ELc78ELc76ELb0ELb0EffPKfPfEviT_T9_T10_S3_lS5_S3_lS4_T11_S3_li,comdat
.Lfunc_end177:
	.size	_ZL29rocblas_internal_gemmt_kernelIlLi16ELi32ELi8ELc67ELc78ELc76ELb0ELb0EffPKfPfEviT_T9_T10_S3_lS5_S3_lS4_T11_S3_li, .Lfunc_end177-_ZL29rocblas_internal_gemmt_kernelIlLi16ELi32ELi8ELc67ELc78ELc76ELb0ELb0EffPKfPfEviT_T9_T10_S3_lS5_S3_lS4_T11_S3_li
                                        ; -- End function
	.set _ZL29rocblas_internal_gemmt_kernelIlLi16ELi32ELi8ELc67ELc78ELc76ELb0ELb0EffPKfPfEviT_T9_T10_S3_lS5_S3_lS4_T11_S3_li.num_vgpr, 54
	.set _ZL29rocblas_internal_gemmt_kernelIlLi16ELi32ELi8ELc67ELc78ELc76ELb0ELb0EffPKfPfEviT_T9_T10_S3_lS5_S3_lS4_T11_S3_li.num_agpr, 0
	.set _ZL29rocblas_internal_gemmt_kernelIlLi16ELi32ELi8ELc67ELc78ELc76ELb0ELb0EffPKfPfEviT_T9_T10_S3_lS5_S3_lS4_T11_S3_li.numbered_sgpr, 27
	.set _ZL29rocblas_internal_gemmt_kernelIlLi16ELi32ELi8ELc67ELc78ELc76ELb0ELb0EffPKfPfEviT_T9_T10_S3_lS5_S3_lS4_T11_S3_li.num_named_barrier, 0
	.set _ZL29rocblas_internal_gemmt_kernelIlLi16ELi32ELi8ELc67ELc78ELc76ELb0ELb0EffPKfPfEviT_T9_T10_S3_lS5_S3_lS4_T11_S3_li.private_seg_size, 0
	.set _ZL29rocblas_internal_gemmt_kernelIlLi16ELi32ELi8ELc67ELc78ELc76ELb0ELb0EffPKfPfEviT_T9_T10_S3_lS5_S3_lS4_T11_S3_li.uses_vcc, 1
	.set _ZL29rocblas_internal_gemmt_kernelIlLi16ELi32ELi8ELc67ELc78ELc76ELb0ELb0EffPKfPfEviT_T9_T10_S3_lS5_S3_lS4_T11_S3_li.uses_flat_scratch, 0
	.set _ZL29rocblas_internal_gemmt_kernelIlLi16ELi32ELi8ELc67ELc78ELc76ELb0ELb0EffPKfPfEviT_T9_T10_S3_lS5_S3_lS4_T11_S3_li.has_dyn_sized_stack, 0
	.set _ZL29rocblas_internal_gemmt_kernelIlLi16ELi32ELi8ELc67ELc78ELc76ELb0ELb0EffPKfPfEviT_T9_T10_S3_lS5_S3_lS4_T11_S3_li.has_recursion, 0
	.set _ZL29rocblas_internal_gemmt_kernelIlLi16ELi32ELi8ELc67ELc78ELc76ELb0ELb0EffPKfPfEviT_T9_T10_S3_lS5_S3_lS4_T11_S3_li.has_indirect_call, 0
	.section	.AMDGPU.csdata,"",@progbits
; Kernel info:
; codeLenInByte = 1604
; TotalNumSgprs: 29
; NumVgprs: 54
; ScratchSize: 0
; MemoryBound: 0
; FloatMode: 240
; IeeeMode: 1
; LDSByteSize: 2048 bytes/workgroup (compile time only)
; SGPRBlocks: 0
; VGPRBlocks: 3
; NumSGPRsForWavesPerEU: 29
; NumVGPRsForWavesPerEU: 54
; NamedBarCnt: 0
; Occupancy: 16
; WaveLimiterHint : 0
; COMPUTE_PGM_RSRC2:SCRATCH_EN: 0
; COMPUTE_PGM_RSRC2:USER_SGPR: 2
; COMPUTE_PGM_RSRC2:TRAP_HANDLER: 0
; COMPUTE_PGM_RSRC2:TGID_X_EN: 1
; COMPUTE_PGM_RSRC2:TGID_Y_EN: 1
; COMPUTE_PGM_RSRC2:TGID_Z_EN: 1
; COMPUTE_PGM_RSRC2:TIDIG_COMP_CNT: 1
	.section	.text._ZL29rocblas_internal_gemmt_kernelIlLi16ELi32ELi8ELc67ELc84ELc76ELb0ELb0EffPKfPfEviT_T9_T10_S3_lS5_S3_lS4_T11_S3_li,"axG",@progbits,_ZL29rocblas_internal_gemmt_kernelIlLi16ELi32ELi8ELc67ELc84ELc76ELb0ELb0EffPKfPfEviT_T9_T10_S3_lS5_S3_lS4_T11_S3_li,comdat
	.globl	_ZL29rocblas_internal_gemmt_kernelIlLi16ELi32ELi8ELc67ELc84ELc76ELb0ELb0EffPKfPfEviT_T9_T10_S3_lS5_S3_lS4_T11_S3_li ; -- Begin function _ZL29rocblas_internal_gemmt_kernelIlLi16ELi32ELi8ELc67ELc84ELc76ELb0ELb0EffPKfPfEviT_T9_T10_S3_lS5_S3_lS4_T11_S3_li
	.p2align	8
	.type	_ZL29rocblas_internal_gemmt_kernelIlLi16ELi32ELi8ELc67ELc84ELc76ELb0ELb0EffPKfPfEviT_T9_T10_S3_lS5_S3_lS4_T11_S3_li,@function
_ZL29rocblas_internal_gemmt_kernelIlLi16ELi32ELi8ELc67ELc84ELc76ELb0ELb0EffPKfPfEviT_T9_T10_S3_lS5_S3_lS4_T11_S3_li: ; @_ZL29rocblas_internal_gemmt_kernelIlLi16ELi32ELi8ELc67ELc84ELc76ELb0ELb0EffPKfPfEviT_T9_T10_S3_lS5_S3_lS4_T11_S3_li
; %bb.0:
	s_clause 0x1
	s_load_b32 s23, s[0:1], 0x48
	s_load_b96 s[20:22], s[0:1], 0x8
	s_wait_kmcnt 0x0
	s_cmp_neq_f32 s23, 1.0
	s_cselect_b32 s2, -1, 0
	s_delay_alu instid0(SALU_CYCLE_1)
	s_and_b32 vcc_lo, exec_lo, s2
	s_cbranch_vccnz .LBB178_2
; %bb.1:
	s_cmp_lg_u64 s[20:21], 0
	s_cselect_b32 s2, -1, 0
	s_cmp_neq_f32 s22, 0
	s_cselect_b32 s3, -1, 0
	s_delay_alu instid0(SALU_CYCLE_1)
	s_and_b32 s2, s2, s3
.LBB178_2:
	s_delay_alu instid0(SALU_CYCLE_1)
	s_and_not1_b32 vcc_lo, exec_lo, s2
	s_cbranch_vccnz .LBB178_35
; %bb.3:
	s_load_b32 s26, s[0:1], 0x68
	s_bfe_u32 s2, ttmp6, 0x40014
	s_lshr_b32 s3, ttmp7, 16
	s_add_co_i32 s2, s2, 1
	s_bfe_u32 s5, ttmp6, 0x40008
	s_mul_i32 s4, s3, s2
	s_getreg_b32 s2, hwreg(HW_REG_IB_STS2, 6, 4)
	s_add_co_i32 s5, s5, s4
	s_cmp_eq_u32 s2, 0
	s_mov_b32 s25, 0
	s_cselect_b32 s24, s3, s5
	s_wait_kmcnt 0x0
	s_cmp_ge_u32 s24, s26
	s_cbranch_scc1 .LBB178_35
; %bb.4:
	s_bfe_u32 s12, ttmp6, 0x4000c
	s_bfe_u32 s13, ttmp6, 0x40010
	v_and_b32_e32 v8, 0x3ff, v0
	v_bfe_u32 v2, v0, 10, 10
	s_add_co_i32 s12, s12, 1
	s_and_b32 s14, ttmp7, 0xffff
	s_add_co_i32 s13, s13, 1
	s_and_b32 s3, ttmp6, 15
	s_mul_i32 s12, ttmp9, s12
	s_mul_i32 s13, s14, s13
	s_bfe_u32 s15, ttmp6, 0x40004
	s_load_b256 s[4:11], s[0:1], 0x18
	v_lshl_add_u32 v4, v2, 4, v8
	s_add_co_i32 s3, s3, s12
	s_add_co_i32 s15, s15, s13
	s_cmp_eq_u32 s2, 0
	v_lshl_add_u32 v3, v2, 5, 0x400
	s_cselect_b32 s2, ttmp9, s3
	s_cselect_b32 s3, s14, s15
	s_lshl_b32 s2, s2, 5
	s_lshl_b32 s3, s3, 5
	s_delay_alu instid0(SALU_CYCLE_1)
	v_dual_add_nc_u32 v16, s3, v2 :: v_dual_bitop2_b32 v9, 31, v4 bitop3:0x40
	s_clause 0x1
	s_load_b128 s[12:15], s[0:1], 0x50
	s_load_b128 s[16:19], s[0:1], 0x38
	v_dual_lshrrev_b32 v2, 5, v4 :: v_dual_lshrrev_b32 v11, 3, v4
	v_dual_add_nc_u32 v18, 16, v16 :: v_dual_bitop2_b32 v12, s2, v9 bitop3:0x54
	v_and_b32_e32 v0, 7, v0
	v_dual_lshlrev_b32 v1, 2, v8 :: v_dual_add_nc_u32 v8, s2, v8
	s_delay_alu instid0(VALU_DEP_3) | instskip(NEXT) | instid1(VALU_DEP_3)
	v_dual_ashrrev_i32 v13, 31, v12 :: v_dual_ashrrev_i32 v19, 31, v18
	v_dual_add_nc_u32 v20, s3, v11 :: v_dual_lshlrev_b32 v10, 2, v0
	v_lshlrev_b32_e32 v9, 2, v9
	s_wait_kmcnt 0x0
	s_delay_alu instid0(VALU_DEP_3)
	v_mul_u64_e32 v[14:15], s[6:7], v[12:13]
	s_clause 0x1
	s_load_b32 s27, s[0:1], 0x0
	s_load_b64 s[6:7], s[0:1], 0x60
	s_cmp_neq_f32 s22, 0
	v_lshl_or_b32 v11, v11, 5, v10
	v_add_nc_u32_e32 v10, 16, v8
	v_lshl_or_b32 v26, v2, 7, v9
	v_ashrrev_i32_e32 v9, 31, v8
	v_ashrrev_i32_e32 v17, 31, v16
	v_mul_u64_e32 v[6:7], s[14:15], v[18:19]
	v_add_nc_u32_e32 v27, 0x400, v11
	v_ashrrev_i32_e32 v11, 31, v10
	v_cmp_le_i32_e32 vcc_lo, v16, v8
	v_mul_u64_e32 v[4:5], s[14:15], v[16:17]
	v_dual_ashrrev_i32 v21, 31, v20 :: v_dual_mov_b32 v17, 0
	s_cselect_b32 s14, -1, 0
	s_cmp_neq_f32 s23, 0
	v_cmp_gt_i64_e64 s28, s[20:21], 0
	s_wait_kmcnt 0x0
	v_cmp_gt_i32_e64 s2, s27, v8
	v_cmp_gt_i32_e64 s0, s27, v12
	v_lshl_add_u64 v[12:13], v[20:21], 2, s[10:11]
	s_cselect_b32 s10, -1, 0
	v_cmp_gt_i32_e64 s3, s27, v10
	s_and_b32 s11, vcc_lo, s2
	v_cmp_le_i32_e32 vcc_lo, v16, v10
	v_cmp_gt_i32_e64 s1, s27, v20
	s_and_b32 s14, s14, s28
	s_and_b32 s15, vcc_lo, s3
	v_lshl_add_u64 v[14:15], v[14:15], 2, s[4:5]
	v_cmp_le_i32_e64 s4, v18, v8
	v_cmp_le_i32_e64 s5, v18, v10
	s_and_b32 s4, s4, s2
	s_and_b32 s5, s5, s3
	s_branch .LBB178_6
.LBB178_5:                              ;   in Loop: Header=BB178_6 Depth=1
	s_wait_xcnt 0x0
	s_or_b32 exec_lo, exec_lo, s2
	s_add_co_i32 s24, s24, 0x10000
	s_delay_alu instid0(SALU_CYCLE_1)
	s_cmp_lt_u32 s24, s26
	s_cbranch_scc0 .LBB178_35
.LBB178_6:                              ; =>This Loop Header: Depth=1
                                        ;     Child Loop BB178_9 Depth 2
	v_dual_mov_b32 v25, v17 :: v_dual_mov_b32 v24, v17
	v_dual_mov_b32 v19, v17 :: v_dual_mov_b32 v18, v17
	s_and_not1_b32 vcc_lo, exec_lo, s14
	s_cbranch_vccnz .LBB178_15
; %bb.7:                                ;   in Loop: Header=BB178_6 Depth=1
	v_mov_b32_e32 v18, 0
	s_mul_u64 s[2:3], s[8:9], s[24:25]
	s_mul_u64 s[28:29], s[18:19], s[24:25]
	v_lshl_add_u64 v[20:21], s[2:3], 2, v[14:15]
	v_lshl_add_u64 v[22:23], s[28:29], 2, v[12:13]
	v_dual_mov_b32 v19, v18 :: v_dual_mov_b32 v24, v18
	v_mov_b32_e32 v25, v18
	s_mov_b64 s[2:3], 0
	s_branch .LBB178_9
.LBB178_8:                              ;   in Loop: Header=BB178_9 Depth=2
	s_wait_xcnt 0x0
	s_or_b32 exec_lo, exec_lo, s27
	s_wait_loadcnt 0x0
	ds_store_b32 v27, v29
	s_wait_dscnt 0x0
	s_barrier_signal -1
	s_barrier_wait -1
	ds_load_b128 v[28:31], v3
	ds_load_2addr_b32 v[44:45], v1 offset1:16
	ds_load_b128 v[32:35], v3 offset:512
	ds_load_2addr_b32 v[46:47], v1 offset0:32 offset1:48
	ds_load_2addr_b32 v[48:49], v1 offset0:64 offset1:80
	;; [unrolled: 1-line block ×3, first 2 shown]
	ds_load_b128 v[36:39], v3 offset:16
	ds_load_2addr_b32 v[52:53], v1 offset0:128 offset1:144
	ds_load_b128 v[40:43], v3 offset:528
	s_add_nc_u64 s[2:3], s[2:3], 8
	s_delay_alu instid0(SALU_CYCLE_1)
	v_cmp_gt_i64_e64 s27, s[20:21], s[2:3]
	s_and_b32 vcc_lo, exec_lo, s27
	s_wait_dscnt 0x8
	v_mov_b32_e32 v16, v31
	s_wait_dscnt 0x7
	v_pk_fma_f32 v[24:25], v[44:45], v[28:29], v[24:25] op_sel_hi:[1,0,1]
	s_wait_dscnt 0x6
	v_pk_fma_f32 v[18:19], v[44:45], v[32:33], v[18:19] op_sel_hi:[1,0,1]
	ds_load_2addr_b32 v[44:45], v1 offset0:160 offset1:176
	s_wait_dscnt 0x6
	v_pk_fma_f32 v[24:25], v[46:47], v[28:29], v[24:25] op_sel:[0,1,0]
	v_pk_fma_f32 v[18:19], v[46:47], v[32:33], v[18:19] op_sel:[0,1,0]
	ds_load_2addr_b32 v[28:29], v1 offset0:192 offset1:208
	v_mov_b32_e32 v32, v35
	s_wait_dscnt 0x6
	v_pk_fma_f32 v[24:25], v[48:49], v[30:31], v[24:25] op_sel_hi:[1,0,1]
	v_pk_fma_f32 v[18:19], v[48:49], v[34:35], v[18:19] op_sel_hi:[1,0,1]
	ds_load_2addr_b32 v[30:31], v1 offset0:224 offset1:240
	s_wait_dscnt 0x0
	s_barrier_signal -1
	v_pk_fma_f32 v[24:25], v[50:51], v[16:17], v[24:25] op_sel_hi:[1,0,1]
	v_pk_fma_f32 v[18:19], v[50:51], v[32:33], v[18:19] op_sel_hi:[1,0,1]
	v_dual_mov_b32 v16, v39 :: v_dual_mov_b32 v32, v43
	s_barrier_wait -1
	s_delay_alu instid0(VALU_DEP_3) | instskip(NEXT) | instid1(VALU_DEP_3)
	v_pk_fma_f32 v[24:25], v[52:53], v[36:37], v[24:25] op_sel_hi:[1,0,1]
	v_pk_fma_f32 v[18:19], v[52:53], v[40:41], v[18:19] op_sel_hi:[1,0,1]
	s_delay_alu instid0(VALU_DEP_2) | instskip(NEXT) | instid1(VALU_DEP_2)
	v_pk_fma_f32 v[24:25], v[44:45], v[36:37], v[24:25] op_sel:[0,1,0]
	v_pk_fma_f32 v[18:19], v[44:45], v[40:41], v[18:19] op_sel:[0,1,0]
	s_delay_alu instid0(VALU_DEP_2) | instskip(NEXT) | instid1(VALU_DEP_2)
	v_pk_fma_f32 v[24:25], v[28:29], v[38:39], v[24:25] op_sel_hi:[1,0,1]
	v_pk_fma_f32 v[18:19], v[28:29], v[42:43], v[18:19] op_sel_hi:[1,0,1]
	s_delay_alu instid0(VALU_DEP_2) | instskip(NEXT) | instid1(VALU_DEP_2)
	v_pk_fma_f32 v[24:25], v[30:31], v[16:17], v[24:25] op_sel_hi:[1,0,1]
	v_pk_fma_f32 v[18:19], v[30:31], v[32:33], v[18:19] op_sel_hi:[1,0,1]
	s_cbranch_vccz .LBB178_15
.LBB178_9:                              ;   Parent Loop BB178_6 Depth=1
                                        ; =>  This Inner Loop Header: Depth=2
	v_mov_b32_e32 v28, 0
	s_and_saveexec_b32 s27, s0
	s_cbranch_execz .LBB178_13
; %bb.10:                               ;   in Loop: Header=BB178_9 Depth=2
	v_dual_add_nc_u32 v16, s2, v2 :: v_dual_mov_b32 v28, 0
	s_mov_b32 s28, exec_lo
	s_delay_alu instid0(VALU_DEP_1)
	v_cmpx_gt_u64_e64 s[20:21], v[16:17]
	s_cbranch_execz .LBB178_12
; %bb.11:                               ;   in Loop: Header=BB178_9 Depth=2
	v_lshl_add_u64 v[28:29], v[16:17], 2, v[20:21]
	global_load_b32 v28, v[28:29], off
.LBB178_12:                             ;   in Loop: Header=BB178_9 Depth=2
	s_wait_xcnt 0x0
	s_or_b32 exec_lo, exec_lo, s28
.LBB178_13:                             ;   in Loop: Header=BB178_9 Depth=2
	s_delay_alu instid0(SALU_CYCLE_1)
	s_or_b32 exec_lo, exec_lo, s27
	v_dual_mov_b32 v29, 0 :: v_dual_add_nc_u32 v16, s2, v0
	s_wait_loadcnt 0x0
	ds_store_b32 v26, v28
	v_cmp_gt_u64_e32 vcc_lo, s[20:21], v[16:17]
	s_and_b32 s28, vcc_lo, s1
	s_delay_alu instid0(SALU_CYCLE_1)
	s_and_saveexec_b32 s27, s28
	s_cbranch_execz .LBB178_8
; %bb.14:                               ;   in Loop: Header=BB178_9 Depth=2
	v_mul_u64_e32 v[28:29], s[16:17], v[16:17]
	s_delay_alu instid0(VALU_DEP_1)
	v_lshl_add_u64 v[28:29], v[28:29], 2, v[22:23]
	global_load_b32 v29, v[28:29], off
	s_branch .LBB178_8
.LBB178_15:                             ;   in Loop: Header=BB178_6 Depth=1
	s_mul_u64 s[2:3], s[6:7], s[24:25]
	s_delay_alu instid0(SALU_CYCLE_1) | instskip(NEXT) | instid1(SALU_CYCLE_1)
	s_lshl_b64 s[2:3], s[2:3], 2
	s_add_nc_u64 s[2:3], s[12:13], s[2:3]
	s_delay_alu instid0(SALU_CYCLE_1)
	v_lshl_add_u64 v[20:21], v[4:5], 2, s[2:3]
	s_and_saveexec_b32 s27, s11
	s_cbranch_execz .LBB178_19
; %bb.16:                               ;   in Loop: Header=BB178_6 Depth=1
	v_mul_f32_e32 v16, s22, v24
	s_delay_alu instid0(VALU_DEP_2)
	v_lshl_add_u64 v[22:23], v[8:9], 2, v[20:21]
	s_and_b32 vcc_lo, exec_lo, s10
	s_cbranch_vccz .LBB178_30
; %bb.17:                               ;   in Loop: Header=BB178_6 Depth=1
	global_load_b32 v24, v[22:23], off
	s_wait_loadcnt 0x0
	v_fma_f32 v24, s23, v24, v16
	global_store_b32 v[22:23], v24, off
	s_cbranch_execnz .LBB178_19
.LBB178_18:                             ;   in Loop: Header=BB178_6 Depth=1
	global_store_b32 v[22:23], v16, off
.LBB178_19:                             ;   in Loop: Header=BB178_6 Depth=1
	s_wait_xcnt 0x0
	s_or_b32 exec_lo, exec_lo, s27
	s_and_saveexec_b32 s27, s15
	s_cbranch_execz .LBB178_23
; %bb.20:                               ;   in Loop: Header=BB178_6 Depth=1
	v_mul_f32_e32 v16, s22, v25
	v_lshl_add_u64 v[20:21], v[10:11], 2, v[20:21]
	s_and_not1_b32 vcc_lo, exec_lo, s10
	s_cbranch_vccnz .LBB178_31
; %bb.21:                               ;   in Loop: Header=BB178_6 Depth=1
	global_load_b32 v22, v[20:21], off
	s_wait_loadcnt 0x0
	v_fma_f32 v22, s23, v22, v16
	global_store_b32 v[20:21], v22, off
	s_cbranch_execnz .LBB178_23
.LBB178_22:                             ;   in Loop: Header=BB178_6 Depth=1
	global_store_b32 v[20:21], v16, off
.LBB178_23:                             ;   in Loop: Header=BB178_6 Depth=1
	s_wait_xcnt 0x0
	s_or_b32 exec_lo, exec_lo, s27
	v_lshl_add_u64 v[20:21], v[6:7], 2, s[2:3]
	s_and_saveexec_b32 s2, s4
	s_cbranch_execz .LBB178_27
; %bb.24:                               ;   in Loop: Header=BB178_6 Depth=1
	v_mul_f32_e32 v16, s22, v18
	s_delay_alu instid0(VALU_DEP_2)
	v_lshl_add_u64 v[22:23], v[8:9], 2, v[20:21]
	s_and_not1_b32 vcc_lo, exec_lo, s10
	s_cbranch_vccnz .LBB178_32
; %bb.25:                               ;   in Loop: Header=BB178_6 Depth=1
	global_load_b32 v18, v[22:23], off
	s_wait_loadcnt 0x0
	v_fma_f32 v18, s23, v18, v16
	global_store_b32 v[22:23], v18, off
	s_cbranch_execnz .LBB178_27
.LBB178_26:                             ;   in Loop: Header=BB178_6 Depth=1
	global_store_b32 v[22:23], v16, off
.LBB178_27:                             ;   in Loop: Header=BB178_6 Depth=1
	s_wait_xcnt 0x0
	s_or_b32 exec_lo, exec_lo, s2
	s_and_saveexec_b32 s2, s5
	s_cbranch_execz .LBB178_5
; %bb.28:                               ;   in Loop: Header=BB178_6 Depth=1
	v_mul_f32_e32 v16, s22, v19
	v_lshl_add_u64 v[18:19], v[10:11], 2, v[20:21]
	s_and_not1_b32 vcc_lo, exec_lo, s10
	s_cbranch_vccnz .LBB178_33
; %bb.29:                               ;   in Loop: Header=BB178_6 Depth=1
	global_load_b32 v20, v[18:19], off
	s_wait_loadcnt 0x0
	v_fma_f32 v20, s23, v20, v16
	global_store_b32 v[18:19], v20, off
	s_cbranch_execnz .LBB178_5
	s_branch .LBB178_34
.LBB178_30:                             ;   in Loop: Header=BB178_6 Depth=1
	s_branch .LBB178_18
.LBB178_31:                             ;   in Loop: Header=BB178_6 Depth=1
	s_branch .LBB178_22
.LBB178_32:                             ;   in Loop: Header=BB178_6 Depth=1
	s_branch .LBB178_26
.LBB178_33:                             ;   in Loop: Header=BB178_6 Depth=1
.LBB178_34:                             ;   in Loop: Header=BB178_6 Depth=1
	global_store_b32 v[18:19], v16, off
	s_branch .LBB178_5
.LBB178_35:
	s_endpgm
	.section	.rodata,"a",@progbits
	.p2align	6, 0x0
	.amdhsa_kernel _ZL29rocblas_internal_gemmt_kernelIlLi16ELi32ELi8ELc67ELc84ELc76ELb0ELb0EffPKfPfEviT_T9_T10_S3_lS5_S3_lS4_T11_S3_li
		.amdhsa_group_segment_fixed_size 2048
		.amdhsa_private_segment_fixed_size 0
		.amdhsa_kernarg_size 108
		.amdhsa_user_sgpr_count 2
		.amdhsa_user_sgpr_dispatch_ptr 0
		.amdhsa_user_sgpr_queue_ptr 0
		.amdhsa_user_sgpr_kernarg_segment_ptr 1
		.amdhsa_user_sgpr_dispatch_id 0
		.amdhsa_user_sgpr_kernarg_preload_length 0
		.amdhsa_user_sgpr_kernarg_preload_offset 0
		.amdhsa_user_sgpr_private_segment_size 0
		.amdhsa_wavefront_size32 1
		.amdhsa_uses_dynamic_stack 0
		.amdhsa_enable_private_segment 0
		.amdhsa_system_sgpr_workgroup_id_x 1
		.amdhsa_system_sgpr_workgroup_id_y 1
		.amdhsa_system_sgpr_workgroup_id_z 1
		.amdhsa_system_sgpr_workgroup_info 0
		.amdhsa_system_vgpr_workitem_id 1
		.amdhsa_next_free_vgpr 54
		.amdhsa_next_free_sgpr 30
		.amdhsa_named_barrier_count 0
		.amdhsa_reserve_vcc 1
		.amdhsa_float_round_mode_32 0
		.amdhsa_float_round_mode_16_64 0
		.amdhsa_float_denorm_mode_32 3
		.amdhsa_float_denorm_mode_16_64 3
		.amdhsa_fp16_overflow 0
		.amdhsa_memory_ordered 1
		.amdhsa_forward_progress 1
		.amdhsa_inst_pref_size 13
		.amdhsa_round_robin_scheduling 0
		.amdhsa_exception_fp_ieee_invalid_op 0
		.amdhsa_exception_fp_denorm_src 0
		.amdhsa_exception_fp_ieee_div_zero 0
		.amdhsa_exception_fp_ieee_overflow 0
		.amdhsa_exception_fp_ieee_underflow 0
		.amdhsa_exception_fp_ieee_inexact 0
		.amdhsa_exception_int_div_zero 0
	.end_amdhsa_kernel
	.section	.text._ZL29rocblas_internal_gemmt_kernelIlLi16ELi32ELi8ELc67ELc84ELc76ELb0ELb0EffPKfPfEviT_T9_T10_S3_lS5_S3_lS4_T11_S3_li,"axG",@progbits,_ZL29rocblas_internal_gemmt_kernelIlLi16ELi32ELi8ELc67ELc84ELc76ELb0ELb0EffPKfPfEviT_T9_T10_S3_lS5_S3_lS4_T11_S3_li,comdat
.Lfunc_end178:
	.size	_ZL29rocblas_internal_gemmt_kernelIlLi16ELi32ELi8ELc67ELc84ELc76ELb0ELb0EffPKfPfEviT_T9_T10_S3_lS5_S3_lS4_T11_S3_li, .Lfunc_end178-_ZL29rocblas_internal_gemmt_kernelIlLi16ELi32ELi8ELc67ELc84ELc76ELb0ELb0EffPKfPfEviT_T9_T10_S3_lS5_S3_lS4_T11_S3_li
                                        ; -- End function
	.set _ZL29rocblas_internal_gemmt_kernelIlLi16ELi32ELi8ELc67ELc84ELc76ELb0ELb0EffPKfPfEviT_T9_T10_S3_lS5_S3_lS4_T11_S3_li.num_vgpr, 54
	.set _ZL29rocblas_internal_gemmt_kernelIlLi16ELi32ELi8ELc67ELc84ELc76ELb0ELb0EffPKfPfEviT_T9_T10_S3_lS5_S3_lS4_T11_S3_li.num_agpr, 0
	.set _ZL29rocblas_internal_gemmt_kernelIlLi16ELi32ELi8ELc67ELc84ELc76ELb0ELb0EffPKfPfEviT_T9_T10_S3_lS5_S3_lS4_T11_S3_li.numbered_sgpr, 30
	.set _ZL29rocblas_internal_gemmt_kernelIlLi16ELi32ELi8ELc67ELc84ELc76ELb0ELb0EffPKfPfEviT_T9_T10_S3_lS5_S3_lS4_T11_S3_li.num_named_barrier, 0
	.set _ZL29rocblas_internal_gemmt_kernelIlLi16ELi32ELi8ELc67ELc84ELc76ELb0ELb0EffPKfPfEviT_T9_T10_S3_lS5_S3_lS4_T11_S3_li.private_seg_size, 0
	.set _ZL29rocblas_internal_gemmt_kernelIlLi16ELi32ELi8ELc67ELc84ELc76ELb0ELb0EffPKfPfEviT_T9_T10_S3_lS5_S3_lS4_T11_S3_li.uses_vcc, 1
	.set _ZL29rocblas_internal_gemmt_kernelIlLi16ELi32ELi8ELc67ELc84ELc76ELb0ELb0EffPKfPfEviT_T9_T10_S3_lS5_S3_lS4_T11_S3_li.uses_flat_scratch, 0
	.set _ZL29rocblas_internal_gemmt_kernelIlLi16ELi32ELi8ELc67ELc84ELc76ELb0ELb0EffPKfPfEviT_T9_T10_S3_lS5_S3_lS4_T11_S3_li.has_dyn_sized_stack, 0
	.set _ZL29rocblas_internal_gemmt_kernelIlLi16ELi32ELi8ELc67ELc84ELc76ELb0ELb0EffPKfPfEviT_T9_T10_S3_lS5_S3_lS4_T11_S3_li.has_recursion, 0
	.set _ZL29rocblas_internal_gemmt_kernelIlLi16ELi32ELi8ELc67ELc84ELc76ELb0ELb0EffPKfPfEviT_T9_T10_S3_lS5_S3_lS4_T11_S3_li.has_indirect_call, 0
	.section	.AMDGPU.csdata,"",@progbits
; Kernel info:
; codeLenInByte = 1608
; TotalNumSgprs: 32
; NumVgprs: 54
; ScratchSize: 0
; MemoryBound: 0
; FloatMode: 240
; IeeeMode: 1
; LDSByteSize: 2048 bytes/workgroup (compile time only)
; SGPRBlocks: 0
; VGPRBlocks: 3
; NumSGPRsForWavesPerEU: 32
; NumVGPRsForWavesPerEU: 54
; NamedBarCnt: 0
; Occupancy: 16
; WaveLimiterHint : 0
; COMPUTE_PGM_RSRC2:SCRATCH_EN: 0
; COMPUTE_PGM_RSRC2:USER_SGPR: 2
; COMPUTE_PGM_RSRC2:TRAP_HANDLER: 0
; COMPUTE_PGM_RSRC2:TGID_X_EN: 1
; COMPUTE_PGM_RSRC2:TGID_Y_EN: 1
; COMPUTE_PGM_RSRC2:TGID_Z_EN: 1
; COMPUTE_PGM_RSRC2:TIDIG_COMP_CNT: 1
	.section	.text._ZL29rocblas_internal_gemmt_kernelIlLi16ELi32ELi8ELc67ELc67ELc76ELb0ELb0EffPKfPfEviT_T9_T10_S3_lS5_S3_lS4_T11_S3_li,"axG",@progbits,_ZL29rocblas_internal_gemmt_kernelIlLi16ELi32ELi8ELc67ELc67ELc76ELb0ELb0EffPKfPfEviT_T9_T10_S3_lS5_S3_lS4_T11_S3_li,comdat
	.globl	_ZL29rocblas_internal_gemmt_kernelIlLi16ELi32ELi8ELc67ELc67ELc76ELb0ELb0EffPKfPfEviT_T9_T10_S3_lS5_S3_lS4_T11_S3_li ; -- Begin function _ZL29rocblas_internal_gemmt_kernelIlLi16ELi32ELi8ELc67ELc67ELc76ELb0ELb0EffPKfPfEviT_T9_T10_S3_lS5_S3_lS4_T11_S3_li
	.p2align	8
	.type	_ZL29rocblas_internal_gemmt_kernelIlLi16ELi32ELi8ELc67ELc67ELc76ELb0ELb0EffPKfPfEviT_T9_T10_S3_lS5_S3_lS4_T11_S3_li,@function
_ZL29rocblas_internal_gemmt_kernelIlLi16ELi32ELi8ELc67ELc67ELc76ELb0ELb0EffPKfPfEviT_T9_T10_S3_lS5_S3_lS4_T11_S3_li: ; @_ZL29rocblas_internal_gemmt_kernelIlLi16ELi32ELi8ELc67ELc67ELc76ELb0ELb0EffPKfPfEviT_T9_T10_S3_lS5_S3_lS4_T11_S3_li
; %bb.0:
	s_clause 0x1
	s_load_b32 s23, s[0:1], 0x48
	s_load_b96 s[20:22], s[0:1], 0x8
	s_wait_kmcnt 0x0
	s_cmp_neq_f32 s23, 1.0
	s_cselect_b32 s2, -1, 0
	s_delay_alu instid0(SALU_CYCLE_1)
	s_and_b32 vcc_lo, exec_lo, s2
	s_cbranch_vccnz .LBB179_2
; %bb.1:
	s_cmp_lg_u64 s[20:21], 0
	s_cselect_b32 s2, -1, 0
	s_cmp_neq_f32 s22, 0
	s_cselect_b32 s3, -1, 0
	s_delay_alu instid0(SALU_CYCLE_1)
	s_and_b32 s2, s2, s3
.LBB179_2:
	s_delay_alu instid0(SALU_CYCLE_1)
	s_and_not1_b32 vcc_lo, exec_lo, s2
	s_cbranch_vccnz .LBB179_35
; %bb.3:
	s_load_b32 s26, s[0:1], 0x68
	s_bfe_u32 s2, ttmp6, 0x40014
	s_lshr_b32 s3, ttmp7, 16
	s_add_co_i32 s2, s2, 1
	s_bfe_u32 s5, ttmp6, 0x40008
	s_mul_i32 s4, s3, s2
	s_getreg_b32 s2, hwreg(HW_REG_IB_STS2, 6, 4)
	s_add_co_i32 s5, s5, s4
	s_cmp_eq_u32 s2, 0
	s_mov_b32 s25, 0
	s_cselect_b32 s24, s3, s5
	s_wait_kmcnt 0x0
	s_cmp_ge_u32 s24, s26
	s_cbranch_scc1 .LBB179_35
; %bb.4:
	s_bfe_u32 s12, ttmp6, 0x4000c
	s_bfe_u32 s13, ttmp6, 0x40010
	v_and_b32_e32 v8, 0x3ff, v0
	v_bfe_u32 v2, v0, 10, 10
	s_add_co_i32 s12, s12, 1
	s_and_b32 s14, ttmp7, 0xffff
	s_add_co_i32 s13, s13, 1
	s_and_b32 s3, ttmp6, 15
	s_mul_i32 s12, ttmp9, s12
	s_mul_i32 s13, s14, s13
	s_bfe_u32 s15, ttmp6, 0x40004
	s_load_b256 s[4:11], s[0:1], 0x18
	v_lshl_add_u32 v4, v2, 4, v8
	s_add_co_i32 s3, s3, s12
	s_add_co_i32 s15, s15, s13
	s_cmp_eq_u32 s2, 0
	v_lshl_add_u32 v3, v2, 5, 0x400
	s_cselect_b32 s2, ttmp9, s3
	s_cselect_b32 s3, s14, s15
	s_lshl_b32 s2, s2, 5
	s_lshl_b32 s3, s3, 5
	s_delay_alu instid0(SALU_CYCLE_1)
	v_dual_add_nc_u32 v16, s3, v2 :: v_dual_bitop2_b32 v9, 31, v4 bitop3:0x40
	s_clause 0x1
	s_load_b128 s[12:15], s[0:1], 0x50
	s_load_b128 s[16:19], s[0:1], 0x38
	v_dual_lshrrev_b32 v2, 5, v4 :: v_dual_lshrrev_b32 v11, 3, v4
	v_dual_add_nc_u32 v18, 16, v16 :: v_dual_bitop2_b32 v12, s2, v9 bitop3:0x54
	v_and_b32_e32 v0, 7, v0
	v_dual_lshlrev_b32 v1, 2, v8 :: v_dual_add_nc_u32 v8, s2, v8
	s_delay_alu instid0(VALU_DEP_3) | instskip(NEXT) | instid1(VALU_DEP_3)
	v_dual_ashrrev_i32 v13, 31, v12 :: v_dual_ashrrev_i32 v19, 31, v18
	v_dual_add_nc_u32 v20, s3, v11 :: v_dual_lshlrev_b32 v10, 2, v0
	v_lshlrev_b32_e32 v9, 2, v9
	s_wait_kmcnt 0x0
	s_delay_alu instid0(VALU_DEP_3)
	v_mul_u64_e32 v[14:15], s[6:7], v[12:13]
	s_clause 0x1
	s_load_b32 s27, s[0:1], 0x0
	s_load_b64 s[6:7], s[0:1], 0x60
	s_cmp_neq_f32 s22, 0
	v_lshl_or_b32 v11, v11, 5, v10
	v_add_nc_u32_e32 v10, 16, v8
	v_lshl_or_b32 v26, v2, 7, v9
	v_ashrrev_i32_e32 v9, 31, v8
	v_ashrrev_i32_e32 v17, 31, v16
	v_mul_u64_e32 v[6:7], s[14:15], v[18:19]
	v_add_nc_u32_e32 v27, 0x400, v11
	v_ashrrev_i32_e32 v11, 31, v10
	v_cmp_le_i32_e32 vcc_lo, v16, v8
	v_mul_u64_e32 v[4:5], s[14:15], v[16:17]
	v_dual_ashrrev_i32 v21, 31, v20 :: v_dual_mov_b32 v17, 0
	s_cselect_b32 s14, -1, 0
	s_cmp_neq_f32 s23, 0
	v_cmp_gt_i64_e64 s28, s[20:21], 0
	s_wait_kmcnt 0x0
	v_cmp_gt_i32_e64 s2, s27, v8
	v_cmp_gt_i32_e64 s0, s27, v12
	v_lshl_add_u64 v[12:13], v[20:21], 2, s[10:11]
	s_cselect_b32 s10, -1, 0
	v_cmp_gt_i32_e64 s3, s27, v10
	s_and_b32 s11, vcc_lo, s2
	v_cmp_le_i32_e32 vcc_lo, v16, v10
	v_cmp_gt_i32_e64 s1, s27, v20
	s_and_b32 s14, s14, s28
	s_and_b32 s15, vcc_lo, s3
	v_lshl_add_u64 v[14:15], v[14:15], 2, s[4:5]
	v_cmp_le_i32_e64 s4, v18, v8
	v_cmp_le_i32_e64 s5, v18, v10
	s_and_b32 s4, s4, s2
	s_and_b32 s5, s5, s3
	s_branch .LBB179_6
.LBB179_5:                              ;   in Loop: Header=BB179_6 Depth=1
	s_wait_xcnt 0x0
	s_or_b32 exec_lo, exec_lo, s2
	s_add_co_i32 s24, s24, 0x10000
	s_delay_alu instid0(SALU_CYCLE_1)
	s_cmp_lt_u32 s24, s26
	s_cbranch_scc0 .LBB179_35
.LBB179_6:                              ; =>This Loop Header: Depth=1
                                        ;     Child Loop BB179_9 Depth 2
	v_dual_mov_b32 v25, v17 :: v_dual_mov_b32 v24, v17
	v_dual_mov_b32 v19, v17 :: v_dual_mov_b32 v18, v17
	s_and_not1_b32 vcc_lo, exec_lo, s14
	s_cbranch_vccnz .LBB179_15
; %bb.7:                                ;   in Loop: Header=BB179_6 Depth=1
	v_mov_b32_e32 v18, 0
	s_mul_u64 s[2:3], s[8:9], s[24:25]
	s_mul_u64 s[28:29], s[18:19], s[24:25]
	v_lshl_add_u64 v[20:21], s[2:3], 2, v[14:15]
	v_lshl_add_u64 v[22:23], s[28:29], 2, v[12:13]
	v_dual_mov_b32 v19, v18 :: v_dual_mov_b32 v24, v18
	v_mov_b32_e32 v25, v18
	s_mov_b64 s[2:3], 0
	s_branch .LBB179_9
.LBB179_8:                              ;   in Loop: Header=BB179_9 Depth=2
	s_wait_xcnt 0x0
	s_or_b32 exec_lo, exec_lo, s27
	s_wait_loadcnt 0x0
	ds_store_b32 v27, v29
	s_wait_dscnt 0x0
	s_barrier_signal -1
	s_barrier_wait -1
	ds_load_b128 v[28:31], v3
	ds_load_2addr_b32 v[44:45], v1 offset1:16
	ds_load_b128 v[32:35], v3 offset:512
	ds_load_2addr_b32 v[46:47], v1 offset0:32 offset1:48
	ds_load_2addr_b32 v[48:49], v1 offset0:64 offset1:80
	;; [unrolled: 1-line block ×3, first 2 shown]
	ds_load_b128 v[36:39], v3 offset:16
	ds_load_2addr_b32 v[52:53], v1 offset0:128 offset1:144
	ds_load_b128 v[40:43], v3 offset:528
	s_add_nc_u64 s[2:3], s[2:3], 8
	s_delay_alu instid0(SALU_CYCLE_1)
	v_cmp_gt_i64_e64 s27, s[20:21], s[2:3]
	s_and_b32 vcc_lo, exec_lo, s27
	s_wait_dscnt 0x8
	v_mov_b32_e32 v16, v31
	s_wait_dscnt 0x7
	v_pk_fma_f32 v[24:25], v[44:45], v[28:29], v[24:25] op_sel_hi:[1,0,1]
	s_wait_dscnt 0x6
	v_pk_fma_f32 v[18:19], v[44:45], v[32:33], v[18:19] op_sel_hi:[1,0,1]
	ds_load_2addr_b32 v[44:45], v1 offset0:160 offset1:176
	s_wait_dscnt 0x6
	v_pk_fma_f32 v[24:25], v[46:47], v[28:29], v[24:25] op_sel:[0,1,0]
	v_pk_fma_f32 v[18:19], v[46:47], v[32:33], v[18:19] op_sel:[0,1,0]
	ds_load_2addr_b32 v[28:29], v1 offset0:192 offset1:208
	v_mov_b32_e32 v32, v35
	s_wait_dscnt 0x6
	v_pk_fma_f32 v[24:25], v[48:49], v[30:31], v[24:25] op_sel_hi:[1,0,1]
	v_pk_fma_f32 v[18:19], v[48:49], v[34:35], v[18:19] op_sel_hi:[1,0,1]
	ds_load_2addr_b32 v[30:31], v1 offset0:224 offset1:240
	s_wait_dscnt 0x0
	s_barrier_signal -1
	v_pk_fma_f32 v[24:25], v[50:51], v[16:17], v[24:25] op_sel_hi:[1,0,1]
	v_pk_fma_f32 v[18:19], v[50:51], v[32:33], v[18:19] op_sel_hi:[1,0,1]
	v_dual_mov_b32 v16, v39 :: v_dual_mov_b32 v32, v43
	s_barrier_wait -1
	s_delay_alu instid0(VALU_DEP_3) | instskip(NEXT) | instid1(VALU_DEP_3)
	v_pk_fma_f32 v[24:25], v[52:53], v[36:37], v[24:25] op_sel_hi:[1,0,1]
	v_pk_fma_f32 v[18:19], v[52:53], v[40:41], v[18:19] op_sel_hi:[1,0,1]
	s_delay_alu instid0(VALU_DEP_2) | instskip(NEXT) | instid1(VALU_DEP_2)
	v_pk_fma_f32 v[24:25], v[44:45], v[36:37], v[24:25] op_sel:[0,1,0]
	v_pk_fma_f32 v[18:19], v[44:45], v[40:41], v[18:19] op_sel:[0,1,0]
	s_delay_alu instid0(VALU_DEP_2) | instskip(NEXT) | instid1(VALU_DEP_2)
	v_pk_fma_f32 v[24:25], v[28:29], v[38:39], v[24:25] op_sel_hi:[1,0,1]
	v_pk_fma_f32 v[18:19], v[28:29], v[42:43], v[18:19] op_sel_hi:[1,0,1]
	s_delay_alu instid0(VALU_DEP_2) | instskip(NEXT) | instid1(VALU_DEP_2)
	v_pk_fma_f32 v[24:25], v[30:31], v[16:17], v[24:25] op_sel_hi:[1,0,1]
	v_pk_fma_f32 v[18:19], v[30:31], v[32:33], v[18:19] op_sel_hi:[1,0,1]
	s_cbranch_vccz .LBB179_15
.LBB179_9:                              ;   Parent Loop BB179_6 Depth=1
                                        ; =>  This Inner Loop Header: Depth=2
	v_mov_b32_e32 v28, 0
	s_and_saveexec_b32 s27, s0
	s_cbranch_execz .LBB179_13
; %bb.10:                               ;   in Loop: Header=BB179_9 Depth=2
	v_dual_add_nc_u32 v16, s2, v2 :: v_dual_mov_b32 v28, 0
	s_mov_b32 s28, exec_lo
	s_delay_alu instid0(VALU_DEP_1)
	v_cmpx_gt_u64_e64 s[20:21], v[16:17]
	s_cbranch_execz .LBB179_12
; %bb.11:                               ;   in Loop: Header=BB179_9 Depth=2
	v_lshl_add_u64 v[28:29], v[16:17], 2, v[20:21]
	global_load_b32 v28, v[28:29], off
.LBB179_12:                             ;   in Loop: Header=BB179_9 Depth=2
	s_wait_xcnt 0x0
	s_or_b32 exec_lo, exec_lo, s28
.LBB179_13:                             ;   in Loop: Header=BB179_9 Depth=2
	s_delay_alu instid0(SALU_CYCLE_1)
	s_or_b32 exec_lo, exec_lo, s27
	v_dual_mov_b32 v29, 0 :: v_dual_add_nc_u32 v16, s2, v0
	s_wait_loadcnt 0x0
	ds_store_b32 v26, v28
	v_cmp_gt_u64_e32 vcc_lo, s[20:21], v[16:17]
	s_and_b32 s28, vcc_lo, s1
	s_delay_alu instid0(SALU_CYCLE_1)
	s_and_saveexec_b32 s27, s28
	s_cbranch_execz .LBB179_8
; %bb.14:                               ;   in Loop: Header=BB179_9 Depth=2
	v_mul_u64_e32 v[28:29], s[16:17], v[16:17]
	s_delay_alu instid0(VALU_DEP_1)
	v_lshl_add_u64 v[28:29], v[28:29], 2, v[22:23]
	global_load_b32 v29, v[28:29], off
	s_branch .LBB179_8
.LBB179_15:                             ;   in Loop: Header=BB179_6 Depth=1
	s_mul_u64 s[2:3], s[6:7], s[24:25]
	s_delay_alu instid0(SALU_CYCLE_1) | instskip(NEXT) | instid1(SALU_CYCLE_1)
	s_lshl_b64 s[2:3], s[2:3], 2
	s_add_nc_u64 s[2:3], s[12:13], s[2:3]
	s_delay_alu instid0(SALU_CYCLE_1)
	v_lshl_add_u64 v[20:21], v[4:5], 2, s[2:3]
	s_and_saveexec_b32 s27, s11
	s_cbranch_execz .LBB179_19
; %bb.16:                               ;   in Loop: Header=BB179_6 Depth=1
	v_mul_f32_e32 v16, s22, v24
	s_delay_alu instid0(VALU_DEP_2)
	v_lshl_add_u64 v[22:23], v[8:9], 2, v[20:21]
	s_and_b32 vcc_lo, exec_lo, s10
	s_cbranch_vccz .LBB179_30
; %bb.17:                               ;   in Loop: Header=BB179_6 Depth=1
	global_load_b32 v24, v[22:23], off
	s_wait_loadcnt 0x0
	v_fma_f32 v24, s23, v24, v16
	global_store_b32 v[22:23], v24, off
	s_cbranch_execnz .LBB179_19
.LBB179_18:                             ;   in Loop: Header=BB179_6 Depth=1
	global_store_b32 v[22:23], v16, off
.LBB179_19:                             ;   in Loop: Header=BB179_6 Depth=1
	s_wait_xcnt 0x0
	s_or_b32 exec_lo, exec_lo, s27
	s_and_saveexec_b32 s27, s15
	s_cbranch_execz .LBB179_23
; %bb.20:                               ;   in Loop: Header=BB179_6 Depth=1
	v_mul_f32_e32 v16, s22, v25
	v_lshl_add_u64 v[20:21], v[10:11], 2, v[20:21]
	s_and_not1_b32 vcc_lo, exec_lo, s10
	s_cbranch_vccnz .LBB179_31
; %bb.21:                               ;   in Loop: Header=BB179_6 Depth=1
	global_load_b32 v22, v[20:21], off
	s_wait_loadcnt 0x0
	v_fma_f32 v22, s23, v22, v16
	global_store_b32 v[20:21], v22, off
	s_cbranch_execnz .LBB179_23
.LBB179_22:                             ;   in Loop: Header=BB179_6 Depth=1
	global_store_b32 v[20:21], v16, off
.LBB179_23:                             ;   in Loop: Header=BB179_6 Depth=1
	s_wait_xcnt 0x0
	s_or_b32 exec_lo, exec_lo, s27
	v_lshl_add_u64 v[20:21], v[6:7], 2, s[2:3]
	s_and_saveexec_b32 s2, s4
	s_cbranch_execz .LBB179_27
; %bb.24:                               ;   in Loop: Header=BB179_6 Depth=1
	v_mul_f32_e32 v16, s22, v18
	s_delay_alu instid0(VALU_DEP_2)
	v_lshl_add_u64 v[22:23], v[8:9], 2, v[20:21]
	s_and_not1_b32 vcc_lo, exec_lo, s10
	s_cbranch_vccnz .LBB179_32
; %bb.25:                               ;   in Loop: Header=BB179_6 Depth=1
	global_load_b32 v18, v[22:23], off
	s_wait_loadcnt 0x0
	v_fma_f32 v18, s23, v18, v16
	global_store_b32 v[22:23], v18, off
	s_cbranch_execnz .LBB179_27
.LBB179_26:                             ;   in Loop: Header=BB179_6 Depth=1
	global_store_b32 v[22:23], v16, off
.LBB179_27:                             ;   in Loop: Header=BB179_6 Depth=1
	s_wait_xcnt 0x0
	s_or_b32 exec_lo, exec_lo, s2
	s_and_saveexec_b32 s2, s5
	s_cbranch_execz .LBB179_5
; %bb.28:                               ;   in Loop: Header=BB179_6 Depth=1
	v_mul_f32_e32 v16, s22, v19
	v_lshl_add_u64 v[18:19], v[10:11], 2, v[20:21]
	s_and_not1_b32 vcc_lo, exec_lo, s10
	s_cbranch_vccnz .LBB179_33
; %bb.29:                               ;   in Loop: Header=BB179_6 Depth=1
	global_load_b32 v20, v[18:19], off
	s_wait_loadcnt 0x0
	v_fma_f32 v20, s23, v20, v16
	global_store_b32 v[18:19], v20, off
	s_cbranch_execnz .LBB179_5
	s_branch .LBB179_34
.LBB179_30:                             ;   in Loop: Header=BB179_6 Depth=1
	s_branch .LBB179_18
.LBB179_31:                             ;   in Loop: Header=BB179_6 Depth=1
	s_branch .LBB179_22
.LBB179_32:                             ;   in Loop: Header=BB179_6 Depth=1
	s_branch .LBB179_26
.LBB179_33:                             ;   in Loop: Header=BB179_6 Depth=1
.LBB179_34:                             ;   in Loop: Header=BB179_6 Depth=1
	global_store_b32 v[18:19], v16, off
	s_branch .LBB179_5
.LBB179_35:
	s_endpgm
	.section	.rodata,"a",@progbits
	.p2align	6, 0x0
	.amdhsa_kernel _ZL29rocblas_internal_gemmt_kernelIlLi16ELi32ELi8ELc67ELc67ELc76ELb0ELb0EffPKfPfEviT_T9_T10_S3_lS5_S3_lS4_T11_S3_li
		.amdhsa_group_segment_fixed_size 2048
		.amdhsa_private_segment_fixed_size 0
		.amdhsa_kernarg_size 108
		.amdhsa_user_sgpr_count 2
		.amdhsa_user_sgpr_dispatch_ptr 0
		.amdhsa_user_sgpr_queue_ptr 0
		.amdhsa_user_sgpr_kernarg_segment_ptr 1
		.amdhsa_user_sgpr_dispatch_id 0
		.amdhsa_user_sgpr_kernarg_preload_length 0
		.amdhsa_user_sgpr_kernarg_preload_offset 0
		.amdhsa_user_sgpr_private_segment_size 0
		.amdhsa_wavefront_size32 1
		.amdhsa_uses_dynamic_stack 0
		.amdhsa_enable_private_segment 0
		.amdhsa_system_sgpr_workgroup_id_x 1
		.amdhsa_system_sgpr_workgroup_id_y 1
		.amdhsa_system_sgpr_workgroup_id_z 1
		.amdhsa_system_sgpr_workgroup_info 0
		.amdhsa_system_vgpr_workitem_id 1
		.amdhsa_next_free_vgpr 54
		.amdhsa_next_free_sgpr 30
		.amdhsa_named_barrier_count 0
		.amdhsa_reserve_vcc 1
		.amdhsa_float_round_mode_32 0
		.amdhsa_float_round_mode_16_64 0
		.amdhsa_float_denorm_mode_32 3
		.amdhsa_float_denorm_mode_16_64 3
		.amdhsa_fp16_overflow 0
		.amdhsa_memory_ordered 1
		.amdhsa_forward_progress 1
		.amdhsa_inst_pref_size 13
		.amdhsa_round_robin_scheduling 0
		.amdhsa_exception_fp_ieee_invalid_op 0
		.amdhsa_exception_fp_denorm_src 0
		.amdhsa_exception_fp_ieee_div_zero 0
		.amdhsa_exception_fp_ieee_overflow 0
		.amdhsa_exception_fp_ieee_underflow 0
		.amdhsa_exception_fp_ieee_inexact 0
		.amdhsa_exception_int_div_zero 0
	.end_amdhsa_kernel
	.section	.text._ZL29rocblas_internal_gemmt_kernelIlLi16ELi32ELi8ELc67ELc67ELc76ELb0ELb0EffPKfPfEviT_T9_T10_S3_lS5_S3_lS4_T11_S3_li,"axG",@progbits,_ZL29rocblas_internal_gemmt_kernelIlLi16ELi32ELi8ELc67ELc67ELc76ELb0ELb0EffPKfPfEviT_T9_T10_S3_lS5_S3_lS4_T11_S3_li,comdat
.Lfunc_end179:
	.size	_ZL29rocblas_internal_gemmt_kernelIlLi16ELi32ELi8ELc67ELc67ELc76ELb0ELb0EffPKfPfEviT_T9_T10_S3_lS5_S3_lS4_T11_S3_li, .Lfunc_end179-_ZL29rocblas_internal_gemmt_kernelIlLi16ELi32ELi8ELc67ELc67ELc76ELb0ELb0EffPKfPfEviT_T9_T10_S3_lS5_S3_lS4_T11_S3_li
                                        ; -- End function
	.set _ZL29rocblas_internal_gemmt_kernelIlLi16ELi32ELi8ELc67ELc67ELc76ELb0ELb0EffPKfPfEviT_T9_T10_S3_lS5_S3_lS4_T11_S3_li.num_vgpr, 54
	.set _ZL29rocblas_internal_gemmt_kernelIlLi16ELi32ELi8ELc67ELc67ELc76ELb0ELb0EffPKfPfEviT_T9_T10_S3_lS5_S3_lS4_T11_S3_li.num_agpr, 0
	.set _ZL29rocblas_internal_gemmt_kernelIlLi16ELi32ELi8ELc67ELc67ELc76ELb0ELb0EffPKfPfEviT_T9_T10_S3_lS5_S3_lS4_T11_S3_li.numbered_sgpr, 30
	.set _ZL29rocblas_internal_gemmt_kernelIlLi16ELi32ELi8ELc67ELc67ELc76ELb0ELb0EffPKfPfEviT_T9_T10_S3_lS5_S3_lS4_T11_S3_li.num_named_barrier, 0
	.set _ZL29rocblas_internal_gemmt_kernelIlLi16ELi32ELi8ELc67ELc67ELc76ELb0ELb0EffPKfPfEviT_T9_T10_S3_lS5_S3_lS4_T11_S3_li.private_seg_size, 0
	.set _ZL29rocblas_internal_gemmt_kernelIlLi16ELi32ELi8ELc67ELc67ELc76ELb0ELb0EffPKfPfEviT_T9_T10_S3_lS5_S3_lS4_T11_S3_li.uses_vcc, 1
	.set _ZL29rocblas_internal_gemmt_kernelIlLi16ELi32ELi8ELc67ELc67ELc76ELb0ELb0EffPKfPfEviT_T9_T10_S3_lS5_S3_lS4_T11_S3_li.uses_flat_scratch, 0
	.set _ZL29rocblas_internal_gemmt_kernelIlLi16ELi32ELi8ELc67ELc67ELc76ELb0ELb0EffPKfPfEviT_T9_T10_S3_lS5_S3_lS4_T11_S3_li.has_dyn_sized_stack, 0
	.set _ZL29rocblas_internal_gemmt_kernelIlLi16ELi32ELi8ELc67ELc67ELc76ELb0ELb0EffPKfPfEviT_T9_T10_S3_lS5_S3_lS4_T11_S3_li.has_recursion, 0
	.set _ZL29rocblas_internal_gemmt_kernelIlLi16ELi32ELi8ELc67ELc67ELc76ELb0ELb0EffPKfPfEviT_T9_T10_S3_lS5_S3_lS4_T11_S3_li.has_indirect_call, 0
	.section	.AMDGPU.csdata,"",@progbits
; Kernel info:
; codeLenInByte = 1608
; TotalNumSgprs: 32
; NumVgprs: 54
; ScratchSize: 0
; MemoryBound: 0
; FloatMode: 240
; IeeeMode: 1
; LDSByteSize: 2048 bytes/workgroup (compile time only)
; SGPRBlocks: 0
; VGPRBlocks: 3
; NumSGPRsForWavesPerEU: 32
; NumVGPRsForWavesPerEU: 54
; NamedBarCnt: 0
; Occupancy: 16
; WaveLimiterHint : 0
; COMPUTE_PGM_RSRC2:SCRATCH_EN: 0
; COMPUTE_PGM_RSRC2:USER_SGPR: 2
; COMPUTE_PGM_RSRC2:TRAP_HANDLER: 0
; COMPUTE_PGM_RSRC2:TGID_X_EN: 1
; COMPUTE_PGM_RSRC2:TGID_Y_EN: 1
; COMPUTE_PGM_RSRC2:TGID_Z_EN: 1
; COMPUTE_PGM_RSRC2:TIDIG_COMP_CNT: 1
	.section	.text._ZL29rocblas_internal_gemmt_kernelIlLi16ELi32ELi8ELc78ELc78ELc85ELb0ELb0EdPKdS1_PdEviT_T9_T10_S3_lS5_S3_lS4_T11_S3_li,"axG",@progbits,_ZL29rocblas_internal_gemmt_kernelIlLi16ELi32ELi8ELc78ELc78ELc85ELb0ELb0EdPKdS1_PdEviT_T9_T10_S3_lS5_S3_lS4_T11_S3_li,comdat
	.globl	_ZL29rocblas_internal_gemmt_kernelIlLi16ELi32ELi8ELc78ELc78ELc85ELb0ELb0EdPKdS1_PdEviT_T9_T10_S3_lS5_S3_lS4_T11_S3_li ; -- Begin function _ZL29rocblas_internal_gemmt_kernelIlLi16ELi32ELi8ELc78ELc78ELc85ELb0ELb0EdPKdS1_PdEviT_T9_T10_S3_lS5_S3_lS4_T11_S3_li
	.p2align	8
	.type	_ZL29rocblas_internal_gemmt_kernelIlLi16ELi32ELi8ELc78ELc78ELc85ELb0ELb0EdPKdS1_PdEviT_T9_T10_S3_lS5_S3_lS4_T11_S3_li,@function
_ZL29rocblas_internal_gemmt_kernelIlLi16ELi32ELi8ELc78ELc78ELc85ELb0ELb0EdPKdS1_PdEviT_T9_T10_S3_lS5_S3_lS4_T11_S3_li: ; @_ZL29rocblas_internal_gemmt_kernelIlLi16ELi32ELi8ELc78ELc78ELc85ELb0ELb0EdPKdS1_PdEviT_T9_T10_S3_lS5_S3_lS4_T11_S3_li
; %bb.0:
	s_load_b256 s[24:31], s[0:1], 0x48
	s_wait_kmcnt 0x0
	s_load_b64 s[6:7], s[24:25], 0x0
	s_load_b512 s[8:23], s[0:1], 0x8
	s_wait_kmcnt 0x0
	v_cmp_neq_f64_e64 s2, s[6:7], 1.0
	s_load_b64 s[10:11], s[10:11], 0x0
	s_and_b32 vcc_lo, exec_lo, s2
	s_cbranch_vccnz .LBB180_2
; %bb.1:
	s_wait_kmcnt 0x0
	v_cmp_neq_f64_e64 s2, s[10:11], 0
	s_cmp_lg_u64 s[8:9], 0
	s_cselect_b32 s3, -1, 0
	s_delay_alu instid0(SALU_CYCLE_1)
	s_and_b32 s2, s3, s2
.LBB180_2:
	s_delay_alu instid0(SALU_CYCLE_1)
	s_and_not1_b32 vcc_lo, exec_lo, s2
	s_cbranch_vccnz .LBB180_35
; %bb.3:
	s_load_b32 s33, s[0:1], 0x68
	s_bfe_u32 s2, ttmp6, 0x40014
	s_lshr_b32 s3, ttmp7, 16
	s_add_co_i32 s2, s2, 1
	s_bfe_u32 s5, ttmp6, 0x40008
	s_mul_i32 s4, s3, s2
	s_getreg_b32 s2, hwreg(HW_REG_IB_STS2, 6, 4)
	s_add_co_i32 s5, s5, s4
	s_cmp_eq_u32 s2, 0
	s_mov_b32 s25, 0
	s_cselect_b32 s24, s3, s5
	s_wait_kmcnt 0x0
	s_cmp_ge_u32 s24, s33
	s_cbranch_scc1 .LBB180_35
; %bb.4:
	s_bfe_u32 s3, ttmp6, 0x4000c
	s_bfe_u32 s5, ttmp6, 0x40010
	v_and_b32_e32 v6, 0x3ff, v0
	v_bfe_u32 v7, v0, 10, 10
	s_add_co_i32 s3, s3, 1
	s_and_b32 s34, ttmp7, 0xffff
	s_add_co_i32 s5, s5, 1
	s_and_b32 s4, ttmp6, 15
	s_mul_i32 s3, ttmp9, s3
	s_mul_i32 s5, s34, s5
	s_bfe_u32 s35, ttmp6, 0x40004
	v_lshl_add_u32 v8, v7, 4, v6
	s_add_co_i32 s4, s4, s3
	s_add_co_i32 s35, s35, s5
	s_cmp_eq_u32 s2, 0
	v_lshl_add_u32 v9, v7, 6, 0x800
	s_cselect_b32 s2, s34, s35
	s_cselect_b32 s3, ttmp9, s4
	s_lshl_b32 s2, s2, 5
	s_delay_alu instid0(SALU_CYCLE_1)
	v_dual_lshrrev_b32 v10, 3, v8 :: v_dual_add_nc_u32 v14, s2, v7
	v_and_b32_e32 v0, 7, v0
	s_load_b32 s4, s[0:1], 0x0
	s_wait_xcnt 0x0
	s_lshl_b32 s0, s3, 5
	v_add_nc_u32_e32 v12, s2, v10
	v_dual_add_nc_u32 v16, 16, v14 :: v_dual_ashrrev_i32 v15, 31, v14
	v_dual_lshlrev_b32 v11, 3, v0 :: v_dual_lshlrev_b32 v1, 3, v6
	s_delay_alu instid0(VALU_DEP_3) | instskip(NEXT) | instid1(VALU_DEP_3)
	v_ashrrev_i32_e32 v13, 31, v12
	v_ashrrev_i32_e32 v17, 31, v16
	s_delay_alu instid0(VALU_DEP_4)
	v_mul_u64_e32 v[2:3], s[28:29], v[14:15]
	v_add_nc_u32_e32 v6, s0, v6
	v_lshl_or_b32 v11, v10, 6, v11
	v_mul_u64_e32 v[18:19], s[20:21], v[12:13]
	v_cmp_neq_f64_e64 s21, s[10:11], 0
	v_cmp_neq_f64_e64 s20, s[6:7], 0
	v_mul_u64_e32 v[4:5], s[28:29], v[16:17]
	v_dual_lshrrev_b32 v8, 5, v8 :: v_dual_bitop2_b32 v13, 31, v8 bitop3:0x40
	v_cmp_le_i32_e32 vcc_lo, v6, v14
	v_cmp_gt_i64_e64 s34, s[8:9], 0
	s_wait_kmcnt 0x0
	v_cmp_gt_i32_e64 s2, s4, v14
	v_dual_lshlrev_b32 v13, 3, v13 :: v_dual_bitop2_b32 v20, s0, v13 bitop3:0x54
	v_dual_ashrrev_i32 v7, 31, v6 :: v_dual_add_nc_u32 v10, 16, v6
	v_cmp_gt_i32_e64 s1, s4, v12
	s_delay_alu instid0(VALU_DEP_3)
	v_ashrrev_i32_e32 v21, 31, v20
	v_cmp_gt_i32_e64 s0, s4, v20
	v_lshl_or_b32 v34, v8, 8, v13
	v_cmp_le_i32_e64 s3, v10, v14
	v_cmp_gt_i32_e64 s4, s4, v16
	v_lshl_add_u64 v[12:13], v[20:21], 3, s[12:13]
	s_and_b32 s12, s2, vcc_lo
	v_cmp_le_i32_e32 vcc_lo, v6, v16
	v_cmp_le_i32_e64 s5, v10, v16
	v_add_nc_u32_e32 v35, 0x800, v11
	v_dual_ashrrev_i32 v11, 31, v10 :: v_dual_mov_b32 v17, 0
	v_lshl_add_u64 v[14:15], v[18:19], 3, s[18:19]
	s_and_b32 s13, s21, s34
	s_and_b32 s18, s2, s3
	s_and_b32 s19, s4, vcc_lo
	s_and_b32 s4, s4, s5
	s_branch .LBB180_6
.LBB180_5:                              ;   in Loop: Header=BB180_6 Depth=1
	s_wait_xcnt 0x0
	s_or_b32 exec_lo, exec_lo, s2
	s_add_co_i32 s24, s24, 0x10000
	s_delay_alu instid0(SALU_CYCLE_1)
	s_cmp_lt_u32 s24, s33
	s_cbranch_scc0 .LBB180_35
.LBB180_6:                              ; =>This Loop Header: Depth=1
                                        ;     Child Loop BB180_9 Depth 2
	v_mov_b64_e32 v[24:25], 0
	v_mov_b64_e32 v[22:23], 0
	;; [unrolled: 1-line block ×4, first 2 shown]
	s_and_not1_b32 vcc_lo, exec_lo, s13
	s_cbranch_vccnz .LBB180_15
; %bb.7:                                ;   in Loop: Header=BB180_6 Depth=1
	s_mul_u64 s[2:3], s[22:23], s[24:25]
	s_mul_u64 s[28:29], s[16:17], s[24:25]
	v_mov_b64_e32 v[18:19], 0
	v_mov_b64_e32 v[20:21], 0
	;; [unrolled: 1-line block ×4, first 2 shown]
	v_lshl_add_u64 v[26:27], s[28:29], 3, v[12:13]
	v_lshl_add_u64 v[28:29], s[2:3], 3, v[14:15]
	s_mov_b64 s[2:3], 0
	s_branch .LBB180_9
.LBB180_8:                              ;   in Loop: Header=BB180_9 Depth=2
	s_wait_xcnt 0x0
	s_or_b32 exec_lo, exec_lo, s5
	s_wait_loadcnt 0x0
	ds_store_b64 v35, v[32:33]
	s_wait_dscnt 0x0
	s_barrier_signal -1
	s_barrier_wait -1
	ds_load_b128 v[30:33], v9
	ds_load_2addr_b64 v[36:39], v1 offset1:16
	ds_load_b128 v[40:43], v9 offset:1024
	ds_load_b128 v[44:47], v9 offset:16
	ds_load_b128 v[48:51], v9 offset:1040
	s_add_nc_u64 s[2:3], s[2:3], 8
	s_delay_alu instid0(SALU_CYCLE_1)
	v_cmp_gt_i64_e64 s5, s[8:9], s[2:3]
	s_and_b32 vcc_lo, exec_lo, s5
	s_wait_dscnt 0x3
	v_fmac_f64_e32 v[24:25], v[36:37], v[30:31]
	v_fmac_f64_e32 v[22:23], v[38:39], v[30:31]
	s_wait_dscnt 0x2
	v_fmac_f64_e32 v[20:21], v[36:37], v[40:41]
	v_fmac_f64_e32 v[18:19], v[38:39], v[40:41]
	ds_load_2addr_b64 v[36:39], v1 offset0:32 offset1:48
	s_wait_dscnt 0x0
	v_fmac_f64_e32 v[24:25], v[36:37], v[32:33]
	v_fmac_f64_e32 v[22:23], v[38:39], v[32:33]
	v_fmac_f64_e32 v[20:21], v[36:37], v[42:43]
	v_fmac_f64_e32 v[18:19], v[38:39], v[42:43]
	ds_load_2addr_b64 v[30:33], v1 offset0:64 offset1:80
	s_wait_dscnt 0x0
	v_fmac_f64_e32 v[24:25], v[30:31], v[44:45]
	v_fmac_f64_e32 v[22:23], v[32:33], v[44:45]
	;; [unrolled: 6-line block ×3, first 2 shown]
	v_fmac_f64_e32 v[20:21], v[30:31], v[50:51]
	v_fmac_f64_e32 v[18:19], v[32:33], v[50:51]
	ds_load_b128 v[30:33], v9 offset:32
	ds_load_2addr_b64 v[36:39], v1 offset0:128 offset1:144
	ds_load_b128 v[40:43], v9 offset:1056
	ds_load_b128 v[44:47], v9 offset:48
	;; [unrolled: 1-line block ×3, first 2 shown]
	s_wait_dscnt 0x3
	v_fmac_f64_e32 v[24:25], v[36:37], v[30:31]
	v_fmac_f64_e32 v[22:23], v[38:39], v[30:31]
	s_wait_dscnt 0x2
	v_fmac_f64_e32 v[20:21], v[36:37], v[40:41]
	v_fmac_f64_e32 v[18:19], v[38:39], v[40:41]
	ds_load_2addr_b64 v[36:39], v1 offset0:160 offset1:176
	s_wait_dscnt 0x0
	v_fmac_f64_e32 v[24:25], v[36:37], v[32:33]
	v_fmac_f64_e32 v[22:23], v[38:39], v[32:33]
	v_fmac_f64_e32 v[20:21], v[36:37], v[42:43]
	v_fmac_f64_e32 v[18:19], v[38:39], v[42:43]
	ds_load_2addr_b64 v[30:33], v1 offset0:192 offset1:208
	s_wait_dscnt 0x0
	v_fmac_f64_e32 v[24:25], v[30:31], v[44:45]
	v_fmac_f64_e32 v[22:23], v[32:33], v[44:45]
	;; [unrolled: 1-line block ×4, first 2 shown]
	ds_load_2addr_b64 v[30:33], v1 offset0:224 offset1:240
	s_wait_dscnt 0x0
	s_barrier_signal -1
	s_barrier_wait -1
	v_fmac_f64_e32 v[24:25], v[30:31], v[46:47]
	v_fmac_f64_e32 v[22:23], v[32:33], v[46:47]
	;; [unrolled: 1-line block ×4, first 2 shown]
	s_cbranch_vccz .LBB180_15
.LBB180_9:                              ;   Parent Loop BB180_6 Depth=1
                                        ; =>  This Inner Loop Header: Depth=2
	v_mov_b64_e32 v[30:31], 0
	s_and_saveexec_b32 s5, s0
	s_cbranch_execz .LBB180_13
; %bb.10:                               ;   in Loop: Header=BB180_9 Depth=2
	v_mov_b64_e32 v[30:31], 0
	v_add_nc_u32_e32 v16, s2, v8
	s_mov_b32 s21, exec_lo
	s_delay_alu instid0(VALU_DEP_1)
	v_cmpx_gt_u64_e64 s[8:9], v[16:17]
	s_cbranch_execz .LBB180_12
; %bb.11:                               ;   in Loop: Header=BB180_9 Depth=2
	v_mul_u64_e32 v[30:31], s[14:15], v[16:17]
	s_delay_alu instid0(VALU_DEP_1)
	v_lshl_add_u64 v[30:31], v[30:31], 3, v[26:27]
	global_load_b64 v[30:31], v[30:31], off
.LBB180_12:                             ;   in Loop: Header=BB180_9 Depth=2
	s_wait_xcnt 0x0
	s_or_b32 exec_lo, exec_lo, s21
.LBB180_13:                             ;   in Loop: Header=BB180_9 Depth=2
	s_delay_alu instid0(SALU_CYCLE_1)
	s_or_b32 exec_lo, exec_lo, s5
	v_add_nc_u32_e32 v16, s2, v0
	v_mov_b64_e32 v[32:33], 0
	s_wait_loadcnt 0x0
	ds_store_b64 v34, v[30:31]
	v_cmp_gt_u64_e32 vcc_lo, s[8:9], v[16:17]
	s_and_b32 s21, vcc_lo, s1
	s_delay_alu instid0(SALU_CYCLE_1)
	s_and_saveexec_b32 s5, s21
	s_cbranch_execz .LBB180_8
; %bb.14:                               ;   in Loop: Header=BB180_9 Depth=2
	v_lshl_add_u64 v[30:31], v[16:17], 3, v[28:29]
	global_load_b64 v[32:33], v[30:31], off
	s_branch .LBB180_8
.LBB180_15:                             ;   in Loop: Header=BB180_6 Depth=1
	s_mul_u64 s[2:3], s[30:31], s[24:25]
	s_delay_alu instid0(SALU_CYCLE_1) | instskip(NEXT) | instid1(SALU_CYCLE_1)
	s_lshl_b64 s[2:3], s[2:3], 3
	s_add_nc_u64 s[2:3], s[26:27], s[2:3]
	s_delay_alu instid0(SALU_CYCLE_1)
	v_lshl_add_u64 v[26:27], v[2:3], 3, s[2:3]
	s_and_saveexec_b32 s5, s12
	s_cbranch_execz .LBB180_19
; %bb.16:                               ;   in Loop: Header=BB180_6 Depth=1
	v_mul_f64_e32 v[24:25], s[10:11], v[24:25]
	s_delay_alu instid0(VALU_DEP_2)
	v_lshl_add_u64 v[28:29], v[6:7], 3, v[26:27]
	s_and_b32 vcc_lo, exec_lo, s20
	s_cbranch_vccz .LBB180_30
; %bb.17:                               ;   in Loop: Header=BB180_6 Depth=1
	global_load_b64 v[30:31], v[28:29], off
	s_wait_loadcnt 0x0
	v_fma_f64 v[30:31], s[6:7], v[30:31], v[24:25]
	global_store_b64 v[28:29], v[30:31], off
	s_cbranch_execnz .LBB180_19
.LBB180_18:                             ;   in Loop: Header=BB180_6 Depth=1
	global_store_b64 v[28:29], v[24:25], off
.LBB180_19:                             ;   in Loop: Header=BB180_6 Depth=1
	s_wait_xcnt 0x0
	s_or_b32 exec_lo, exec_lo, s5
	s_and_saveexec_b32 s5, s18
	s_cbranch_execz .LBB180_23
; %bb.20:                               ;   in Loop: Header=BB180_6 Depth=1
	s_delay_alu instid0(VALU_DEP_4)
	v_mul_f64_e32 v[22:23], s[10:11], v[22:23]
	v_lshl_add_u64 v[24:25], v[10:11], 3, v[26:27]
	s_and_not1_b32 vcc_lo, exec_lo, s20
	s_cbranch_vccnz .LBB180_31
; %bb.21:                               ;   in Loop: Header=BB180_6 Depth=1
	global_load_b64 v[26:27], v[24:25], off
	s_wait_loadcnt 0x0
	v_fma_f64 v[26:27], s[6:7], v[26:27], v[22:23]
	global_store_b64 v[24:25], v[26:27], off
	s_cbranch_execnz .LBB180_23
.LBB180_22:                             ;   in Loop: Header=BB180_6 Depth=1
	global_store_b64 v[24:25], v[22:23], off
.LBB180_23:                             ;   in Loop: Header=BB180_6 Depth=1
	s_wait_xcnt 0x0
	s_or_b32 exec_lo, exec_lo, s5
	v_lshl_add_u64 v[22:23], v[4:5], 3, s[2:3]
	s_and_saveexec_b32 s2, s19
	s_cbranch_execz .LBB180_27
; %bb.24:                               ;   in Loop: Header=BB180_6 Depth=1
	s_delay_alu instid0(VALU_DEP_4) | instskip(NEXT) | instid1(VALU_DEP_2)
	v_mul_f64_e32 v[20:21], s[10:11], v[20:21]
	v_lshl_add_u64 v[24:25], v[6:7], 3, v[22:23]
	s_and_not1_b32 vcc_lo, exec_lo, s20
	s_cbranch_vccnz .LBB180_32
; %bb.25:                               ;   in Loop: Header=BB180_6 Depth=1
	global_load_b64 v[26:27], v[24:25], off
	s_wait_loadcnt 0x0
	v_fma_f64 v[26:27], s[6:7], v[26:27], v[20:21]
	global_store_b64 v[24:25], v[26:27], off
	s_cbranch_execnz .LBB180_27
.LBB180_26:                             ;   in Loop: Header=BB180_6 Depth=1
	global_store_b64 v[24:25], v[20:21], off
.LBB180_27:                             ;   in Loop: Header=BB180_6 Depth=1
	s_wait_xcnt 0x0
	s_or_b32 exec_lo, exec_lo, s2
	s_and_saveexec_b32 s2, s4
	s_cbranch_execz .LBB180_5
; %bb.28:                               ;   in Loop: Header=BB180_6 Depth=1
	s_delay_alu instid0(VALU_DEP_3)
	v_mul_f64_e32 v[18:19], s[10:11], v[18:19]
	v_lshl_add_u64 v[20:21], v[10:11], 3, v[22:23]
	s_and_not1_b32 vcc_lo, exec_lo, s20
	s_cbranch_vccnz .LBB180_33
; %bb.29:                               ;   in Loop: Header=BB180_6 Depth=1
	global_load_b64 v[22:23], v[20:21], off
	s_wait_loadcnt 0x0
	v_fma_f64 v[22:23], s[6:7], v[22:23], v[18:19]
	global_store_b64 v[20:21], v[22:23], off
	s_cbranch_execnz .LBB180_5
	s_branch .LBB180_34
.LBB180_30:                             ;   in Loop: Header=BB180_6 Depth=1
	s_branch .LBB180_18
.LBB180_31:                             ;   in Loop: Header=BB180_6 Depth=1
	s_branch .LBB180_22
.LBB180_32:                             ;   in Loop: Header=BB180_6 Depth=1
	s_branch .LBB180_26
.LBB180_33:                             ;   in Loop: Header=BB180_6 Depth=1
.LBB180_34:                             ;   in Loop: Header=BB180_6 Depth=1
	global_store_b64 v[20:21], v[18:19], off
	s_branch .LBB180_5
.LBB180_35:
	s_endpgm
	.section	.rodata,"a",@progbits
	.p2align	6, 0x0
	.amdhsa_kernel _ZL29rocblas_internal_gemmt_kernelIlLi16ELi32ELi8ELc78ELc78ELc85ELb0ELb0EdPKdS1_PdEviT_T9_T10_S3_lS5_S3_lS4_T11_S3_li
		.amdhsa_group_segment_fixed_size 4096
		.amdhsa_private_segment_fixed_size 0
		.amdhsa_kernarg_size 108
		.amdhsa_user_sgpr_count 2
		.amdhsa_user_sgpr_dispatch_ptr 0
		.amdhsa_user_sgpr_queue_ptr 0
		.amdhsa_user_sgpr_kernarg_segment_ptr 1
		.amdhsa_user_sgpr_dispatch_id 0
		.amdhsa_user_sgpr_kernarg_preload_length 0
		.amdhsa_user_sgpr_kernarg_preload_offset 0
		.amdhsa_user_sgpr_private_segment_size 0
		.amdhsa_wavefront_size32 1
		.amdhsa_uses_dynamic_stack 0
		.amdhsa_enable_private_segment 0
		.amdhsa_system_sgpr_workgroup_id_x 1
		.amdhsa_system_sgpr_workgroup_id_y 1
		.amdhsa_system_sgpr_workgroup_id_z 1
		.amdhsa_system_sgpr_workgroup_info 0
		.amdhsa_system_vgpr_workitem_id 1
		.amdhsa_next_free_vgpr 52
		.amdhsa_next_free_sgpr 36
		.amdhsa_named_barrier_count 0
		.amdhsa_reserve_vcc 1
		.amdhsa_float_round_mode_32 0
		.amdhsa_float_round_mode_16_64 0
		.amdhsa_float_denorm_mode_32 3
		.amdhsa_float_denorm_mode_16_64 3
		.amdhsa_fp16_overflow 0
		.amdhsa_memory_ordered 1
		.amdhsa_forward_progress 1
		.amdhsa_inst_pref_size 13
		.amdhsa_round_robin_scheduling 0
		.amdhsa_exception_fp_ieee_invalid_op 0
		.amdhsa_exception_fp_denorm_src 0
		.amdhsa_exception_fp_ieee_div_zero 0
		.amdhsa_exception_fp_ieee_overflow 0
		.amdhsa_exception_fp_ieee_underflow 0
		.amdhsa_exception_fp_ieee_inexact 0
		.amdhsa_exception_int_div_zero 0
	.end_amdhsa_kernel
	.section	.text._ZL29rocblas_internal_gemmt_kernelIlLi16ELi32ELi8ELc78ELc78ELc85ELb0ELb0EdPKdS1_PdEviT_T9_T10_S3_lS5_S3_lS4_T11_S3_li,"axG",@progbits,_ZL29rocblas_internal_gemmt_kernelIlLi16ELi32ELi8ELc78ELc78ELc85ELb0ELb0EdPKdS1_PdEviT_T9_T10_S3_lS5_S3_lS4_T11_S3_li,comdat
.Lfunc_end180:
	.size	_ZL29rocblas_internal_gemmt_kernelIlLi16ELi32ELi8ELc78ELc78ELc85ELb0ELb0EdPKdS1_PdEviT_T9_T10_S3_lS5_S3_lS4_T11_S3_li, .Lfunc_end180-_ZL29rocblas_internal_gemmt_kernelIlLi16ELi32ELi8ELc78ELc78ELc85ELb0ELb0EdPKdS1_PdEviT_T9_T10_S3_lS5_S3_lS4_T11_S3_li
                                        ; -- End function
	.set _ZL29rocblas_internal_gemmt_kernelIlLi16ELi32ELi8ELc78ELc78ELc85ELb0ELb0EdPKdS1_PdEviT_T9_T10_S3_lS5_S3_lS4_T11_S3_li.num_vgpr, 52
	.set _ZL29rocblas_internal_gemmt_kernelIlLi16ELi32ELi8ELc78ELc78ELc85ELb0ELb0EdPKdS1_PdEviT_T9_T10_S3_lS5_S3_lS4_T11_S3_li.num_agpr, 0
	.set _ZL29rocblas_internal_gemmt_kernelIlLi16ELi32ELi8ELc78ELc78ELc85ELb0ELb0EdPKdS1_PdEviT_T9_T10_S3_lS5_S3_lS4_T11_S3_li.numbered_sgpr, 36
	.set _ZL29rocblas_internal_gemmt_kernelIlLi16ELi32ELi8ELc78ELc78ELc85ELb0ELb0EdPKdS1_PdEviT_T9_T10_S3_lS5_S3_lS4_T11_S3_li.num_named_barrier, 0
	.set _ZL29rocblas_internal_gemmt_kernelIlLi16ELi32ELi8ELc78ELc78ELc85ELb0ELb0EdPKdS1_PdEviT_T9_T10_S3_lS5_S3_lS4_T11_S3_li.private_seg_size, 0
	.set _ZL29rocblas_internal_gemmt_kernelIlLi16ELi32ELi8ELc78ELc78ELc85ELb0ELb0EdPKdS1_PdEviT_T9_T10_S3_lS5_S3_lS4_T11_S3_li.uses_vcc, 1
	.set _ZL29rocblas_internal_gemmt_kernelIlLi16ELi32ELi8ELc78ELc78ELc85ELb0ELb0EdPKdS1_PdEviT_T9_T10_S3_lS5_S3_lS4_T11_S3_li.uses_flat_scratch, 0
	.set _ZL29rocblas_internal_gemmt_kernelIlLi16ELi32ELi8ELc78ELc78ELc85ELb0ELb0EdPKdS1_PdEviT_T9_T10_S3_lS5_S3_lS4_T11_S3_li.has_dyn_sized_stack, 0
	.set _ZL29rocblas_internal_gemmt_kernelIlLi16ELi32ELi8ELc78ELc78ELc85ELb0ELb0EdPKdS1_PdEviT_T9_T10_S3_lS5_S3_lS4_T11_S3_li.has_recursion, 0
	.set _ZL29rocblas_internal_gemmt_kernelIlLi16ELi32ELi8ELc78ELc78ELc85ELb0ELb0EdPKdS1_PdEviT_T9_T10_S3_lS5_S3_lS4_T11_S3_li.has_indirect_call, 0
	.section	.AMDGPU.csdata,"",@progbits
; Kernel info:
; codeLenInByte = 1604
; TotalNumSgprs: 38
; NumVgprs: 52
; ScratchSize: 0
; MemoryBound: 0
; FloatMode: 240
; IeeeMode: 1
; LDSByteSize: 4096 bytes/workgroup (compile time only)
; SGPRBlocks: 0
; VGPRBlocks: 3
; NumSGPRsForWavesPerEU: 38
; NumVGPRsForWavesPerEU: 52
; NamedBarCnt: 0
; Occupancy: 16
; WaveLimiterHint : 0
; COMPUTE_PGM_RSRC2:SCRATCH_EN: 0
; COMPUTE_PGM_RSRC2:USER_SGPR: 2
; COMPUTE_PGM_RSRC2:TRAP_HANDLER: 0
; COMPUTE_PGM_RSRC2:TGID_X_EN: 1
; COMPUTE_PGM_RSRC2:TGID_Y_EN: 1
; COMPUTE_PGM_RSRC2:TGID_Z_EN: 1
; COMPUTE_PGM_RSRC2:TIDIG_COMP_CNT: 1
	.section	.text._ZL29rocblas_internal_gemmt_kernelIlLi16ELi32ELi8ELc78ELc84ELc85ELb0ELb0EdPKdS1_PdEviT_T9_T10_S3_lS5_S3_lS4_T11_S3_li,"axG",@progbits,_ZL29rocblas_internal_gemmt_kernelIlLi16ELi32ELi8ELc78ELc84ELc85ELb0ELb0EdPKdS1_PdEviT_T9_T10_S3_lS5_S3_lS4_T11_S3_li,comdat
	.globl	_ZL29rocblas_internal_gemmt_kernelIlLi16ELi32ELi8ELc78ELc84ELc85ELb0ELb0EdPKdS1_PdEviT_T9_T10_S3_lS5_S3_lS4_T11_S3_li ; -- Begin function _ZL29rocblas_internal_gemmt_kernelIlLi16ELi32ELi8ELc78ELc84ELc85ELb0ELb0EdPKdS1_PdEviT_T9_T10_S3_lS5_S3_lS4_T11_S3_li
	.p2align	8
	.type	_ZL29rocblas_internal_gemmt_kernelIlLi16ELi32ELi8ELc78ELc84ELc85ELb0ELb0EdPKdS1_PdEviT_T9_T10_S3_lS5_S3_lS4_T11_S3_li,@function
_ZL29rocblas_internal_gemmt_kernelIlLi16ELi32ELi8ELc78ELc84ELc85ELb0ELb0EdPKdS1_PdEviT_T9_T10_S3_lS5_S3_lS4_T11_S3_li: ; @_ZL29rocblas_internal_gemmt_kernelIlLi16ELi32ELi8ELc78ELc84ELc85ELb0ELb0EdPKdS1_PdEviT_T9_T10_S3_lS5_S3_lS4_T11_S3_li
; %bb.0:
	s_load_b256 s[24:31], s[0:1], 0x48
	s_wait_kmcnt 0x0
	s_load_b64 s[6:7], s[24:25], 0x0
	s_load_b512 s[8:23], s[0:1], 0x8
	s_wait_kmcnt 0x0
	v_cmp_neq_f64_e64 s2, s[6:7], 1.0
	s_load_b64 s[10:11], s[10:11], 0x0
	s_and_b32 vcc_lo, exec_lo, s2
	s_cbranch_vccnz .LBB181_2
; %bb.1:
	s_wait_kmcnt 0x0
	v_cmp_neq_f64_e64 s2, s[10:11], 0
	s_cmp_lg_u64 s[8:9], 0
	s_cselect_b32 s3, -1, 0
	s_delay_alu instid0(SALU_CYCLE_1)
	s_and_b32 s2, s3, s2
.LBB181_2:
	s_delay_alu instid0(SALU_CYCLE_1)
	s_and_not1_b32 vcc_lo, exec_lo, s2
	s_cbranch_vccnz .LBB181_35
; %bb.3:
	s_load_b32 s33, s[0:1], 0x68
	s_bfe_u32 s2, ttmp6, 0x40014
	s_lshr_b32 s3, ttmp7, 16
	s_add_co_i32 s2, s2, 1
	s_bfe_u32 s5, ttmp6, 0x40008
	s_mul_i32 s4, s3, s2
	s_getreg_b32 s2, hwreg(HW_REG_IB_STS2, 6, 4)
	s_add_co_i32 s5, s5, s4
	s_cmp_eq_u32 s2, 0
	s_mov_b32 s25, 0
	s_cselect_b32 s24, s3, s5
	s_wait_kmcnt 0x0
	s_cmp_ge_u32 s24, s33
	s_cbranch_scc1 .LBB181_35
; %bb.4:
	s_bfe_u32 s3, ttmp6, 0x4000c
	s_bfe_u32 s5, ttmp6, 0x40010
	s_add_co_i32 s3, s3, 1
	s_and_b32 s34, ttmp7, 0xffff
	s_add_co_i32 s5, s5, 1
	s_and_b32 s4, ttmp6, 15
	s_mul_i32 s3, ttmp9, s3
	s_mul_i32 s5, s34, s5
	s_bfe_u32 s35, ttmp6, 0x40004
	s_add_co_i32 s4, s4, s3
	s_add_co_i32 s35, s35, s5
	s_cmp_eq_u32 s2, 0
	v_and_b32_e32 v11, 0x3ff, v0
	v_bfe_u32 v15, v0, 10, 10
	s_cselect_b32 s2, s34, s35
	s_cselect_b32 s3, ttmp9, s4
	s_lshl_b32 s2, s2, 5
	s_load_b32 s4, s[0:1], 0x0
	v_lshl_add_u32 v1, v15, 4, v11
	v_add_nc_u32_e32 v16, s2, v15
	s_wait_xcnt 0x0
	s_lshl_b32 s1, s3, 5
	v_cmp_neq_f64_e64 s35, s[10:11], 0
	v_dual_lshrrev_b32 v10, 3, v1 :: v_dual_bitop2_b32 v0, 7, v0 bitop3:0x40
	v_dual_lshrrev_b32 v2, 5, v1 :: v_dual_bitop2_b32 v3, 31, v1 bitop3:0x40
	v_dual_add_nc_u32 v18, 16, v16 :: v_dual_ashrrev_i32 v17, 31, v16
	v_cmp_neq_f64_e64 s34, s[6:7], 0
	s_delay_alu instid0(VALU_DEP_3) | instskip(NEXT) | instid1(VALU_DEP_3)
	v_dual_add_nc_u32 v12, s2, v10 :: v_dual_bitop2_b32 v8, s1, v3 bitop3:0x54
	v_dual_ashrrev_i32 v19, 31, v18 :: v_dual_lshlrev_b32 v1, 3, v3
	s_delay_alu instid0(VALU_DEP_4) | instskip(SKIP_1) | instid1(VALU_DEP_4)
	v_mul_u64_e32 v[4:5], s[28:29], v[16:17]
	v_lshlrev_b32_e32 v3, 3, v0
	v_ashrrev_i32_e32 v9, 31, v8
	s_delay_alu instid0(VALU_DEP_4)
	v_mul_u64_e32 v[6:7], s[28:29], v[18:19]
	s_wait_kmcnt 0x0
	v_cmp_gt_i32_e32 vcc_lo, s4, v16
	v_cmp_gt_i64_e64 s28, s[8:9], 0
	v_lshl_or_b32 v3, v10, 6, v3
	v_dual_add_nc_u32 v10, s1, v11 :: v_dual_ashrrev_i32 v13, 31, v12
	v_cmp_gt_i32_e64 s0, s4, v8
	v_lshl_add_u64 v[8:9], v[8:9], 3, s[12:13]
	v_cmp_gt_i32_e64 s1, s4, v12
	s_delay_alu instid0(VALU_DEP_4)
	v_cmp_le_i32_e64 s2, v10, v16
	v_add_nc_u32_e32 v14, 16, v10
	v_cmp_gt_i32_e64 s3, s4, v18
	v_cmp_le_i32_e64 s4, v10, v18
	v_lshl_or_b32 v1, v2, 8, v1
	s_and_b32 s12, vcc_lo, s2
	v_cmp_le_i32_e64 s2, v14, v16
	v_cmp_le_i32_e64 s5, v14, v18
	v_add_nc_u32_e32 v3, 0x800, v3
	v_lshl_add_u64 v[12:13], v[12:13], 3, s[18:19]
	v_dual_lshlrev_b32 v34, 3, v11 :: v_dual_ashrrev_i32 v11, 31, v10
	v_lshl_add_u32 v35, v15, 6, 0x800
	v_dual_ashrrev_i32 v15, 31, v14 :: v_dual_mov_b32 v17, 0
	s_and_b32 s13, s35, s28
	s_and_b32 s18, vcc_lo, s2
	s_and_b32 s4, s3, s4
	s_and_b32 s5, s3, s5
	s_branch .LBB181_6
.LBB181_5:                              ;   in Loop: Header=BB181_6 Depth=1
	s_wait_xcnt 0x0
	s_or_b32 exec_lo, exec_lo, s2
	s_add_co_i32 s24, s24, 0x10000
	s_delay_alu instid0(SALU_CYCLE_1)
	s_cmp_lt_u32 s24, s33
	s_cbranch_scc0 .LBB181_35
.LBB181_6:                              ; =>This Loop Header: Depth=1
                                        ;     Child Loop BB181_9 Depth 2
	v_mov_b64_e32 v[24:25], 0
	v_mov_b64_e32 v[22:23], 0
	;; [unrolled: 1-line block ×4, first 2 shown]
	s_and_not1_b32 vcc_lo, exec_lo, s13
	s_cbranch_vccnz .LBB181_15
; %bb.7:                                ;   in Loop: Header=BB181_6 Depth=1
	s_mul_u64 s[2:3], s[22:23], s[24:25]
	s_mul_u64 s[28:29], s[16:17], s[24:25]
	v_mov_b64_e32 v[18:19], 0
	v_mov_b64_e32 v[20:21], 0
	;; [unrolled: 1-line block ×4, first 2 shown]
	v_lshl_add_u64 v[26:27], s[28:29], 3, v[8:9]
	v_lshl_add_u64 v[28:29], s[2:3], 3, v[12:13]
	s_mov_b64 s[2:3], 0
	s_branch .LBB181_9
.LBB181_8:                              ;   in Loop: Header=BB181_9 Depth=2
	s_wait_xcnt 0x0
	s_or_b32 exec_lo, exec_lo, s19
	s_wait_loadcnt 0x0
	ds_store_b64 v3, v[32:33]
	s_wait_dscnt 0x0
	s_barrier_signal -1
	s_barrier_wait -1
	ds_load_b128 v[30:33], v35
	ds_load_2addr_b64 v[36:39], v34 offset1:16
	ds_load_b128 v[40:43], v35 offset:1024
	ds_load_b128 v[44:47], v35 offset:16
	;; [unrolled: 1-line block ×3, first 2 shown]
	s_add_nc_u64 s[2:3], s[2:3], 8
	s_delay_alu instid0(SALU_CYCLE_1)
	v_cmp_gt_i64_e64 s19, s[8:9], s[2:3]
	s_and_b32 vcc_lo, exec_lo, s19
	s_wait_dscnt 0x3
	v_fmac_f64_e32 v[24:25], v[36:37], v[30:31]
	v_fmac_f64_e32 v[22:23], v[38:39], v[30:31]
	s_wait_dscnt 0x2
	v_fmac_f64_e32 v[20:21], v[36:37], v[40:41]
	v_fmac_f64_e32 v[18:19], v[38:39], v[40:41]
	ds_load_2addr_b64 v[36:39], v34 offset0:32 offset1:48
	s_wait_dscnt 0x0
	v_fmac_f64_e32 v[24:25], v[36:37], v[32:33]
	v_fmac_f64_e32 v[22:23], v[38:39], v[32:33]
	v_fmac_f64_e32 v[20:21], v[36:37], v[42:43]
	v_fmac_f64_e32 v[18:19], v[38:39], v[42:43]
	ds_load_2addr_b64 v[30:33], v34 offset0:64 offset1:80
	s_wait_dscnt 0x0
	v_fmac_f64_e32 v[24:25], v[30:31], v[44:45]
	v_fmac_f64_e32 v[22:23], v[32:33], v[44:45]
	;; [unrolled: 6-line block ×3, first 2 shown]
	v_fmac_f64_e32 v[20:21], v[30:31], v[50:51]
	v_fmac_f64_e32 v[18:19], v[32:33], v[50:51]
	ds_load_b128 v[30:33], v35 offset:32
	ds_load_2addr_b64 v[36:39], v34 offset0:128 offset1:144
	ds_load_b128 v[40:43], v35 offset:1056
	ds_load_b128 v[44:47], v35 offset:48
	ds_load_b128 v[48:51], v35 offset:1072
	s_wait_dscnt 0x3
	v_fmac_f64_e32 v[24:25], v[36:37], v[30:31]
	v_fmac_f64_e32 v[22:23], v[38:39], v[30:31]
	s_wait_dscnt 0x2
	v_fmac_f64_e32 v[20:21], v[36:37], v[40:41]
	v_fmac_f64_e32 v[18:19], v[38:39], v[40:41]
	ds_load_2addr_b64 v[36:39], v34 offset0:160 offset1:176
	s_wait_dscnt 0x0
	v_fmac_f64_e32 v[24:25], v[36:37], v[32:33]
	v_fmac_f64_e32 v[22:23], v[38:39], v[32:33]
	;; [unrolled: 1-line block ×4, first 2 shown]
	ds_load_2addr_b64 v[30:33], v34 offset0:192 offset1:208
	s_wait_dscnt 0x0
	v_fmac_f64_e32 v[24:25], v[30:31], v[44:45]
	v_fmac_f64_e32 v[22:23], v[32:33], v[44:45]
	;; [unrolled: 1-line block ×4, first 2 shown]
	ds_load_2addr_b64 v[30:33], v34 offset0:224 offset1:240
	s_wait_dscnt 0x0
	s_barrier_signal -1
	s_barrier_wait -1
	v_fmac_f64_e32 v[24:25], v[30:31], v[46:47]
	v_fmac_f64_e32 v[22:23], v[32:33], v[46:47]
	;; [unrolled: 1-line block ×4, first 2 shown]
	s_cbranch_vccz .LBB181_15
.LBB181_9:                              ;   Parent Loop BB181_6 Depth=1
                                        ; =>  This Inner Loop Header: Depth=2
	v_mov_b64_e32 v[30:31], 0
	s_and_saveexec_b32 s19, s0
	s_cbranch_execz .LBB181_13
; %bb.10:                               ;   in Loop: Header=BB181_9 Depth=2
	v_mov_b64_e32 v[30:31], 0
	v_add_nc_u32_e32 v16, s2, v2
	s_mov_b32 s28, exec_lo
	s_delay_alu instid0(VALU_DEP_1)
	v_cmpx_gt_u64_e64 s[8:9], v[16:17]
	s_cbranch_execz .LBB181_12
; %bb.11:                               ;   in Loop: Header=BB181_9 Depth=2
	v_mul_u64_e32 v[30:31], s[14:15], v[16:17]
	s_delay_alu instid0(VALU_DEP_1)
	v_lshl_add_u64 v[30:31], v[30:31], 3, v[26:27]
	global_load_b64 v[30:31], v[30:31], off
.LBB181_12:                             ;   in Loop: Header=BB181_9 Depth=2
	s_wait_xcnt 0x0
	s_or_b32 exec_lo, exec_lo, s28
.LBB181_13:                             ;   in Loop: Header=BB181_9 Depth=2
	s_delay_alu instid0(SALU_CYCLE_1)
	s_or_b32 exec_lo, exec_lo, s19
	v_add_nc_u32_e32 v16, s2, v0
	v_mov_b64_e32 v[32:33], 0
	s_wait_loadcnt 0x0
	ds_store_b64 v1, v[30:31]
	v_cmp_gt_u64_e32 vcc_lo, s[8:9], v[16:17]
	s_and_b32 s28, vcc_lo, s1
	s_delay_alu instid0(SALU_CYCLE_1)
	s_and_saveexec_b32 s19, s28
	s_cbranch_execz .LBB181_8
; %bb.14:                               ;   in Loop: Header=BB181_9 Depth=2
	v_mul_u64_e32 v[30:31], s[20:21], v[16:17]
	s_delay_alu instid0(VALU_DEP_1)
	v_lshl_add_u64 v[30:31], v[30:31], 3, v[28:29]
	global_load_b64 v[32:33], v[30:31], off
	s_branch .LBB181_8
.LBB181_15:                             ;   in Loop: Header=BB181_6 Depth=1
	s_mul_u64 s[2:3], s[30:31], s[24:25]
	s_delay_alu instid0(SALU_CYCLE_1) | instskip(NEXT) | instid1(SALU_CYCLE_1)
	s_lshl_b64 s[2:3], s[2:3], 3
	s_add_nc_u64 s[2:3], s[26:27], s[2:3]
	s_delay_alu instid0(SALU_CYCLE_1)
	v_lshl_add_u64 v[26:27], v[4:5], 3, s[2:3]
	s_and_saveexec_b32 s19, s12
	s_cbranch_execz .LBB181_19
; %bb.16:                               ;   in Loop: Header=BB181_6 Depth=1
	v_mul_f64_e32 v[24:25], s[10:11], v[24:25]
	s_delay_alu instid0(VALU_DEP_2)
	v_lshl_add_u64 v[28:29], v[10:11], 3, v[26:27]
	s_and_b32 vcc_lo, exec_lo, s34
	s_cbranch_vccz .LBB181_30
; %bb.17:                               ;   in Loop: Header=BB181_6 Depth=1
	global_load_b64 v[30:31], v[28:29], off
	s_wait_loadcnt 0x0
	v_fma_f64 v[30:31], s[6:7], v[30:31], v[24:25]
	global_store_b64 v[28:29], v[30:31], off
	s_cbranch_execnz .LBB181_19
.LBB181_18:                             ;   in Loop: Header=BB181_6 Depth=1
	global_store_b64 v[28:29], v[24:25], off
.LBB181_19:                             ;   in Loop: Header=BB181_6 Depth=1
	s_wait_xcnt 0x0
	s_or_b32 exec_lo, exec_lo, s19
	s_and_saveexec_b32 s19, s18
	s_cbranch_execz .LBB181_23
; %bb.20:                               ;   in Loop: Header=BB181_6 Depth=1
	s_delay_alu instid0(VALU_DEP_4)
	v_mul_f64_e32 v[22:23], s[10:11], v[22:23]
	v_lshl_add_u64 v[24:25], v[14:15], 3, v[26:27]
	s_and_not1_b32 vcc_lo, exec_lo, s34
	s_cbranch_vccnz .LBB181_31
; %bb.21:                               ;   in Loop: Header=BB181_6 Depth=1
	global_load_b64 v[26:27], v[24:25], off
	s_wait_loadcnt 0x0
	v_fma_f64 v[26:27], s[6:7], v[26:27], v[22:23]
	global_store_b64 v[24:25], v[26:27], off
	s_cbranch_execnz .LBB181_23
.LBB181_22:                             ;   in Loop: Header=BB181_6 Depth=1
	global_store_b64 v[24:25], v[22:23], off
.LBB181_23:                             ;   in Loop: Header=BB181_6 Depth=1
	s_wait_xcnt 0x0
	s_or_b32 exec_lo, exec_lo, s19
	v_lshl_add_u64 v[22:23], v[6:7], 3, s[2:3]
	s_and_saveexec_b32 s2, s4
	s_cbranch_execz .LBB181_27
; %bb.24:                               ;   in Loop: Header=BB181_6 Depth=1
	s_delay_alu instid0(VALU_DEP_4) | instskip(NEXT) | instid1(VALU_DEP_2)
	v_mul_f64_e32 v[20:21], s[10:11], v[20:21]
	v_lshl_add_u64 v[24:25], v[10:11], 3, v[22:23]
	s_and_not1_b32 vcc_lo, exec_lo, s34
	s_cbranch_vccnz .LBB181_32
; %bb.25:                               ;   in Loop: Header=BB181_6 Depth=1
	global_load_b64 v[26:27], v[24:25], off
	s_wait_loadcnt 0x0
	v_fma_f64 v[26:27], s[6:7], v[26:27], v[20:21]
	global_store_b64 v[24:25], v[26:27], off
	s_cbranch_execnz .LBB181_27
.LBB181_26:                             ;   in Loop: Header=BB181_6 Depth=1
	global_store_b64 v[24:25], v[20:21], off
.LBB181_27:                             ;   in Loop: Header=BB181_6 Depth=1
	s_wait_xcnt 0x0
	s_or_b32 exec_lo, exec_lo, s2
	s_and_saveexec_b32 s2, s5
	s_cbranch_execz .LBB181_5
; %bb.28:                               ;   in Loop: Header=BB181_6 Depth=1
	s_delay_alu instid0(VALU_DEP_3)
	v_mul_f64_e32 v[18:19], s[10:11], v[18:19]
	v_lshl_add_u64 v[20:21], v[14:15], 3, v[22:23]
	s_and_not1_b32 vcc_lo, exec_lo, s34
	s_cbranch_vccnz .LBB181_33
; %bb.29:                               ;   in Loop: Header=BB181_6 Depth=1
	global_load_b64 v[22:23], v[20:21], off
	s_wait_loadcnt 0x0
	v_fma_f64 v[22:23], s[6:7], v[22:23], v[18:19]
	global_store_b64 v[20:21], v[22:23], off
	s_cbranch_execnz .LBB181_5
	s_branch .LBB181_34
.LBB181_30:                             ;   in Loop: Header=BB181_6 Depth=1
	s_branch .LBB181_18
.LBB181_31:                             ;   in Loop: Header=BB181_6 Depth=1
	s_branch .LBB181_22
.LBB181_32:                             ;   in Loop: Header=BB181_6 Depth=1
	s_branch .LBB181_26
.LBB181_33:                             ;   in Loop: Header=BB181_6 Depth=1
.LBB181_34:                             ;   in Loop: Header=BB181_6 Depth=1
	global_store_b64 v[20:21], v[18:19], off
	s_branch .LBB181_5
.LBB181_35:
	s_endpgm
	.section	.rodata,"a",@progbits
	.p2align	6, 0x0
	.amdhsa_kernel _ZL29rocblas_internal_gemmt_kernelIlLi16ELi32ELi8ELc78ELc84ELc85ELb0ELb0EdPKdS1_PdEviT_T9_T10_S3_lS5_S3_lS4_T11_S3_li
		.amdhsa_group_segment_fixed_size 4096
		.amdhsa_private_segment_fixed_size 0
		.amdhsa_kernarg_size 108
		.amdhsa_user_sgpr_count 2
		.amdhsa_user_sgpr_dispatch_ptr 0
		.amdhsa_user_sgpr_queue_ptr 0
		.amdhsa_user_sgpr_kernarg_segment_ptr 1
		.amdhsa_user_sgpr_dispatch_id 0
		.amdhsa_user_sgpr_kernarg_preload_length 0
		.amdhsa_user_sgpr_kernarg_preload_offset 0
		.amdhsa_user_sgpr_private_segment_size 0
		.amdhsa_wavefront_size32 1
		.amdhsa_uses_dynamic_stack 0
		.amdhsa_enable_private_segment 0
		.amdhsa_system_sgpr_workgroup_id_x 1
		.amdhsa_system_sgpr_workgroup_id_y 1
		.amdhsa_system_sgpr_workgroup_id_z 1
		.amdhsa_system_sgpr_workgroup_info 0
		.amdhsa_system_vgpr_workitem_id 1
		.amdhsa_next_free_vgpr 52
		.amdhsa_next_free_sgpr 36
		.amdhsa_named_barrier_count 0
		.amdhsa_reserve_vcc 1
		.amdhsa_float_round_mode_32 0
		.amdhsa_float_round_mode_16_64 0
		.amdhsa_float_denorm_mode_32 3
		.amdhsa_float_denorm_mode_16_64 3
		.amdhsa_fp16_overflow 0
		.amdhsa_memory_ordered 1
		.amdhsa_forward_progress 1
		.amdhsa_inst_pref_size 13
		.amdhsa_round_robin_scheduling 0
		.amdhsa_exception_fp_ieee_invalid_op 0
		.amdhsa_exception_fp_denorm_src 0
		.amdhsa_exception_fp_ieee_div_zero 0
		.amdhsa_exception_fp_ieee_overflow 0
		.amdhsa_exception_fp_ieee_underflow 0
		.amdhsa_exception_fp_ieee_inexact 0
		.amdhsa_exception_int_div_zero 0
	.end_amdhsa_kernel
	.section	.text._ZL29rocblas_internal_gemmt_kernelIlLi16ELi32ELi8ELc78ELc84ELc85ELb0ELb0EdPKdS1_PdEviT_T9_T10_S3_lS5_S3_lS4_T11_S3_li,"axG",@progbits,_ZL29rocblas_internal_gemmt_kernelIlLi16ELi32ELi8ELc78ELc84ELc85ELb0ELb0EdPKdS1_PdEviT_T9_T10_S3_lS5_S3_lS4_T11_S3_li,comdat
.Lfunc_end181:
	.size	_ZL29rocblas_internal_gemmt_kernelIlLi16ELi32ELi8ELc78ELc84ELc85ELb0ELb0EdPKdS1_PdEviT_T9_T10_S3_lS5_S3_lS4_T11_S3_li, .Lfunc_end181-_ZL29rocblas_internal_gemmt_kernelIlLi16ELi32ELi8ELc78ELc84ELc85ELb0ELb0EdPKdS1_PdEviT_T9_T10_S3_lS5_S3_lS4_T11_S3_li
                                        ; -- End function
	.set _ZL29rocblas_internal_gemmt_kernelIlLi16ELi32ELi8ELc78ELc84ELc85ELb0ELb0EdPKdS1_PdEviT_T9_T10_S3_lS5_S3_lS4_T11_S3_li.num_vgpr, 52
	.set _ZL29rocblas_internal_gemmt_kernelIlLi16ELi32ELi8ELc78ELc84ELc85ELb0ELb0EdPKdS1_PdEviT_T9_T10_S3_lS5_S3_lS4_T11_S3_li.num_agpr, 0
	.set _ZL29rocblas_internal_gemmt_kernelIlLi16ELi32ELi8ELc78ELc84ELc85ELb0ELb0EdPKdS1_PdEviT_T9_T10_S3_lS5_S3_lS4_T11_S3_li.numbered_sgpr, 36
	.set _ZL29rocblas_internal_gemmt_kernelIlLi16ELi32ELi8ELc78ELc84ELc85ELb0ELb0EdPKdS1_PdEviT_T9_T10_S3_lS5_S3_lS4_T11_S3_li.num_named_barrier, 0
	.set _ZL29rocblas_internal_gemmt_kernelIlLi16ELi32ELi8ELc78ELc84ELc85ELb0ELb0EdPKdS1_PdEviT_T9_T10_S3_lS5_S3_lS4_T11_S3_li.private_seg_size, 0
	.set _ZL29rocblas_internal_gemmt_kernelIlLi16ELi32ELi8ELc78ELc84ELc85ELb0ELb0EdPKdS1_PdEviT_T9_T10_S3_lS5_S3_lS4_T11_S3_li.uses_vcc, 1
	.set _ZL29rocblas_internal_gemmt_kernelIlLi16ELi32ELi8ELc78ELc84ELc85ELb0ELb0EdPKdS1_PdEviT_T9_T10_S3_lS5_S3_lS4_T11_S3_li.uses_flat_scratch, 0
	.set _ZL29rocblas_internal_gemmt_kernelIlLi16ELi32ELi8ELc78ELc84ELc85ELb0ELb0EdPKdS1_PdEviT_T9_T10_S3_lS5_S3_lS4_T11_S3_li.has_dyn_sized_stack, 0
	.set _ZL29rocblas_internal_gemmt_kernelIlLi16ELi32ELi8ELc78ELc84ELc85ELb0ELb0EdPKdS1_PdEviT_T9_T10_S3_lS5_S3_lS4_T11_S3_li.has_recursion, 0
	.set _ZL29rocblas_internal_gemmt_kernelIlLi16ELi32ELi8ELc78ELc84ELc85ELb0ELb0EdPKdS1_PdEviT_T9_T10_S3_lS5_S3_lS4_T11_S3_li.has_indirect_call, 0
	.section	.AMDGPU.csdata,"",@progbits
; Kernel info:
; codeLenInByte = 1616
; TotalNumSgprs: 38
; NumVgprs: 52
; ScratchSize: 0
; MemoryBound: 0
; FloatMode: 240
; IeeeMode: 1
; LDSByteSize: 4096 bytes/workgroup (compile time only)
; SGPRBlocks: 0
; VGPRBlocks: 3
; NumSGPRsForWavesPerEU: 38
; NumVGPRsForWavesPerEU: 52
; NamedBarCnt: 0
; Occupancy: 16
; WaveLimiterHint : 0
; COMPUTE_PGM_RSRC2:SCRATCH_EN: 0
; COMPUTE_PGM_RSRC2:USER_SGPR: 2
; COMPUTE_PGM_RSRC2:TRAP_HANDLER: 0
; COMPUTE_PGM_RSRC2:TGID_X_EN: 1
; COMPUTE_PGM_RSRC2:TGID_Y_EN: 1
; COMPUTE_PGM_RSRC2:TGID_Z_EN: 1
; COMPUTE_PGM_RSRC2:TIDIG_COMP_CNT: 1
	.section	.text._ZL29rocblas_internal_gemmt_kernelIlLi16ELi32ELi8ELc78ELc67ELc85ELb0ELb0EdPKdS1_PdEviT_T9_T10_S3_lS5_S3_lS4_T11_S3_li,"axG",@progbits,_ZL29rocblas_internal_gemmt_kernelIlLi16ELi32ELi8ELc78ELc67ELc85ELb0ELb0EdPKdS1_PdEviT_T9_T10_S3_lS5_S3_lS4_T11_S3_li,comdat
	.globl	_ZL29rocblas_internal_gemmt_kernelIlLi16ELi32ELi8ELc78ELc67ELc85ELb0ELb0EdPKdS1_PdEviT_T9_T10_S3_lS5_S3_lS4_T11_S3_li ; -- Begin function _ZL29rocblas_internal_gemmt_kernelIlLi16ELi32ELi8ELc78ELc67ELc85ELb0ELb0EdPKdS1_PdEviT_T9_T10_S3_lS5_S3_lS4_T11_S3_li
	.p2align	8
	.type	_ZL29rocblas_internal_gemmt_kernelIlLi16ELi32ELi8ELc78ELc67ELc85ELb0ELb0EdPKdS1_PdEviT_T9_T10_S3_lS5_S3_lS4_T11_S3_li,@function
_ZL29rocblas_internal_gemmt_kernelIlLi16ELi32ELi8ELc78ELc67ELc85ELb0ELb0EdPKdS1_PdEviT_T9_T10_S3_lS5_S3_lS4_T11_S3_li: ; @_ZL29rocblas_internal_gemmt_kernelIlLi16ELi32ELi8ELc78ELc67ELc85ELb0ELb0EdPKdS1_PdEviT_T9_T10_S3_lS5_S3_lS4_T11_S3_li
; %bb.0:
	s_load_b256 s[24:31], s[0:1], 0x48
	s_wait_kmcnt 0x0
	s_load_b64 s[6:7], s[24:25], 0x0
	s_load_b512 s[8:23], s[0:1], 0x8
	s_wait_kmcnt 0x0
	v_cmp_neq_f64_e64 s2, s[6:7], 1.0
	s_load_b64 s[10:11], s[10:11], 0x0
	s_and_b32 vcc_lo, exec_lo, s2
	s_cbranch_vccnz .LBB182_2
; %bb.1:
	s_wait_kmcnt 0x0
	v_cmp_neq_f64_e64 s2, s[10:11], 0
	s_cmp_lg_u64 s[8:9], 0
	s_cselect_b32 s3, -1, 0
	s_delay_alu instid0(SALU_CYCLE_1)
	s_and_b32 s2, s3, s2
.LBB182_2:
	s_delay_alu instid0(SALU_CYCLE_1)
	s_and_not1_b32 vcc_lo, exec_lo, s2
	s_cbranch_vccnz .LBB182_35
; %bb.3:
	s_load_b32 s33, s[0:1], 0x68
	s_bfe_u32 s2, ttmp6, 0x40014
	s_lshr_b32 s3, ttmp7, 16
	s_add_co_i32 s2, s2, 1
	s_bfe_u32 s5, ttmp6, 0x40008
	s_mul_i32 s4, s3, s2
	s_getreg_b32 s2, hwreg(HW_REG_IB_STS2, 6, 4)
	s_add_co_i32 s5, s5, s4
	s_cmp_eq_u32 s2, 0
	s_mov_b32 s25, 0
	s_cselect_b32 s24, s3, s5
	s_wait_kmcnt 0x0
	s_cmp_ge_u32 s24, s33
	s_cbranch_scc1 .LBB182_35
; %bb.4:
	s_bfe_u32 s3, ttmp6, 0x4000c
	s_bfe_u32 s5, ttmp6, 0x40010
	s_add_co_i32 s3, s3, 1
	s_and_b32 s34, ttmp7, 0xffff
	s_add_co_i32 s5, s5, 1
	s_and_b32 s4, ttmp6, 15
	s_mul_i32 s3, ttmp9, s3
	s_mul_i32 s5, s34, s5
	s_bfe_u32 s35, ttmp6, 0x40004
	s_add_co_i32 s4, s4, s3
	s_add_co_i32 s35, s35, s5
	s_cmp_eq_u32 s2, 0
	v_and_b32_e32 v11, 0x3ff, v0
	v_bfe_u32 v15, v0, 10, 10
	s_cselect_b32 s2, s34, s35
	s_cselect_b32 s3, ttmp9, s4
	s_lshl_b32 s2, s2, 5
	s_load_b32 s4, s[0:1], 0x0
	v_lshl_add_u32 v1, v15, 4, v11
	v_add_nc_u32_e32 v16, s2, v15
	s_wait_xcnt 0x0
	s_lshl_b32 s1, s3, 5
	v_cmp_neq_f64_e64 s35, s[10:11], 0
	v_dual_lshrrev_b32 v10, 3, v1 :: v_dual_bitop2_b32 v0, 7, v0 bitop3:0x40
	v_dual_lshrrev_b32 v2, 5, v1 :: v_dual_bitop2_b32 v3, 31, v1 bitop3:0x40
	v_dual_add_nc_u32 v18, 16, v16 :: v_dual_ashrrev_i32 v17, 31, v16
	v_cmp_neq_f64_e64 s34, s[6:7], 0
	s_delay_alu instid0(VALU_DEP_3) | instskip(NEXT) | instid1(VALU_DEP_3)
	v_dual_add_nc_u32 v12, s2, v10 :: v_dual_bitop2_b32 v8, s1, v3 bitop3:0x54
	v_dual_ashrrev_i32 v19, 31, v18 :: v_dual_lshlrev_b32 v1, 3, v3
	s_delay_alu instid0(VALU_DEP_4) | instskip(SKIP_1) | instid1(VALU_DEP_4)
	v_mul_u64_e32 v[4:5], s[28:29], v[16:17]
	v_lshlrev_b32_e32 v3, 3, v0
	v_ashrrev_i32_e32 v9, 31, v8
	s_delay_alu instid0(VALU_DEP_4)
	v_mul_u64_e32 v[6:7], s[28:29], v[18:19]
	s_wait_kmcnt 0x0
	v_cmp_gt_i32_e32 vcc_lo, s4, v16
	v_cmp_gt_i64_e64 s28, s[8:9], 0
	v_lshl_or_b32 v3, v10, 6, v3
	v_dual_add_nc_u32 v10, s1, v11 :: v_dual_ashrrev_i32 v13, 31, v12
	v_cmp_gt_i32_e64 s0, s4, v8
	v_lshl_add_u64 v[8:9], v[8:9], 3, s[12:13]
	v_cmp_gt_i32_e64 s1, s4, v12
	s_delay_alu instid0(VALU_DEP_4)
	v_cmp_le_i32_e64 s2, v10, v16
	v_add_nc_u32_e32 v14, 16, v10
	v_cmp_gt_i32_e64 s3, s4, v18
	v_cmp_le_i32_e64 s4, v10, v18
	v_lshl_or_b32 v1, v2, 8, v1
	s_and_b32 s12, vcc_lo, s2
	v_cmp_le_i32_e64 s2, v14, v16
	v_cmp_le_i32_e64 s5, v14, v18
	v_add_nc_u32_e32 v3, 0x800, v3
	v_lshl_add_u64 v[12:13], v[12:13], 3, s[18:19]
	v_dual_lshlrev_b32 v34, 3, v11 :: v_dual_ashrrev_i32 v11, 31, v10
	v_lshl_add_u32 v35, v15, 6, 0x800
	v_dual_ashrrev_i32 v15, 31, v14 :: v_dual_mov_b32 v17, 0
	s_and_b32 s13, s35, s28
	s_and_b32 s18, vcc_lo, s2
	s_and_b32 s4, s3, s4
	s_and_b32 s5, s3, s5
	s_branch .LBB182_6
.LBB182_5:                              ;   in Loop: Header=BB182_6 Depth=1
	s_wait_xcnt 0x0
	s_or_b32 exec_lo, exec_lo, s2
	s_add_co_i32 s24, s24, 0x10000
	s_delay_alu instid0(SALU_CYCLE_1)
	s_cmp_lt_u32 s24, s33
	s_cbranch_scc0 .LBB182_35
.LBB182_6:                              ; =>This Loop Header: Depth=1
                                        ;     Child Loop BB182_9 Depth 2
	v_mov_b64_e32 v[24:25], 0
	v_mov_b64_e32 v[22:23], 0
	;; [unrolled: 1-line block ×4, first 2 shown]
	s_and_not1_b32 vcc_lo, exec_lo, s13
	s_cbranch_vccnz .LBB182_15
; %bb.7:                                ;   in Loop: Header=BB182_6 Depth=1
	s_mul_u64 s[2:3], s[22:23], s[24:25]
	s_mul_u64 s[28:29], s[16:17], s[24:25]
	v_mov_b64_e32 v[18:19], 0
	v_mov_b64_e32 v[20:21], 0
	;; [unrolled: 1-line block ×4, first 2 shown]
	v_lshl_add_u64 v[26:27], s[28:29], 3, v[8:9]
	v_lshl_add_u64 v[28:29], s[2:3], 3, v[12:13]
	s_mov_b64 s[2:3], 0
	s_branch .LBB182_9
.LBB182_8:                              ;   in Loop: Header=BB182_9 Depth=2
	s_wait_xcnt 0x0
	s_or_b32 exec_lo, exec_lo, s19
	s_wait_loadcnt 0x0
	ds_store_b64 v3, v[32:33]
	s_wait_dscnt 0x0
	s_barrier_signal -1
	s_barrier_wait -1
	ds_load_b128 v[30:33], v35
	ds_load_2addr_b64 v[36:39], v34 offset1:16
	ds_load_b128 v[40:43], v35 offset:1024
	ds_load_b128 v[44:47], v35 offset:16
	;; [unrolled: 1-line block ×3, first 2 shown]
	s_add_nc_u64 s[2:3], s[2:3], 8
	s_delay_alu instid0(SALU_CYCLE_1)
	v_cmp_gt_i64_e64 s19, s[8:9], s[2:3]
	s_and_b32 vcc_lo, exec_lo, s19
	s_wait_dscnt 0x3
	v_fmac_f64_e32 v[24:25], v[36:37], v[30:31]
	v_fmac_f64_e32 v[22:23], v[38:39], v[30:31]
	s_wait_dscnt 0x2
	v_fmac_f64_e32 v[20:21], v[36:37], v[40:41]
	v_fmac_f64_e32 v[18:19], v[38:39], v[40:41]
	ds_load_2addr_b64 v[36:39], v34 offset0:32 offset1:48
	s_wait_dscnt 0x0
	v_fmac_f64_e32 v[24:25], v[36:37], v[32:33]
	v_fmac_f64_e32 v[22:23], v[38:39], v[32:33]
	v_fmac_f64_e32 v[20:21], v[36:37], v[42:43]
	v_fmac_f64_e32 v[18:19], v[38:39], v[42:43]
	ds_load_2addr_b64 v[30:33], v34 offset0:64 offset1:80
	s_wait_dscnt 0x0
	v_fmac_f64_e32 v[24:25], v[30:31], v[44:45]
	v_fmac_f64_e32 v[22:23], v[32:33], v[44:45]
	;; [unrolled: 6-line block ×3, first 2 shown]
	v_fmac_f64_e32 v[20:21], v[30:31], v[50:51]
	v_fmac_f64_e32 v[18:19], v[32:33], v[50:51]
	ds_load_b128 v[30:33], v35 offset:32
	ds_load_2addr_b64 v[36:39], v34 offset0:128 offset1:144
	ds_load_b128 v[40:43], v35 offset:1056
	ds_load_b128 v[44:47], v35 offset:48
	ds_load_b128 v[48:51], v35 offset:1072
	s_wait_dscnt 0x3
	v_fmac_f64_e32 v[24:25], v[36:37], v[30:31]
	v_fmac_f64_e32 v[22:23], v[38:39], v[30:31]
	s_wait_dscnt 0x2
	v_fmac_f64_e32 v[20:21], v[36:37], v[40:41]
	v_fmac_f64_e32 v[18:19], v[38:39], v[40:41]
	ds_load_2addr_b64 v[36:39], v34 offset0:160 offset1:176
	s_wait_dscnt 0x0
	v_fmac_f64_e32 v[24:25], v[36:37], v[32:33]
	v_fmac_f64_e32 v[22:23], v[38:39], v[32:33]
	;; [unrolled: 1-line block ×4, first 2 shown]
	ds_load_2addr_b64 v[30:33], v34 offset0:192 offset1:208
	s_wait_dscnt 0x0
	v_fmac_f64_e32 v[24:25], v[30:31], v[44:45]
	v_fmac_f64_e32 v[22:23], v[32:33], v[44:45]
	;; [unrolled: 1-line block ×4, first 2 shown]
	ds_load_2addr_b64 v[30:33], v34 offset0:224 offset1:240
	s_wait_dscnt 0x0
	s_barrier_signal -1
	s_barrier_wait -1
	v_fmac_f64_e32 v[24:25], v[30:31], v[46:47]
	v_fmac_f64_e32 v[22:23], v[32:33], v[46:47]
	;; [unrolled: 1-line block ×4, first 2 shown]
	s_cbranch_vccz .LBB182_15
.LBB182_9:                              ;   Parent Loop BB182_6 Depth=1
                                        ; =>  This Inner Loop Header: Depth=2
	v_mov_b64_e32 v[30:31], 0
	s_and_saveexec_b32 s19, s0
	s_cbranch_execz .LBB182_13
; %bb.10:                               ;   in Loop: Header=BB182_9 Depth=2
	v_mov_b64_e32 v[30:31], 0
	v_add_nc_u32_e32 v16, s2, v2
	s_mov_b32 s28, exec_lo
	s_delay_alu instid0(VALU_DEP_1)
	v_cmpx_gt_u64_e64 s[8:9], v[16:17]
	s_cbranch_execz .LBB182_12
; %bb.11:                               ;   in Loop: Header=BB182_9 Depth=2
	v_mul_u64_e32 v[30:31], s[14:15], v[16:17]
	s_delay_alu instid0(VALU_DEP_1)
	v_lshl_add_u64 v[30:31], v[30:31], 3, v[26:27]
	global_load_b64 v[30:31], v[30:31], off
.LBB182_12:                             ;   in Loop: Header=BB182_9 Depth=2
	s_wait_xcnt 0x0
	s_or_b32 exec_lo, exec_lo, s28
.LBB182_13:                             ;   in Loop: Header=BB182_9 Depth=2
	s_delay_alu instid0(SALU_CYCLE_1)
	s_or_b32 exec_lo, exec_lo, s19
	v_add_nc_u32_e32 v16, s2, v0
	v_mov_b64_e32 v[32:33], 0
	s_wait_loadcnt 0x0
	ds_store_b64 v1, v[30:31]
	v_cmp_gt_u64_e32 vcc_lo, s[8:9], v[16:17]
	s_and_b32 s28, vcc_lo, s1
	s_delay_alu instid0(SALU_CYCLE_1)
	s_and_saveexec_b32 s19, s28
	s_cbranch_execz .LBB182_8
; %bb.14:                               ;   in Loop: Header=BB182_9 Depth=2
	v_mul_u64_e32 v[30:31], s[20:21], v[16:17]
	s_delay_alu instid0(VALU_DEP_1)
	v_lshl_add_u64 v[30:31], v[30:31], 3, v[28:29]
	global_load_b64 v[32:33], v[30:31], off
	s_branch .LBB182_8
.LBB182_15:                             ;   in Loop: Header=BB182_6 Depth=1
	s_mul_u64 s[2:3], s[30:31], s[24:25]
	s_delay_alu instid0(SALU_CYCLE_1) | instskip(NEXT) | instid1(SALU_CYCLE_1)
	s_lshl_b64 s[2:3], s[2:3], 3
	s_add_nc_u64 s[2:3], s[26:27], s[2:3]
	s_delay_alu instid0(SALU_CYCLE_1)
	v_lshl_add_u64 v[26:27], v[4:5], 3, s[2:3]
	s_and_saveexec_b32 s19, s12
	s_cbranch_execz .LBB182_19
; %bb.16:                               ;   in Loop: Header=BB182_6 Depth=1
	v_mul_f64_e32 v[24:25], s[10:11], v[24:25]
	s_delay_alu instid0(VALU_DEP_2)
	v_lshl_add_u64 v[28:29], v[10:11], 3, v[26:27]
	s_and_b32 vcc_lo, exec_lo, s34
	s_cbranch_vccz .LBB182_30
; %bb.17:                               ;   in Loop: Header=BB182_6 Depth=1
	global_load_b64 v[30:31], v[28:29], off
	s_wait_loadcnt 0x0
	v_fma_f64 v[30:31], s[6:7], v[30:31], v[24:25]
	global_store_b64 v[28:29], v[30:31], off
	s_cbranch_execnz .LBB182_19
.LBB182_18:                             ;   in Loop: Header=BB182_6 Depth=1
	global_store_b64 v[28:29], v[24:25], off
.LBB182_19:                             ;   in Loop: Header=BB182_6 Depth=1
	s_wait_xcnt 0x0
	s_or_b32 exec_lo, exec_lo, s19
	s_and_saveexec_b32 s19, s18
	s_cbranch_execz .LBB182_23
; %bb.20:                               ;   in Loop: Header=BB182_6 Depth=1
	s_delay_alu instid0(VALU_DEP_4)
	v_mul_f64_e32 v[22:23], s[10:11], v[22:23]
	v_lshl_add_u64 v[24:25], v[14:15], 3, v[26:27]
	s_and_not1_b32 vcc_lo, exec_lo, s34
	s_cbranch_vccnz .LBB182_31
; %bb.21:                               ;   in Loop: Header=BB182_6 Depth=1
	global_load_b64 v[26:27], v[24:25], off
	s_wait_loadcnt 0x0
	v_fma_f64 v[26:27], s[6:7], v[26:27], v[22:23]
	global_store_b64 v[24:25], v[26:27], off
	s_cbranch_execnz .LBB182_23
.LBB182_22:                             ;   in Loop: Header=BB182_6 Depth=1
	global_store_b64 v[24:25], v[22:23], off
.LBB182_23:                             ;   in Loop: Header=BB182_6 Depth=1
	s_wait_xcnt 0x0
	s_or_b32 exec_lo, exec_lo, s19
	v_lshl_add_u64 v[22:23], v[6:7], 3, s[2:3]
	s_and_saveexec_b32 s2, s4
	s_cbranch_execz .LBB182_27
; %bb.24:                               ;   in Loop: Header=BB182_6 Depth=1
	s_delay_alu instid0(VALU_DEP_4) | instskip(NEXT) | instid1(VALU_DEP_2)
	v_mul_f64_e32 v[20:21], s[10:11], v[20:21]
	v_lshl_add_u64 v[24:25], v[10:11], 3, v[22:23]
	s_and_not1_b32 vcc_lo, exec_lo, s34
	s_cbranch_vccnz .LBB182_32
; %bb.25:                               ;   in Loop: Header=BB182_6 Depth=1
	global_load_b64 v[26:27], v[24:25], off
	s_wait_loadcnt 0x0
	v_fma_f64 v[26:27], s[6:7], v[26:27], v[20:21]
	global_store_b64 v[24:25], v[26:27], off
	s_cbranch_execnz .LBB182_27
.LBB182_26:                             ;   in Loop: Header=BB182_6 Depth=1
	global_store_b64 v[24:25], v[20:21], off
.LBB182_27:                             ;   in Loop: Header=BB182_6 Depth=1
	s_wait_xcnt 0x0
	s_or_b32 exec_lo, exec_lo, s2
	s_and_saveexec_b32 s2, s5
	s_cbranch_execz .LBB182_5
; %bb.28:                               ;   in Loop: Header=BB182_6 Depth=1
	s_delay_alu instid0(VALU_DEP_3)
	v_mul_f64_e32 v[18:19], s[10:11], v[18:19]
	v_lshl_add_u64 v[20:21], v[14:15], 3, v[22:23]
	s_and_not1_b32 vcc_lo, exec_lo, s34
	s_cbranch_vccnz .LBB182_33
; %bb.29:                               ;   in Loop: Header=BB182_6 Depth=1
	global_load_b64 v[22:23], v[20:21], off
	s_wait_loadcnt 0x0
	v_fma_f64 v[22:23], s[6:7], v[22:23], v[18:19]
	global_store_b64 v[20:21], v[22:23], off
	s_cbranch_execnz .LBB182_5
	s_branch .LBB182_34
.LBB182_30:                             ;   in Loop: Header=BB182_6 Depth=1
	s_branch .LBB182_18
.LBB182_31:                             ;   in Loop: Header=BB182_6 Depth=1
	s_branch .LBB182_22
.LBB182_32:                             ;   in Loop: Header=BB182_6 Depth=1
	s_branch .LBB182_26
.LBB182_33:                             ;   in Loop: Header=BB182_6 Depth=1
.LBB182_34:                             ;   in Loop: Header=BB182_6 Depth=1
	global_store_b64 v[20:21], v[18:19], off
	s_branch .LBB182_5
.LBB182_35:
	s_endpgm
	.section	.rodata,"a",@progbits
	.p2align	6, 0x0
	.amdhsa_kernel _ZL29rocblas_internal_gemmt_kernelIlLi16ELi32ELi8ELc78ELc67ELc85ELb0ELb0EdPKdS1_PdEviT_T9_T10_S3_lS5_S3_lS4_T11_S3_li
		.amdhsa_group_segment_fixed_size 4096
		.amdhsa_private_segment_fixed_size 0
		.amdhsa_kernarg_size 108
		.amdhsa_user_sgpr_count 2
		.amdhsa_user_sgpr_dispatch_ptr 0
		.amdhsa_user_sgpr_queue_ptr 0
		.amdhsa_user_sgpr_kernarg_segment_ptr 1
		.amdhsa_user_sgpr_dispatch_id 0
		.amdhsa_user_sgpr_kernarg_preload_length 0
		.amdhsa_user_sgpr_kernarg_preload_offset 0
		.amdhsa_user_sgpr_private_segment_size 0
		.amdhsa_wavefront_size32 1
		.amdhsa_uses_dynamic_stack 0
		.amdhsa_enable_private_segment 0
		.amdhsa_system_sgpr_workgroup_id_x 1
		.amdhsa_system_sgpr_workgroup_id_y 1
		.amdhsa_system_sgpr_workgroup_id_z 1
		.amdhsa_system_sgpr_workgroup_info 0
		.amdhsa_system_vgpr_workitem_id 1
		.amdhsa_next_free_vgpr 52
		.amdhsa_next_free_sgpr 36
		.amdhsa_named_barrier_count 0
		.amdhsa_reserve_vcc 1
		.amdhsa_float_round_mode_32 0
		.amdhsa_float_round_mode_16_64 0
		.amdhsa_float_denorm_mode_32 3
		.amdhsa_float_denorm_mode_16_64 3
		.amdhsa_fp16_overflow 0
		.amdhsa_memory_ordered 1
		.amdhsa_forward_progress 1
		.amdhsa_inst_pref_size 13
		.amdhsa_round_robin_scheduling 0
		.amdhsa_exception_fp_ieee_invalid_op 0
		.amdhsa_exception_fp_denorm_src 0
		.amdhsa_exception_fp_ieee_div_zero 0
		.amdhsa_exception_fp_ieee_overflow 0
		.amdhsa_exception_fp_ieee_underflow 0
		.amdhsa_exception_fp_ieee_inexact 0
		.amdhsa_exception_int_div_zero 0
	.end_amdhsa_kernel
	.section	.text._ZL29rocblas_internal_gemmt_kernelIlLi16ELi32ELi8ELc78ELc67ELc85ELb0ELb0EdPKdS1_PdEviT_T9_T10_S3_lS5_S3_lS4_T11_S3_li,"axG",@progbits,_ZL29rocblas_internal_gemmt_kernelIlLi16ELi32ELi8ELc78ELc67ELc85ELb0ELb0EdPKdS1_PdEviT_T9_T10_S3_lS5_S3_lS4_T11_S3_li,comdat
.Lfunc_end182:
	.size	_ZL29rocblas_internal_gemmt_kernelIlLi16ELi32ELi8ELc78ELc67ELc85ELb0ELb0EdPKdS1_PdEviT_T9_T10_S3_lS5_S3_lS4_T11_S3_li, .Lfunc_end182-_ZL29rocblas_internal_gemmt_kernelIlLi16ELi32ELi8ELc78ELc67ELc85ELb0ELb0EdPKdS1_PdEviT_T9_T10_S3_lS5_S3_lS4_T11_S3_li
                                        ; -- End function
	.set _ZL29rocblas_internal_gemmt_kernelIlLi16ELi32ELi8ELc78ELc67ELc85ELb0ELb0EdPKdS1_PdEviT_T9_T10_S3_lS5_S3_lS4_T11_S3_li.num_vgpr, 52
	.set _ZL29rocblas_internal_gemmt_kernelIlLi16ELi32ELi8ELc78ELc67ELc85ELb0ELb0EdPKdS1_PdEviT_T9_T10_S3_lS5_S3_lS4_T11_S3_li.num_agpr, 0
	.set _ZL29rocblas_internal_gemmt_kernelIlLi16ELi32ELi8ELc78ELc67ELc85ELb0ELb0EdPKdS1_PdEviT_T9_T10_S3_lS5_S3_lS4_T11_S3_li.numbered_sgpr, 36
	.set _ZL29rocblas_internal_gemmt_kernelIlLi16ELi32ELi8ELc78ELc67ELc85ELb0ELb0EdPKdS1_PdEviT_T9_T10_S3_lS5_S3_lS4_T11_S3_li.num_named_barrier, 0
	.set _ZL29rocblas_internal_gemmt_kernelIlLi16ELi32ELi8ELc78ELc67ELc85ELb0ELb0EdPKdS1_PdEviT_T9_T10_S3_lS5_S3_lS4_T11_S3_li.private_seg_size, 0
	.set _ZL29rocblas_internal_gemmt_kernelIlLi16ELi32ELi8ELc78ELc67ELc85ELb0ELb0EdPKdS1_PdEviT_T9_T10_S3_lS5_S3_lS4_T11_S3_li.uses_vcc, 1
	.set _ZL29rocblas_internal_gemmt_kernelIlLi16ELi32ELi8ELc78ELc67ELc85ELb0ELb0EdPKdS1_PdEviT_T9_T10_S3_lS5_S3_lS4_T11_S3_li.uses_flat_scratch, 0
	.set _ZL29rocblas_internal_gemmt_kernelIlLi16ELi32ELi8ELc78ELc67ELc85ELb0ELb0EdPKdS1_PdEviT_T9_T10_S3_lS5_S3_lS4_T11_S3_li.has_dyn_sized_stack, 0
	.set _ZL29rocblas_internal_gemmt_kernelIlLi16ELi32ELi8ELc78ELc67ELc85ELb0ELb0EdPKdS1_PdEviT_T9_T10_S3_lS5_S3_lS4_T11_S3_li.has_recursion, 0
	.set _ZL29rocblas_internal_gemmt_kernelIlLi16ELi32ELi8ELc78ELc67ELc85ELb0ELb0EdPKdS1_PdEviT_T9_T10_S3_lS5_S3_lS4_T11_S3_li.has_indirect_call, 0
	.section	.AMDGPU.csdata,"",@progbits
; Kernel info:
; codeLenInByte = 1616
; TotalNumSgprs: 38
; NumVgprs: 52
; ScratchSize: 0
; MemoryBound: 0
; FloatMode: 240
; IeeeMode: 1
; LDSByteSize: 4096 bytes/workgroup (compile time only)
; SGPRBlocks: 0
; VGPRBlocks: 3
; NumSGPRsForWavesPerEU: 38
; NumVGPRsForWavesPerEU: 52
; NamedBarCnt: 0
; Occupancy: 16
; WaveLimiterHint : 0
; COMPUTE_PGM_RSRC2:SCRATCH_EN: 0
; COMPUTE_PGM_RSRC2:USER_SGPR: 2
; COMPUTE_PGM_RSRC2:TRAP_HANDLER: 0
; COMPUTE_PGM_RSRC2:TGID_X_EN: 1
; COMPUTE_PGM_RSRC2:TGID_Y_EN: 1
; COMPUTE_PGM_RSRC2:TGID_Z_EN: 1
; COMPUTE_PGM_RSRC2:TIDIG_COMP_CNT: 1
	.section	.text._ZL29rocblas_internal_gemmt_kernelIlLi16ELi32ELi8ELc84ELc78ELc85ELb0ELb0EdPKdS1_PdEviT_T9_T10_S3_lS5_S3_lS4_T11_S3_li,"axG",@progbits,_ZL29rocblas_internal_gemmt_kernelIlLi16ELi32ELi8ELc84ELc78ELc85ELb0ELb0EdPKdS1_PdEviT_T9_T10_S3_lS5_S3_lS4_T11_S3_li,comdat
	.globl	_ZL29rocblas_internal_gemmt_kernelIlLi16ELi32ELi8ELc84ELc78ELc85ELb0ELb0EdPKdS1_PdEviT_T9_T10_S3_lS5_S3_lS4_T11_S3_li ; -- Begin function _ZL29rocblas_internal_gemmt_kernelIlLi16ELi32ELi8ELc84ELc78ELc85ELb0ELb0EdPKdS1_PdEviT_T9_T10_S3_lS5_S3_lS4_T11_S3_li
	.p2align	8
	.type	_ZL29rocblas_internal_gemmt_kernelIlLi16ELi32ELi8ELc84ELc78ELc85ELb0ELb0EdPKdS1_PdEviT_T9_T10_S3_lS5_S3_lS4_T11_S3_li,@function
_ZL29rocblas_internal_gemmt_kernelIlLi16ELi32ELi8ELc84ELc78ELc85ELb0ELb0EdPKdS1_PdEviT_T9_T10_S3_lS5_S3_lS4_T11_S3_li: ; @_ZL29rocblas_internal_gemmt_kernelIlLi16ELi32ELi8ELc84ELc78ELc85ELb0ELb0EdPKdS1_PdEviT_T9_T10_S3_lS5_S3_lS4_T11_S3_li
; %bb.0:
	s_load_b256 s[24:31], s[0:1], 0x48
	s_wait_kmcnt 0x0
	s_load_b64 s[6:7], s[24:25], 0x0
	s_load_b512 s[8:23], s[0:1], 0x8
	s_wait_kmcnt 0x0
	v_cmp_neq_f64_e64 s2, s[6:7], 1.0
	s_load_b64 s[10:11], s[10:11], 0x0
	s_and_b32 vcc_lo, exec_lo, s2
	s_cbranch_vccnz .LBB183_2
; %bb.1:
	s_wait_kmcnt 0x0
	v_cmp_neq_f64_e64 s2, s[10:11], 0
	s_cmp_lg_u64 s[8:9], 0
	s_cselect_b32 s3, -1, 0
	s_delay_alu instid0(SALU_CYCLE_1)
	s_and_b32 s2, s3, s2
.LBB183_2:
	s_delay_alu instid0(SALU_CYCLE_1)
	s_and_not1_b32 vcc_lo, exec_lo, s2
	s_cbranch_vccnz .LBB183_35
; %bb.3:
	s_load_b32 s33, s[0:1], 0x68
	s_bfe_u32 s2, ttmp6, 0x40014
	s_lshr_b32 s3, ttmp7, 16
	s_add_co_i32 s2, s2, 1
	s_bfe_u32 s5, ttmp6, 0x40008
	s_mul_i32 s4, s3, s2
	s_getreg_b32 s2, hwreg(HW_REG_IB_STS2, 6, 4)
	s_add_co_i32 s5, s5, s4
	s_cmp_eq_u32 s2, 0
	s_mov_b32 s25, 0
	s_cselect_b32 s24, s3, s5
	s_wait_kmcnt 0x0
	s_cmp_ge_u32 s24, s33
	s_cbranch_scc1 .LBB183_35
; %bb.4:
	v_and_b32_e32 v6, 0x3ff, v0
	v_bfe_u32 v7, v0, 10, 10
	s_bfe_u32 s4, ttmp6, 0x4000c
	s_bfe_u32 s34, ttmp6, 0x40010
	s_and_b32 s5, ttmp7, 0xffff
	s_add_co_i32 s4, s4, 1
	s_add_co_i32 s34, s34, 1
	v_lshl_add_u32 v8, v7, 4, v6
	s_and_b32 s3, ttmp6, 15
	s_mul_i32 s4, ttmp9, s4
	s_mul_i32 s34, s5, s34
	s_bfe_u32 s35, ttmp6, 0x40004
	s_add_co_i32 s3, s3, s4
	s_add_co_i32 s35, s35, s34
	s_cmp_eq_u32 s2, 0
	v_dual_lshrrev_b32 v10, 3, v8 :: v_dual_bitop2_b32 v11, 31, v8 bitop3:0x40
	s_cselect_b32 s2, ttmp9, s3
	s_cselect_b32 s3, s5, s35
	s_lshl_b32 s2, s2, 5
	s_lshl_b32 s3, s3, 5
	s_delay_alu instid0(SALU_CYCLE_1) | instskip(SKIP_3) | instid1(VALU_DEP_3)
	v_dual_add_nc_u32 v14, s3, v10 :: v_dual_bitop2_b32 v12, s2, v11 bitop3:0x54
	v_add_nc_u32_e32 v16, s3, v7
	s_load_b32 s4, s[0:1], 0x0
	v_dual_lshlrev_b32 v1, 3, v6 :: v_dual_bitop2_b32 v0, 7, v0 bitop3:0x40
	v_dual_ashrrev_i32 v13, 31, v12 :: v_dual_ashrrev_i32 v15, 31, v14
	s_delay_alu instid0(VALU_DEP_3) | instskip(SKIP_1) | instid1(VALU_DEP_3)
	v_dual_add_nc_u32 v22, 16, v16 :: v_dual_add_nc_u32 v6, s2, v6
	v_lshl_add_u32 v9, v7, 6, 0x800
	v_mul_u64_e32 v[18:19], s[14:15], v[12:13]
	s_delay_alu instid0(VALU_DEP_4) | instskip(NEXT) | instid1(VALU_DEP_4)
	v_mul_u64_e32 v[20:21], s[20:21], v[14:15]
	v_dual_ashrrev_i32 v23, 31, v22 :: v_dual_ashrrev_i32 v17, 31, v16
	v_cmp_neq_f64_e64 s20, s[10:11], 0
	v_cmp_neq_f64_e64 s14, s[6:7], 0
	v_lshlrev_b32_e32 v13, 3, v0
	s_delay_alu instid0(VALU_DEP_4)
	v_mul_u64_e32 v[4:5], s[28:29], v[22:23]
	v_mul_u64_e32 v[2:3], s[28:29], v[16:17]
	v_cmp_le_i32_e32 vcc_lo, v6, v16
	v_ashrrev_i32_e32 v7, 31, v6
	v_lshl_or_b32 v13, v10, 6, v13
	v_add_nc_u32_e32 v10, 16, v6
	s_wait_kmcnt 0x0
	v_cmp_gt_i32_e64 s2, s4, v16
	v_dual_lshrrev_b32 v8, 5, v8 :: v_dual_lshlrev_b32 v11, 3, v11
	v_cmp_gt_i64_e64 s21, s[8:9], 0
	v_cmp_gt_i32_e64 s0, s4, v12
	v_cmp_gt_i32_e64 s1, s4, v14
	v_cmp_le_i32_e64 s3, v10, v16
	s_and_b32 s15, s2, vcc_lo
	v_cmp_gt_i32_e32 vcc_lo, s4, v22
	v_cmp_le_i32_e64 s4, v6, v22
	v_cmp_le_i32_e64 s5, v10, v22
	v_lshl_or_b32 v34, v8, 8, v11
	v_add_nc_u32_e32 v35, 0x800, v13
	v_dual_ashrrev_i32 v11, 31, v10 :: v_dual_mov_b32 v17, 0
	s_and_b32 s4, vcc_lo, s4
	s_and_b32 s5, vcc_lo, s5
	v_lshl_add_u64 v[12:13], v[18:19], 3, s[12:13]
	v_lshl_add_u64 v[14:15], v[20:21], 3, s[18:19]
	s_and_b32 s13, s2, s3
	s_and_b32 s12, s20, s21
	s_branch .LBB183_6
.LBB183_5:                              ;   in Loop: Header=BB183_6 Depth=1
	s_wait_xcnt 0x0
	s_or_b32 exec_lo, exec_lo, s2
	s_add_co_i32 s24, s24, 0x10000
	s_delay_alu instid0(SALU_CYCLE_1)
	s_cmp_lt_u32 s24, s33
	s_cbranch_scc0 .LBB183_35
.LBB183_6:                              ; =>This Loop Header: Depth=1
                                        ;     Child Loop BB183_9 Depth 2
	v_mov_b64_e32 v[24:25], 0
	v_mov_b64_e32 v[22:23], 0
	;; [unrolled: 1-line block ×4, first 2 shown]
	s_and_not1_b32 vcc_lo, exec_lo, s12
	s_cbranch_vccnz .LBB183_15
; %bb.7:                                ;   in Loop: Header=BB183_6 Depth=1
	s_mul_u64 s[2:3], s[22:23], s[24:25]
	s_mul_u64 s[18:19], s[16:17], s[24:25]
	v_mov_b64_e32 v[18:19], 0
	v_mov_b64_e32 v[20:21], 0
	;; [unrolled: 1-line block ×4, first 2 shown]
	v_lshl_add_u64 v[26:27], s[18:19], 3, v[12:13]
	v_lshl_add_u64 v[28:29], s[2:3], 3, v[14:15]
	s_mov_b64 s[2:3], 0
	s_branch .LBB183_9
.LBB183_8:                              ;   in Loop: Header=BB183_9 Depth=2
	s_wait_xcnt 0x0
	s_or_b32 exec_lo, exec_lo, s18
	s_wait_loadcnt 0x0
	ds_store_b64 v35, v[32:33]
	s_wait_dscnt 0x0
	s_barrier_signal -1
	s_barrier_wait -1
	ds_load_b128 v[30:33], v9
	ds_load_2addr_b64 v[36:39], v1 offset1:16
	ds_load_b128 v[40:43], v9 offset:1024
	ds_load_b128 v[44:47], v9 offset:16
	;; [unrolled: 1-line block ×3, first 2 shown]
	s_add_nc_u64 s[2:3], s[2:3], 8
	s_delay_alu instid0(SALU_CYCLE_1)
	v_cmp_gt_i64_e64 s18, s[8:9], s[2:3]
	s_and_b32 vcc_lo, exec_lo, s18
	s_wait_dscnt 0x3
	v_fmac_f64_e32 v[24:25], v[36:37], v[30:31]
	v_fmac_f64_e32 v[22:23], v[38:39], v[30:31]
	s_wait_dscnt 0x2
	v_fmac_f64_e32 v[20:21], v[36:37], v[40:41]
	v_fmac_f64_e32 v[18:19], v[38:39], v[40:41]
	ds_load_2addr_b64 v[36:39], v1 offset0:32 offset1:48
	s_wait_dscnt 0x0
	v_fmac_f64_e32 v[24:25], v[36:37], v[32:33]
	v_fmac_f64_e32 v[22:23], v[38:39], v[32:33]
	v_fmac_f64_e32 v[20:21], v[36:37], v[42:43]
	v_fmac_f64_e32 v[18:19], v[38:39], v[42:43]
	ds_load_2addr_b64 v[30:33], v1 offset0:64 offset1:80
	s_wait_dscnt 0x0
	v_fmac_f64_e32 v[24:25], v[30:31], v[44:45]
	v_fmac_f64_e32 v[22:23], v[32:33], v[44:45]
	;; [unrolled: 6-line block ×3, first 2 shown]
	v_fmac_f64_e32 v[20:21], v[30:31], v[50:51]
	v_fmac_f64_e32 v[18:19], v[32:33], v[50:51]
	ds_load_b128 v[30:33], v9 offset:32
	ds_load_2addr_b64 v[36:39], v1 offset0:128 offset1:144
	ds_load_b128 v[40:43], v9 offset:1056
	ds_load_b128 v[44:47], v9 offset:48
	;; [unrolled: 1-line block ×3, first 2 shown]
	s_wait_dscnt 0x3
	v_fmac_f64_e32 v[24:25], v[36:37], v[30:31]
	v_fmac_f64_e32 v[22:23], v[38:39], v[30:31]
	s_wait_dscnt 0x2
	v_fmac_f64_e32 v[20:21], v[36:37], v[40:41]
	v_fmac_f64_e32 v[18:19], v[38:39], v[40:41]
	ds_load_2addr_b64 v[36:39], v1 offset0:160 offset1:176
	s_wait_dscnt 0x0
	v_fmac_f64_e32 v[24:25], v[36:37], v[32:33]
	v_fmac_f64_e32 v[22:23], v[38:39], v[32:33]
	;; [unrolled: 1-line block ×4, first 2 shown]
	ds_load_2addr_b64 v[30:33], v1 offset0:192 offset1:208
	s_wait_dscnt 0x0
	v_fmac_f64_e32 v[24:25], v[30:31], v[44:45]
	v_fmac_f64_e32 v[22:23], v[32:33], v[44:45]
	;; [unrolled: 1-line block ×4, first 2 shown]
	ds_load_2addr_b64 v[30:33], v1 offset0:224 offset1:240
	s_wait_dscnt 0x0
	s_barrier_signal -1
	s_barrier_wait -1
	v_fmac_f64_e32 v[24:25], v[30:31], v[46:47]
	v_fmac_f64_e32 v[22:23], v[32:33], v[46:47]
	;; [unrolled: 1-line block ×4, first 2 shown]
	s_cbranch_vccz .LBB183_15
.LBB183_9:                              ;   Parent Loop BB183_6 Depth=1
                                        ; =>  This Inner Loop Header: Depth=2
	v_mov_b64_e32 v[30:31], 0
	s_and_saveexec_b32 s18, s0
	s_cbranch_execz .LBB183_13
; %bb.10:                               ;   in Loop: Header=BB183_9 Depth=2
	v_mov_b64_e32 v[30:31], 0
	v_add_nc_u32_e32 v16, s2, v8
	s_mov_b32 s19, exec_lo
	s_delay_alu instid0(VALU_DEP_1)
	v_cmpx_gt_u64_e64 s[8:9], v[16:17]
	s_cbranch_execz .LBB183_12
; %bb.11:                               ;   in Loop: Header=BB183_9 Depth=2
	v_lshl_add_u64 v[30:31], v[16:17], 3, v[26:27]
	global_load_b64 v[30:31], v[30:31], off
.LBB183_12:                             ;   in Loop: Header=BB183_9 Depth=2
	s_wait_xcnt 0x0
	s_or_b32 exec_lo, exec_lo, s19
.LBB183_13:                             ;   in Loop: Header=BB183_9 Depth=2
	s_delay_alu instid0(SALU_CYCLE_1)
	s_or_b32 exec_lo, exec_lo, s18
	v_add_nc_u32_e32 v16, s2, v0
	v_mov_b64_e32 v[32:33], 0
	s_wait_loadcnt 0x0
	ds_store_b64 v34, v[30:31]
	v_cmp_gt_u64_e32 vcc_lo, s[8:9], v[16:17]
	s_and_b32 s19, vcc_lo, s1
	s_delay_alu instid0(SALU_CYCLE_1)
	s_and_saveexec_b32 s18, s19
	s_cbranch_execz .LBB183_8
; %bb.14:                               ;   in Loop: Header=BB183_9 Depth=2
	v_lshl_add_u64 v[30:31], v[16:17], 3, v[28:29]
	global_load_b64 v[32:33], v[30:31], off
	s_branch .LBB183_8
.LBB183_15:                             ;   in Loop: Header=BB183_6 Depth=1
	s_mul_u64 s[2:3], s[30:31], s[24:25]
	s_delay_alu instid0(SALU_CYCLE_1) | instskip(NEXT) | instid1(SALU_CYCLE_1)
	s_lshl_b64 s[2:3], s[2:3], 3
	s_add_nc_u64 s[2:3], s[26:27], s[2:3]
	s_delay_alu instid0(SALU_CYCLE_1)
	v_lshl_add_u64 v[26:27], v[2:3], 3, s[2:3]
	s_and_saveexec_b32 s18, s15
	s_cbranch_execz .LBB183_19
; %bb.16:                               ;   in Loop: Header=BB183_6 Depth=1
	v_mul_f64_e32 v[24:25], s[10:11], v[24:25]
	s_delay_alu instid0(VALU_DEP_2)
	v_lshl_add_u64 v[28:29], v[6:7], 3, v[26:27]
	s_and_b32 vcc_lo, exec_lo, s14
	s_cbranch_vccz .LBB183_30
; %bb.17:                               ;   in Loop: Header=BB183_6 Depth=1
	global_load_b64 v[30:31], v[28:29], off
	s_wait_loadcnt 0x0
	v_fma_f64 v[30:31], s[6:7], v[30:31], v[24:25]
	global_store_b64 v[28:29], v[30:31], off
	s_cbranch_execnz .LBB183_19
.LBB183_18:                             ;   in Loop: Header=BB183_6 Depth=1
	global_store_b64 v[28:29], v[24:25], off
.LBB183_19:                             ;   in Loop: Header=BB183_6 Depth=1
	s_wait_xcnt 0x0
	s_or_b32 exec_lo, exec_lo, s18
	s_and_saveexec_b32 s18, s13
	s_cbranch_execz .LBB183_23
; %bb.20:                               ;   in Loop: Header=BB183_6 Depth=1
	s_delay_alu instid0(VALU_DEP_4)
	v_mul_f64_e32 v[22:23], s[10:11], v[22:23]
	v_lshl_add_u64 v[24:25], v[10:11], 3, v[26:27]
	s_and_not1_b32 vcc_lo, exec_lo, s14
	s_cbranch_vccnz .LBB183_31
; %bb.21:                               ;   in Loop: Header=BB183_6 Depth=1
	global_load_b64 v[26:27], v[24:25], off
	s_wait_loadcnt 0x0
	v_fma_f64 v[26:27], s[6:7], v[26:27], v[22:23]
	global_store_b64 v[24:25], v[26:27], off
	s_cbranch_execnz .LBB183_23
.LBB183_22:                             ;   in Loop: Header=BB183_6 Depth=1
	global_store_b64 v[24:25], v[22:23], off
.LBB183_23:                             ;   in Loop: Header=BB183_6 Depth=1
	s_wait_xcnt 0x0
	s_or_b32 exec_lo, exec_lo, s18
	v_lshl_add_u64 v[22:23], v[4:5], 3, s[2:3]
	s_and_saveexec_b32 s2, s4
	s_cbranch_execz .LBB183_27
; %bb.24:                               ;   in Loop: Header=BB183_6 Depth=1
	s_delay_alu instid0(VALU_DEP_4) | instskip(NEXT) | instid1(VALU_DEP_2)
	v_mul_f64_e32 v[20:21], s[10:11], v[20:21]
	v_lshl_add_u64 v[24:25], v[6:7], 3, v[22:23]
	s_and_not1_b32 vcc_lo, exec_lo, s14
	s_cbranch_vccnz .LBB183_32
; %bb.25:                               ;   in Loop: Header=BB183_6 Depth=1
	global_load_b64 v[26:27], v[24:25], off
	s_wait_loadcnt 0x0
	v_fma_f64 v[26:27], s[6:7], v[26:27], v[20:21]
	global_store_b64 v[24:25], v[26:27], off
	s_cbranch_execnz .LBB183_27
.LBB183_26:                             ;   in Loop: Header=BB183_6 Depth=1
	global_store_b64 v[24:25], v[20:21], off
.LBB183_27:                             ;   in Loop: Header=BB183_6 Depth=1
	s_wait_xcnt 0x0
	s_or_b32 exec_lo, exec_lo, s2
	s_and_saveexec_b32 s2, s5
	s_cbranch_execz .LBB183_5
; %bb.28:                               ;   in Loop: Header=BB183_6 Depth=1
	s_delay_alu instid0(VALU_DEP_3)
	v_mul_f64_e32 v[18:19], s[10:11], v[18:19]
	v_lshl_add_u64 v[20:21], v[10:11], 3, v[22:23]
	s_and_not1_b32 vcc_lo, exec_lo, s14
	s_cbranch_vccnz .LBB183_33
; %bb.29:                               ;   in Loop: Header=BB183_6 Depth=1
	global_load_b64 v[22:23], v[20:21], off
	s_wait_loadcnt 0x0
	v_fma_f64 v[22:23], s[6:7], v[22:23], v[18:19]
	global_store_b64 v[20:21], v[22:23], off
	s_cbranch_execnz .LBB183_5
	s_branch .LBB183_34
.LBB183_30:                             ;   in Loop: Header=BB183_6 Depth=1
	s_branch .LBB183_18
.LBB183_31:                             ;   in Loop: Header=BB183_6 Depth=1
	s_branch .LBB183_22
.LBB183_32:                             ;   in Loop: Header=BB183_6 Depth=1
	s_branch .LBB183_26
.LBB183_33:                             ;   in Loop: Header=BB183_6 Depth=1
.LBB183_34:                             ;   in Loop: Header=BB183_6 Depth=1
	global_store_b64 v[20:21], v[18:19], off
	s_branch .LBB183_5
.LBB183_35:
	s_endpgm
	.section	.rodata,"a",@progbits
	.p2align	6, 0x0
	.amdhsa_kernel _ZL29rocblas_internal_gemmt_kernelIlLi16ELi32ELi8ELc84ELc78ELc85ELb0ELb0EdPKdS1_PdEviT_T9_T10_S3_lS5_S3_lS4_T11_S3_li
		.amdhsa_group_segment_fixed_size 4096
		.amdhsa_private_segment_fixed_size 0
		.amdhsa_kernarg_size 108
		.amdhsa_user_sgpr_count 2
		.amdhsa_user_sgpr_dispatch_ptr 0
		.amdhsa_user_sgpr_queue_ptr 0
		.amdhsa_user_sgpr_kernarg_segment_ptr 1
		.amdhsa_user_sgpr_dispatch_id 0
		.amdhsa_user_sgpr_kernarg_preload_length 0
		.amdhsa_user_sgpr_kernarg_preload_offset 0
		.amdhsa_user_sgpr_private_segment_size 0
		.amdhsa_wavefront_size32 1
		.amdhsa_uses_dynamic_stack 0
		.amdhsa_enable_private_segment 0
		.amdhsa_system_sgpr_workgroup_id_x 1
		.amdhsa_system_sgpr_workgroup_id_y 1
		.amdhsa_system_sgpr_workgroup_id_z 1
		.amdhsa_system_sgpr_workgroup_info 0
		.amdhsa_system_vgpr_workitem_id 1
		.amdhsa_next_free_vgpr 52
		.amdhsa_next_free_sgpr 36
		.amdhsa_named_barrier_count 0
		.amdhsa_reserve_vcc 1
		.amdhsa_float_round_mode_32 0
		.amdhsa_float_round_mode_16_64 0
		.amdhsa_float_denorm_mode_32 3
		.amdhsa_float_denorm_mode_16_64 3
		.amdhsa_fp16_overflow 0
		.amdhsa_memory_ordered 1
		.amdhsa_forward_progress 1
		.amdhsa_inst_pref_size 13
		.amdhsa_round_robin_scheduling 0
		.amdhsa_exception_fp_ieee_invalid_op 0
		.amdhsa_exception_fp_denorm_src 0
		.amdhsa_exception_fp_ieee_div_zero 0
		.amdhsa_exception_fp_ieee_overflow 0
		.amdhsa_exception_fp_ieee_underflow 0
		.amdhsa_exception_fp_ieee_inexact 0
		.amdhsa_exception_int_div_zero 0
	.end_amdhsa_kernel
	.section	.text._ZL29rocblas_internal_gemmt_kernelIlLi16ELi32ELi8ELc84ELc78ELc85ELb0ELb0EdPKdS1_PdEviT_T9_T10_S3_lS5_S3_lS4_T11_S3_li,"axG",@progbits,_ZL29rocblas_internal_gemmt_kernelIlLi16ELi32ELi8ELc84ELc78ELc85ELb0ELb0EdPKdS1_PdEviT_T9_T10_S3_lS5_S3_lS4_T11_S3_li,comdat
.Lfunc_end183:
	.size	_ZL29rocblas_internal_gemmt_kernelIlLi16ELi32ELi8ELc84ELc78ELc85ELb0ELb0EdPKdS1_PdEviT_T9_T10_S3_lS5_S3_lS4_T11_S3_li, .Lfunc_end183-_ZL29rocblas_internal_gemmt_kernelIlLi16ELi32ELi8ELc84ELc78ELc85ELb0ELb0EdPKdS1_PdEviT_T9_T10_S3_lS5_S3_lS4_T11_S3_li
                                        ; -- End function
	.set _ZL29rocblas_internal_gemmt_kernelIlLi16ELi32ELi8ELc84ELc78ELc85ELb0ELb0EdPKdS1_PdEviT_T9_T10_S3_lS5_S3_lS4_T11_S3_li.num_vgpr, 52
	.set _ZL29rocblas_internal_gemmt_kernelIlLi16ELi32ELi8ELc84ELc78ELc85ELb0ELb0EdPKdS1_PdEviT_T9_T10_S3_lS5_S3_lS4_T11_S3_li.num_agpr, 0
	.set _ZL29rocblas_internal_gemmt_kernelIlLi16ELi32ELi8ELc84ELc78ELc85ELb0ELb0EdPKdS1_PdEviT_T9_T10_S3_lS5_S3_lS4_T11_S3_li.numbered_sgpr, 36
	.set _ZL29rocblas_internal_gemmt_kernelIlLi16ELi32ELi8ELc84ELc78ELc85ELb0ELb0EdPKdS1_PdEviT_T9_T10_S3_lS5_S3_lS4_T11_S3_li.num_named_barrier, 0
	.set _ZL29rocblas_internal_gemmt_kernelIlLi16ELi32ELi8ELc84ELc78ELc85ELb0ELb0EdPKdS1_PdEviT_T9_T10_S3_lS5_S3_lS4_T11_S3_li.private_seg_size, 0
	.set _ZL29rocblas_internal_gemmt_kernelIlLi16ELi32ELi8ELc84ELc78ELc85ELb0ELb0EdPKdS1_PdEviT_T9_T10_S3_lS5_S3_lS4_T11_S3_li.uses_vcc, 1
	.set _ZL29rocblas_internal_gemmt_kernelIlLi16ELi32ELi8ELc84ELc78ELc85ELb0ELb0EdPKdS1_PdEviT_T9_T10_S3_lS5_S3_lS4_T11_S3_li.uses_flat_scratch, 0
	.set _ZL29rocblas_internal_gemmt_kernelIlLi16ELi32ELi8ELc84ELc78ELc85ELb0ELb0EdPKdS1_PdEviT_T9_T10_S3_lS5_S3_lS4_T11_S3_li.has_dyn_sized_stack, 0
	.set _ZL29rocblas_internal_gemmt_kernelIlLi16ELi32ELi8ELc84ELc78ELc85ELb0ELb0EdPKdS1_PdEviT_T9_T10_S3_lS5_S3_lS4_T11_S3_li.has_recursion, 0
	.set _ZL29rocblas_internal_gemmt_kernelIlLi16ELi32ELi8ELc84ELc78ELc85ELb0ELb0EdPKdS1_PdEviT_T9_T10_S3_lS5_S3_lS4_T11_S3_li.has_indirect_call, 0
	.section	.AMDGPU.csdata,"",@progbits
; Kernel info:
; codeLenInByte = 1600
; TotalNumSgprs: 38
; NumVgprs: 52
; ScratchSize: 0
; MemoryBound: 0
; FloatMode: 240
; IeeeMode: 1
; LDSByteSize: 4096 bytes/workgroup (compile time only)
; SGPRBlocks: 0
; VGPRBlocks: 3
; NumSGPRsForWavesPerEU: 38
; NumVGPRsForWavesPerEU: 52
; NamedBarCnt: 0
; Occupancy: 16
; WaveLimiterHint : 0
; COMPUTE_PGM_RSRC2:SCRATCH_EN: 0
; COMPUTE_PGM_RSRC2:USER_SGPR: 2
; COMPUTE_PGM_RSRC2:TRAP_HANDLER: 0
; COMPUTE_PGM_RSRC2:TGID_X_EN: 1
; COMPUTE_PGM_RSRC2:TGID_Y_EN: 1
; COMPUTE_PGM_RSRC2:TGID_Z_EN: 1
; COMPUTE_PGM_RSRC2:TIDIG_COMP_CNT: 1
	.section	.text._ZL29rocblas_internal_gemmt_kernelIlLi16ELi32ELi8ELc84ELc84ELc85ELb0ELb0EdPKdS1_PdEviT_T9_T10_S3_lS5_S3_lS4_T11_S3_li,"axG",@progbits,_ZL29rocblas_internal_gemmt_kernelIlLi16ELi32ELi8ELc84ELc84ELc85ELb0ELb0EdPKdS1_PdEviT_T9_T10_S3_lS5_S3_lS4_T11_S3_li,comdat
	.globl	_ZL29rocblas_internal_gemmt_kernelIlLi16ELi32ELi8ELc84ELc84ELc85ELb0ELb0EdPKdS1_PdEviT_T9_T10_S3_lS5_S3_lS4_T11_S3_li ; -- Begin function _ZL29rocblas_internal_gemmt_kernelIlLi16ELi32ELi8ELc84ELc84ELc85ELb0ELb0EdPKdS1_PdEviT_T9_T10_S3_lS5_S3_lS4_T11_S3_li
	.p2align	8
	.type	_ZL29rocblas_internal_gemmt_kernelIlLi16ELi32ELi8ELc84ELc84ELc85ELb0ELb0EdPKdS1_PdEviT_T9_T10_S3_lS5_S3_lS4_T11_S3_li,@function
_ZL29rocblas_internal_gemmt_kernelIlLi16ELi32ELi8ELc84ELc84ELc85ELb0ELb0EdPKdS1_PdEviT_T9_T10_S3_lS5_S3_lS4_T11_S3_li: ; @_ZL29rocblas_internal_gemmt_kernelIlLi16ELi32ELi8ELc84ELc84ELc85ELb0ELb0EdPKdS1_PdEviT_T9_T10_S3_lS5_S3_lS4_T11_S3_li
; %bb.0:
	s_load_b256 s[24:31], s[0:1], 0x48
	s_wait_kmcnt 0x0
	s_load_b64 s[6:7], s[24:25], 0x0
	s_load_b512 s[8:23], s[0:1], 0x8
	s_wait_kmcnt 0x0
	v_cmp_neq_f64_e64 s2, s[6:7], 1.0
	s_load_b64 s[10:11], s[10:11], 0x0
	s_and_b32 vcc_lo, exec_lo, s2
	s_cbranch_vccnz .LBB184_2
; %bb.1:
	s_wait_kmcnt 0x0
	v_cmp_neq_f64_e64 s2, s[10:11], 0
	s_cmp_lg_u64 s[8:9], 0
	s_cselect_b32 s3, -1, 0
	s_delay_alu instid0(SALU_CYCLE_1)
	s_and_b32 s2, s3, s2
.LBB184_2:
	s_delay_alu instid0(SALU_CYCLE_1)
	s_and_not1_b32 vcc_lo, exec_lo, s2
	s_cbranch_vccnz .LBB184_35
; %bb.3:
	s_load_b32 s33, s[0:1], 0x68
	s_bfe_u32 s2, ttmp6, 0x40014
	s_lshr_b32 s3, ttmp7, 16
	s_add_co_i32 s2, s2, 1
	s_bfe_u32 s5, ttmp6, 0x40008
	s_mul_i32 s4, s3, s2
	s_getreg_b32 s2, hwreg(HW_REG_IB_STS2, 6, 4)
	s_add_co_i32 s5, s5, s4
	s_cmp_eq_u32 s2, 0
	s_mov_b32 s25, 0
	s_cselect_b32 s24, s3, s5
	s_wait_kmcnt 0x0
	s_cmp_ge_u32 s24, s33
	s_cbranch_scc1 .LBB184_35
; %bb.4:
	s_bfe_u32 s3, ttmp6, 0x4000c
	s_bfe_u32 s5, ttmp6, 0x40010
	s_add_co_i32 s3, s3, 1
	s_and_b32 s34, ttmp7, 0xffff
	s_add_co_i32 s5, s5, 1
	v_and_b32_e32 v6, 0x3ff, v0
	v_bfe_u32 v7, v0, 10, 10
	s_and_b32 s4, ttmp6, 15
	s_mul_i32 s3, ttmp9, s3
	s_mul_i32 s5, s34, s5
	s_bfe_u32 s35, ttmp6, 0x40004
	s_add_co_i32 s4, s4, s3
	s_add_co_i32 s35, s35, s5
	s_cmp_eq_u32 s2, 0
	v_lshl_add_u32 v8, v7, 4, v6
	s_cselect_b32 s3, s34, s35
	s_cselect_b32 s2, ttmp9, s4
	s_lshl_b32 s3, s3, 5
	s_lshl_b32 s2, s2, 5
	v_dual_add_nc_u32 v14, s3, v7 :: v_dual_bitop2_b32 v10, 31, v8 bitop3:0x40
	v_and_b32_e32 v0, 7, v0
	v_cmp_neq_f64_e64 s34, s[10:11], 0
	s_load_b32 s4, s[0:1], 0x0
	v_lshlrev_b32_e32 v1, 3, v6
	v_add_nc_u32_e32 v16, 16, v14
	v_or_b32_e32 v12, s2, v10
	v_dual_ashrrev_i32 v15, 31, v14 :: v_dual_lshlrev_b32 v11, 3, v0
	s_delay_alu instid0(VALU_DEP_3) | instskip(NEXT) | instid1(VALU_DEP_3)
	v_dual_add_nc_u32 v6, s2, v6 :: v_dual_ashrrev_i32 v17, 31, v16
	v_ashrrev_i32_e32 v13, 31, v12
	s_delay_alu instid0(VALU_DEP_3) | instskip(SKIP_1) | instid1(VALU_DEP_4)
	v_mul_u64_e32 v[2:3], s[28:29], v[14:15]
	v_lshl_add_u32 v9, v7, 6, 0x800
	v_cmp_le_i32_e32 vcc_lo, v6, v14
	v_mul_u64_e32 v[4:5], s[28:29], v[16:17]
	v_mul_u64_e32 v[18:19], s[14:15], v[12:13]
	v_cmp_neq_f64_e64 s14, s[6:7], 0
	v_dual_lshrrev_b32 v13, 3, v8 :: v_dual_lshrrev_b32 v8, 5, v8
	v_ashrrev_i32_e32 v7, 31, v6
	v_cmp_gt_i64_e64 s35, s[8:9], 0
	s_delay_alu instid0(VALU_DEP_3)
	v_dual_mov_b32 v17, 0 :: v_dual_add_nc_u32 v20, s3, v13
	v_lshlrev_b32_e32 v15, 3, v10
	v_add_nc_u32_e32 v10, 16, v6
	s_wait_kmcnt 0x0
	v_cmp_gt_i32_e64 s2, s4, v14
	v_lshl_or_b32 v11, v13, 6, v11
	v_ashrrev_i32_e32 v21, 31, v20
	v_cmp_gt_i32_e64 s0, s4, v12
	v_cmp_gt_i32_e64 s1, s4, v20
	v_cmp_le_i32_e64 s3, v10, v14
	v_cmp_gt_i32_e64 s4, s4, v16
	s_and_b32 s15, s2, vcc_lo
	v_cmp_le_i32_e32 vcc_lo, v6, v16
	v_cmp_le_i32_e64 s5, v10, v16
	v_lshl_or_b32 v34, v8, 8, v15
	v_add_nc_u32_e32 v35, 0x800, v11
	v_ashrrev_i32_e32 v11, 31, v10
	v_lshl_add_u64 v[12:13], v[20:21], 3, s[18:19]
	s_and_b32 s18, s4, vcc_lo
	s_and_b32 s4, s4, s5
	v_lshl_add_u64 v[14:15], v[18:19], 3, s[12:13]
	s_and_b32 s12, s34, s35
	s_and_b32 s13, s2, s3
	s_branch .LBB184_6
.LBB184_5:                              ;   in Loop: Header=BB184_6 Depth=1
	s_wait_xcnt 0x0
	s_or_b32 exec_lo, exec_lo, s2
	s_add_co_i32 s24, s24, 0x10000
	s_delay_alu instid0(SALU_CYCLE_1)
	s_cmp_lt_u32 s24, s33
	s_cbranch_scc0 .LBB184_35
.LBB184_6:                              ; =>This Loop Header: Depth=1
                                        ;     Child Loop BB184_9 Depth 2
	v_mov_b64_e32 v[24:25], 0
	v_mov_b64_e32 v[22:23], 0
	;; [unrolled: 1-line block ×4, first 2 shown]
	s_and_not1_b32 vcc_lo, exec_lo, s12
	s_cbranch_vccnz .LBB184_15
; %bb.7:                                ;   in Loop: Header=BB184_6 Depth=1
	s_mul_u64 s[2:3], s[22:23], s[24:25]
	s_mul_u64 s[28:29], s[16:17], s[24:25]
	v_mov_b64_e32 v[18:19], 0
	v_mov_b64_e32 v[20:21], 0
	v_mov_b64_e32 v[22:23], 0
	v_mov_b64_e32 v[24:25], 0
	v_lshl_add_u64 v[26:27], s[28:29], 3, v[14:15]
	v_lshl_add_u64 v[28:29], s[2:3], 3, v[12:13]
	s_mov_b64 s[2:3], 0
	s_branch .LBB184_9
.LBB184_8:                              ;   in Loop: Header=BB184_9 Depth=2
	s_wait_xcnt 0x0
	s_or_b32 exec_lo, exec_lo, s5
	s_wait_loadcnt 0x0
	ds_store_b64 v35, v[32:33]
	s_wait_dscnt 0x0
	s_barrier_signal -1
	s_barrier_wait -1
	ds_load_b128 v[30:33], v9
	ds_load_2addr_b64 v[36:39], v1 offset1:16
	ds_load_b128 v[40:43], v9 offset:1024
	ds_load_b128 v[44:47], v9 offset:16
	;; [unrolled: 1-line block ×3, first 2 shown]
	s_add_nc_u64 s[2:3], s[2:3], 8
	s_delay_alu instid0(SALU_CYCLE_1)
	v_cmp_gt_i64_e64 s5, s[8:9], s[2:3]
	s_and_b32 vcc_lo, exec_lo, s5
	s_wait_dscnt 0x3
	v_fmac_f64_e32 v[24:25], v[36:37], v[30:31]
	v_fmac_f64_e32 v[22:23], v[38:39], v[30:31]
	s_wait_dscnt 0x2
	v_fmac_f64_e32 v[20:21], v[36:37], v[40:41]
	v_fmac_f64_e32 v[18:19], v[38:39], v[40:41]
	ds_load_2addr_b64 v[36:39], v1 offset0:32 offset1:48
	s_wait_dscnt 0x0
	v_fmac_f64_e32 v[24:25], v[36:37], v[32:33]
	v_fmac_f64_e32 v[22:23], v[38:39], v[32:33]
	v_fmac_f64_e32 v[20:21], v[36:37], v[42:43]
	v_fmac_f64_e32 v[18:19], v[38:39], v[42:43]
	ds_load_2addr_b64 v[30:33], v1 offset0:64 offset1:80
	s_wait_dscnt 0x0
	v_fmac_f64_e32 v[24:25], v[30:31], v[44:45]
	v_fmac_f64_e32 v[22:23], v[32:33], v[44:45]
	;; [unrolled: 6-line block ×3, first 2 shown]
	v_fmac_f64_e32 v[20:21], v[30:31], v[50:51]
	v_fmac_f64_e32 v[18:19], v[32:33], v[50:51]
	ds_load_b128 v[30:33], v9 offset:32
	ds_load_2addr_b64 v[36:39], v1 offset0:128 offset1:144
	ds_load_b128 v[40:43], v9 offset:1056
	ds_load_b128 v[44:47], v9 offset:48
	;; [unrolled: 1-line block ×3, first 2 shown]
	s_wait_dscnt 0x3
	v_fmac_f64_e32 v[24:25], v[36:37], v[30:31]
	v_fmac_f64_e32 v[22:23], v[38:39], v[30:31]
	s_wait_dscnt 0x2
	v_fmac_f64_e32 v[20:21], v[36:37], v[40:41]
	v_fmac_f64_e32 v[18:19], v[38:39], v[40:41]
	ds_load_2addr_b64 v[36:39], v1 offset0:160 offset1:176
	s_wait_dscnt 0x0
	v_fmac_f64_e32 v[24:25], v[36:37], v[32:33]
	v_fmac_f64_e32 v[22:23], v[38:39], v[32:33]
	;; [unrolled: 1-line block ×4, first 2 shown]
	ds_load_2addr_b64 v[30:33], v1 offset0:192 offset1:208
	s_wait_dscnt 0x0
	v_fmac_f64_e32 v[24:25], v[30:31], v[44:45]
	v_fmac_f64_e32 v[22:23], v[32:33], v[44:45]
	;; [unrolled: 1-line block ×4, first 2 shown]
	ds_load_2addr_b64 v[30:33], v1 offset0:224 offset1:240
	s_wait_dscnt 0x0
	s_barrier_signal -1
	s_barrier_wait -1
	v_fmac_f64_e32 v[24:25], v[30:31], v[46:47]
	v_fmac_f64_e32 v[22:23], v[32:33], v[46:47]
	;; [unrolled: 1-line block ×4, first 2 shown]
	s_cbranch_vccz .LBB184_15
.LBB184_9:                              ;   Parent Loop BB184_6 Depth=1
                                        ; =>  This Inner Loop Header: Depth=2
	v_mov_b64_e32 v[30:31], 0
	s_and_saveexec_b32 s5, s0
	s_cbranch_execz .LBB184_13
; %bb.10:                               ;   in Loop: Header=BB184_9 Depth=2
	v_mov_b64_e32 v[30:31], 0
	v_add_nc_u32_e32 v16, s2, v8
	s_mov_b32 s19, exec_lo
	s_delay_alu instid0(VALU_DEP_1)
	v_cmpx_gt_u64_e64 s[8:9], v[16:17]
	s_cbranch_execz .LBB184_12
; %bb.11:                               ;   in Loop: Header=BB184_9 Depth=2
	v_lshl_add_u64 v[30:31], v[16:17], 3, v[26:27]
	global_load_b64 v[30:31], v[30:31], off
.LBB184_12:                             ;   in Loop: Header=BB184_9 Depth=2
	s_wait_xcnt 0x0
	s_or_b32 exec_lo, exec_lo, s19
.LBB184_13:                             ;   in Loop: Header=BB184_9 Depth=2
	s_delay_alu instid0(SALU_CYCLE_1)
	s_or_b32 exec_lo, exec_lo, s5
	v_add_nc_u32_e32 v16, s2, v0
	v_mov_b64_e32 v[32:33], 0
	s_wait_loadcnt 0x0
	ds_store_b64 v34, v[30:31]
	v_cmp_gt_u64_e32 vcc_lo, s[8:9], v[16:17]
	s_and_b32 s19, vcc_lo, s1
	s_delay_alu instid0(SALU_CYCLE_1)
	s_and_saveexec_b32 s5, s19
	s_cbranch_execz .LBB184_8
; %bb.14:                               ;   in Loop: Header=BB184_9 Depth=2
	v_mul_u64_e32 v[30:31], s[20:21], v[16:17]
	s_delay_alu instid0(VALU_DEP_1)
	v_lshl_add_u64 v[30:31], v[30:31], 3, v[28:29]
	global_load_b64 v[32:33], v[30:31], off
	s_branch .LBB184_8
.LBB184_15:                             ;   in Loop: Header=BB184_6 Depth=1
	s_mul_u64 s[2:3], s[30:31], s[24:25]
	s_delay_alu instid0(SALU_CYCLE_1) | instskip(NEXT) | instid1(SALU_CYCLE_1)
	s_lshl_b64 s[2:3], s[2:3], 3
	s_add_nc_u64 s[2:3], s[26:27], s[2:3]
	s_delay_alu instid0(SALU_CYCLE_1)
	v_lshl_add_u64 v[26:27], v[2:3], 3, s[2:3]
	s_and_saveexec_b32 s5, s15
	s_cbranch_execz .LBB184_19
; %bb.16:                               ;   in Loop: Header=BB184_6 Depth=1
	v_mul_f64_e32 v[24:25], s[10:11], v[24:25]
	s_delay_alu instid0(VALU_DEP_2)
	v_lshl_add_u64 v[28:29], v[6:7], 3, v[26:27]
	s_and_b32 vcc_lo, exec_lo, s14
	s_cbranch_vccz .LBB184_30
; %bb.17:                               ;   in Loop: Header=BB184_6 Depth=1
	global_load_b64 v[30:31], v[28:29], off
	s_wait_loadcnt 0x0
	v_fma_f64 v[30:31], s[6:7], v[30:31], v[24:25]
	global_store_b64 v[28:29], v[30:31], off
	s_cbranch_execnz .LBB184_19
.LBB184_18:                             ;   in Loop: Header=BB184_6 Depth=1
	global_store_b64 v[28:29], v[24:25], off
.LBB184_19:                             ;   in Loop: Header=BB184_6 Depth=1
	s_wait_xcnt 0x0
	s_or_b32 exec_lo, exec_lo, s5
	s_and_saveexec_b32 s5, s13
	s_cbranch_execz .LBB184_23
; %bb.20:                               ;   in Loop: Header=BB184_6 Depth=1
	s_delay_alu instid0(VALU_DEP_4)
	v_mul_f64_e32 v[22:23], s[10:11], v[22:23]
	v_lshl_add_u64 v[24:25], v[10:11], 3, v[26:27]
	s_and_not1_b32 vcc_lo, exec_lo, s14
	s_cbranch_vccnz .LBB184_31
; %bb.21:                               ;   in Loop: Header=BB184_6 Depth=1
	global_load_b64 v[26:27], v[24:25], off
	s_wait_loadcnt 0x0
	v_fma_f64 v[26:27], s[6:7], v[26:27], v[22:23]
	global_store_b64 v[24:25], v[26:27], off
	s_cbranch_execnz .LBB184_23
.LBB184_22:                             ;   in Loop: Header=BB184_6 Depth=1
	global_store_b64 v[24:25], v[22:23], off
.LBB184_23:                             ;   in Loop: Header=BB184_6 Depth=1
	s_wait_xcnt 0x0
	s_or_b32 exec_lo, exec_lo, s5
	v_lshl_add_u64 v[22:23], v[4:5], 3, s[2:3]
	s_and_saveexec_b32 s2, s18
	s_cbranch_execz .LBB184_27
; %bb.24:                               ;   in Loop: Header=BB184_6 Depth=1
	s_delay_alu instid0(VALU_DEP_4) | instskip(NEXT) | instid1(VALU_DEP_2)
	v_mul_f64_e32 v[20:21], s[10:11], v[20:21]
	v_lshl_add_u64 v[24:25], v[6:7], 3, v[22:23]
	s_and_not1_b32 vcc_lo, exec_lo, s14
	s_cbranch_vccnz .LBB184_32
; %bb.25:                               ;   in Loop: Header=BB184_6 Depth=1
	global_load_b64 v[26:27], v[24:25], off
	s_wait_loadcnt 0x0
	v_fma_f64 v[26:27], s[6:7], v[26:27], v[20:21]
	global_store_b64 v[24:25], v[26:27], off
	s_cbranch_execnz .LBB184_27
.LBB184_26:                             ;   in Loop: Header=BB184_6 Depth=1
	global_store_b64 v[24:25], v[20:21], off
.LBB184_27:                             ;   in Loop: Header=BB184_6 Depth=1
	s_wait_xcnt 0x0
	s_or_b32 exec_lo, exec_lo, s2
	s_and_saveexec_b32 s2, s4
	s_cbranch_execz .LBB184_5
; %bb.28:                               ;   in Loop: Header=BB184_6 Depth=1
	s_delay_alu instid0(VALU_DEP_3)
	v_mul_f64_e32 v[18:19], s[10:11], v[18:19]
	v_lshl_add_u64 v[20:21], v[10:11], 3, v[22:23]
	s_and_not1_b32 vcc_lo, exec_lo, s14
	s_cbranch_vccnz .LBB184_33
; %bb.29:                               ;   in Loop: Header=BB184_6 Depth=1
	global_load_b64 v[22:23], v[20:21], off
	s_wait_loadcnt 0x0
	v_fma_f64 v[22:23], s[6:7], v[22:23], v[18:19]
	global_store_b64 v[20:21], v[22:23], off
	s_cbranch_execnz .LBB184_5
	s_branch .LBB184_34
.LBB184_30:                             ;   in Loop: Header=BB184_6 Depth=1
	s_branch .LBB184_18
.LBB184_31:                             ;   in Loop: Header=BB184_6 Depth=1
	s_branch .LBB184_22
.LBB184_32:                             ;   in Loop: Header=BB184_6 Depth=1
	s_branch .LBB184_26
.LBB184_33:                             ;   in Loop: Header=BB184_6 Depth=1
.LBB184_34:                             ;   in Loop: Header=BB184_6 Depth=1
	global_store_b64 v[20:21], v[18:19], off
	s_branch .LBB184_5
.LBB184_35:
	s_endpgm
	.section	.rodata,"a",@progbits
	.p2align	6, 0x0
	.amdhsa_kernel _ZL29rocblas_internal_gemmt_kernelIlLi16ELi32ELi8ELc84ELc84ELc85ELb0ELb0EdPKdS1_PdEviT_T9_T10_S3_lS5_S3_lS4_T11_S3_li
		.amdhsa_group_segment_fixed_size 4096
		.amdhsa_private_segment_fixed_size 0
		.amdhsa_kernarg_size 108
		.amdhsa_user_sgpr_count 2
		.amdhsa_user_sgpr_dispatch_ptr 0
		.amdhsa_user_sgpr_queue_ptr 0
		.amdhsa_user_sgpr_kernarg_segment_ptr 1
		.amdhsa_user_sgpr_dispatch_id 0
		.amdhsa_user_sgpr_kernarg_preload_length 0
		.amdhsa_user_sgpr_kernarg_preload_offset 0
		.amdhsa_user_sgpr_private_segment_size 0
		.amdhsa_wavefront_size32 1
		.amdhsa_uses_dynamic_stack 0
		.amdhsa_enable_private_segment 0
		.amdhsa_system_sgpr_workgroup_id_x 1
		.amdhsa_system_sgpr_workgroup_id_y 1
		.amdhsa_system_sgpr_workgroup_id_z 1
		.amdhsa_system_sgpr_workgroup_info 0
		.amdhsa_system_vgpr_workitem_id 1
		.amdhsa_next_free_vgpr 52
		.amdhsa_next_free_sgpr 36
		.amdhsa_named_barrier_count 0
		.amdhsa_reserve_vcc 1
		.amdhsa_float_round_mode_32 0
		.amdhsa_float_round_mode_16_64 0
		.amdhsa_float_denorm_mode_32 3
		.amdhsa_float_denorm_mode_16_64 3
		.amdhsa_fp16_overflow 0
		.amdhsa_memory_ordered 1
		.amdhsa_forward_progress 1
		.amdhsa_inst_pref_size 13
		.amdhsa_round_robin_scheduling 0
		.amdhsa_exception_fp_ieee_invalid_op 0
		.amdhsa_exception_fp_denorm_src 0
		.amdhsa_exception_fp_ieee_div_zero 0
		.amdhsa_exception_fp_ieee_overflow 0
		.amdhsa_exception_fp_ieee_underflow 0
		.amdhsa_exception_fp_ieee_inexact 0
		.amdhsa_exception_int_div_zero 0
	.end_amdhsa_kernel
	.section	.text._ZL29rocblas_internal_gemmt_kernelIlLi16ELi32ELi8ELc84ELc84ELc85ELb0ELb0EdPKdS1_PdEviT_T9_T10_S3_lS5_S3_lS4_T11_S3_li,"axG",@progbits,_ZL29rocblas_internal_gemmt_kernelIlLi16ELi32ELi8ELc84ELc84ELc85ELb0ELb0EdPKdS1_PdEviT_T9_T10_S3_lS5_S3_lS4_T11_S3_li,comdat
.Lfunc_end184:
	.size	_ZL29rocblas_internal_gemmt_kernelIlLi16ELi32ELi8ELc84ELc84ELc85ELb0ELb0EdPKdS1_PdEviT_T9_T10_S3_lS5_S3_lS4_T11_S3_li, .Lfunc_end184-_ZL29rocblas_internal_gemmt_kernelIlLi16ELi32ELi8ELc84ELc84ELc85ELb0ELb0EdPKdS1_PdEviT_T9_T10_S3_lS5_S3_lS4_T11_S3_li
                                        ; -- End function
	.set _ZL29rocblas_internal_gemmt_kernelIlLi16ELi32ELi8ELc84ELc84ELc85ELb0ELb0EdPKdS1_PdEviT_T9_T10_S3_lS5_S3_lS4_T11_S3_li.num_vgpr, 52
	.set _ZL29rocblas_internal_gemmt_kernelIlLi16ELi32ELi8ELc84ELc84ELc85ELb0ELb0EdPKdS1_PdEviT_T9_T10_S3_lS5_S3_lS4_T11_S3_li.num_agpr, 0
	.set _ZL29rocblas_internal_gemmt_kernelIlLi16ELi32ELi8ELc84ELc84ELc85ELb0ELb0EdPKdS1_PdEviT_T9_T10_S3_lS5_S3_lS4_T11_S3_li.numbered_sgpr, 36
	.set _ZL29rocblas_internal_gemmt_kernelIlLi16ELi32ELi8ELc84ELc84ELc85ELb0ELb0EdPKdS1_PdEviT_T9_T10_S3_lS5_S3_lS4_T11_S3_li.num_named_barrier, 0
	.set _ZL29rocblas_internal_gemmt_kernelIlLi16ELi32ELi8ELc84ELc84ELc85ELb0ELb0EdPKdS1_PdEviT_T9_T10_S3_lS5_S3_lS4_T11_S3_li.private_seg_size, 0
	.set _ZL29rocblas_internal_gemmt_kernelIlLi16ELi32ELi8ELc84ELc84ELc85ELb0ELb0EdPKdS1_PdEviT_T9_T10_S3_lS5_S3_lS4_T11_S3_li.uses_vcc, 1
	.set _ZL29rocblas_internal_gemmt_kernelIlLi16ELi32ELi8ELc84ELc84ELc85ELb0ELb0EdPKdS1_PdEviT_T9_T10_S3_lS5_S3_lS4_T11_S3_li.uses_flat_scratch, 0
	.set _ZL29rocblas_internal_gemmt_kernelIlLi16ELi32ELi8ELc84ELc84ELc85ELb0ELb0EdPKdS1_PdEviT_T9_T10_S3_lS5_S3_lS4_T11_S3_li.has_dyn_sized_stack, 0
	.set _ZL29rocblas_internal_gemmt_kernelIlLi16ELi32ELi8ELc84ELc84ELc85ELb0ELb0EdPKdS1_PdEviT_T9_T10_S3_lS5_S3_lS4_T11_S3_li.has_recursion, 0
	.set _ZL29rocblas_internal_gemmt_kernelIlLi16ELi32ELi8ELc84ELc84ELc85ELb0ELb0EdPKdS1_PdEviT_T9_T10_S3_lS5_S3_lS4_T11_S3_li.has_indirect_call, 0
	.section	.AMDGPU.csdata,"",@progbits
; Kernel info:
; codeLenInByte = 1584
; TotalNumSgprs: 38
; NumVgprs: 52
; ScratchSize: 0
; MemoryBound: 0
; FloatMode: 240
; IeeeMode: 1
; LDSByteSize: 4096 bytes/workgroup (compile time only)
; SGPRBlocks: 0
; VGPRBlocks: 3
; NumSGPRsForWavesPerEU: 38
; NumVGPRsForWavesPerEU: 52
; NamedBarCnt: 0
; Occupancy: 16
; WaveLimiterHint : 0
; COMPUTE_PGM_RSRC2:SCRATCH_EN: 0
; COMPUTE_PGM_RSRC2:USER_SGPR: 2
; COMPUTE_PGM_RSRC2:TRAP_HANDLER: 0
; COMPUTE_PGM_RSRC2:TGID_X_EN: 1
; COMPUTE_PGM_RSRC2:TGID_Y_EN: 1
; COMPUTE_PGM_RSRC2:TGID_Z_EN: 1
; COMPUTE_PGM_RSRC2:TIDIG_COMP_CNT: 1
	.section	.text._ZL29rocblas_internal_gemmt_kernelIlLi16ELi32ELi8ELc84ELc67ELc85ELb0ELb0EdPKdS1_PdEviT_T9_T10_S3_lS5_S3_lS4_T11_S3_li,"axG",@progbits,_ZL29rocblas_internal_gemmt_kernelIlLi16ELi32ELi8ELc84ELc67ELc85ELb0ELb0EdPKdS1_PdEviT_T9_T10_S3_lS5_S3_lS4_T11_S3_li,comdat
	.globl	_ZL29rocblas_internal_gemmt_kernelIlLi16ELi32ELi8ELc84ELc67ELc85ELb0ELb0EdPKdS1_PdEviT_T9_T10_S3_lS5_S3_lS4_T11_S3_li ; -- Begin function _ZL29rocblas_internal_gemmt_kernelIlLi16ELi32ELi8ELc84ELc67ELc85ELb0ELb0EdPKdS1_PdEviT_T9_T10_S3_lS5_S3_lS4_T11_S3_li
	.p2align	8
	.type	_ZL29rocblas_internal_gemmt_kernelIlLi16ELi32ELi8ELc84ELc67ELc85ELb0ELb0EdPKdS1_PdEviT_T9_T10_S3_lS5_S3_lS4_T11_S3_li,@function
_ZL29rocblas_internal_gemmt_kernelIlLi16ELi32ELi8ELc84ELc67ELc85ELb0ELb0EdPKdS1_PdEviT_T9_T10_S3_lS5_S3_lS4_T11_S3_li: ; @_ZL29rocblas_internal_gemmt_kernelIlLi16ELi32ELi8ELc84ELc67ELc85ELb0ELb0EdPKdS1_PdEviT_T9_T10_S3_lS5_S3_lS4_T11_S3_li
; %bb.0:
	s_load_b256 s[24:31], s[0:1], 0x48
	s_wait_kmcnt 0x0
	s_load_b64 s[6:7], s[24:25], 0x0
	s_load_b512 s[8:23], s[0:1], 0x8
	s_wait_kmcnt 0x0
	v_cmp_neq_f64_e64 s2, s[6:7], 1.0
	s_load_b64 s[10:11], s[10:11], 0x0
	s_and_b32 vcc_lo, exec_lo, s2
	s_cbranch_vccnz .LBB185_2
; %bb.1:
	s_wait_kmcnt 0x0
	v_cmp_neq_f64_e64 s2, s[10:11], 0
	s_cmp_lg_u64 s[8:9], 0
	s_cselect_b32 s3, -1, 0
	s_delay_alu instid0(SALU_CYCLE_1)
	s_and_b32 s2, s3, s2
.LBB185_2:
	s_delay_alu instid0(SALU_CYCLE_1)
	s_and_not1_b32 vcc_lo, exec_lo, s2
	s_cbranch_vccnz .LBB185_35
; %bb.3:
	s_load_b32 s33, s[0:1], 0x68
	s_bfe_u32 s2, ttmp6, 0x40014
	s_lshr_b32 s3, ttmp7, 16
	s_add_co_i32 s2, s2, 1
	s_bfe_u32 s5, ttmp6, 0x40008
	s_mul_i32 s4, s3, s2
	s_getreg_b32 s2, hwreg(HW_REG_IB_STS2, 6, 4)
	s_add_co_i32 s5, s5, s4
	s_cmp_eq_u32 s2, 0
	s_mov_b32 s25, 0
	s_cselect_b32 s24, s3, s5
	s_wait_kmcnt 0x0
	s_cmp_ge_u32 s24, s33
	s_cbranch_scc1 .LBB185_35
; %bb.4:
	s_bfe_u32 s3, ttmp6, 0x4000c
	s_bfe_u32 s5, ttmp6, 0x40010
	s_add_co_i32 s3, s3, 1
	s_and_b32 s34, ttmp7, 0xffff
	s_add_co_i32 s5, s5, 1
	v_and_b32_e32 v6, 0x3ff, v0
	v_bfe_u32 v7, v0, 10, 10
	s_and_b32 s4, ttmp6, 15
	s_mul_i32 s3, ttmp9, s3
	s_mul_i32 s5, s34, s5
	s_bfe_u32 s35, ttmp6, 0x40004
	s_add_co_i32 s4, s4, s3
	s_add_co_i32 s35, s35, s5
	s_cmp_eq_u32 s2, 0
	v_lshl_add_u32 v8, v7, 4, v6
	s_cselect_b32 s3, s34, s35
	s_cselect_b32 s2, ttmp9, s4
	s_lshl_b32 s3, s3, 5
	s_lshl_b32 s2, s2, 5
	v_dual_add_nc_u32 v14, s3, v7 :: v_dual_bitop2_b32 v10, 31, v8 bitop3:0x40
	v_and_b32_e32 v0, 7, v0
	v_cmp_neq_f64_e64 s34, s[10:11], 0
	s_load_b32 s4, s[0:1], 0x0
	v_lshlrev_b32_e32 v1, 3, v6
	v_add_nc_u32_e32 v16, 16, v14
	v_or_b32_e32 v12, s2, v10
	v_dual_ashrrev_i32 v15, 31, v14 :: v_dual_lshlrev_b32 v11, 3, v0
	s_delay_alu instid0(VALU_DEP_3) | instskip(NEXT) | instid1(VALU_DEP_3)
	v_dual_add_nc_u32 v6, s2, v6 :: v_dual_ashrrev_i32 v17, 31, v16
	v_ashrrev_i32_e32 v13, 31, v12
	s_delay_alu instid0(VALU_DEP_3) | instskip(SKIP_1) | instid1(VALU_DEP_4)
	v_mul_u64_e32 v[2:3], s[28:29], v[14:15]
	v_lshl_add_u32 v9, v7, 6, 0x800
	v_cmp_le_i32_e32 vcc_lo, v6, v14
	v_mul_u64_e32 v[4:5], s[28:29], v[16:17]
	v_mul_u64_e32 v[18:19], s[14:15], v[12:13]
	v_cmp_neq_f64_e64 s14, s[6:7], 0
	v_dual_lshrrev_b32 v13, 3, v8 :: v_dual_lshrrev_b32 v8, 5, v8
	v_ashrrev_i32_e32 v7, 31, v6
	v_cmp_gt_i64_e64 s35, s[8:9], 0
	s_delay_alu instid0(VALU_DEP_3)
	v_dual_mov_b32 v17, 0 :: v_dual_add_nc_u32 v20, s3, v13
	v_lshlrev_b32_e32 v15, 3, v10
	v_add_nc_u32_e32 v10, 16, v6
	s_wait_kmcnt 0x0
	v_cmp_gt_i32_e64 s2, s4, v14
	v_lshl_or_b32 v11, v13, 6, v11
	v_ashrrev_i32_e32 v21, 31, v20
	v_cmp_gt_i32_e64 s0, s4, v12
	v_cmp_gt_i32_e64 s1, s4, v20
	v_cmp_le_i32_e64 s3, v10, v14
	v_cmp_gt_i32_e64 s4, s4, v16
	s_and_b32 s15, s2, vcc_lo
	v_cmp_le_i32_e32 vcc_lo, v6, v16
	v_cmp_le_i32_e64 s5, v10, v16
	v_lshl_or_b32 v34, v8, 8, v15
	v_add_nc_u32_e32 v35, 0x800, v11
	v_ashrrev_i32_e32 v11, 31, v10
	v_lshl_add_u64 v[12:13], v[20:21], 3, s[18:19]
	s_and_b32 s18, s4, vcc_lo
	s_and_b32 s4, s4, s5
	v_lshl_add_u64 v[14:15], v[18:19], 3, s[12:13]
	s_and_b32 s12, s34, s35
	s_and_b32 s13, s2, s3
	s_branch .LBB185_6
.LBB185_5:                              ;   in Loop: Header=BB185_6 Depth=1
	s_wait_xcnt 0x0
	s_or_b32 exec_lo, exec_lo, s2
	s_add_co_i32 s24, s24, 0x10000
	s_delay_alu instid0(SALU_CYCLE_1)
	s_cmp_lt_u32 s24, s33
	s_cbranch_scc0 .LBB185_35
.LBB185_6:                              ; =>This Loop Header: Depth=1
                                        ;     Child Loop BB185_9 Depth 2
	v_mov_b64_e32 v[24:25], 0
	v_mov_b64_e32 v[22:23], 0
	;; [unrolled: 1-line block ×4, first 2 shown]
	s_and_not1_b32 vcc_lo, exec_lo, s12
	s_cbranch_vccnz .LBB185_15
; %bb.7:                                ;   in Loop: Header=BB185_6 Depth=1
	s_mul_u64 s[2:3], s[22:23], s[24:25]
	s_mul_u64 s[28:29], s[16:17], s[24:25]
	v_mov_b64_e32 v[18:19], 0
	v_mov_b64_e32 v[20:21], 0
	;; [unrolled: 1-line block ×4, first 2 shown]
	v_lshl_add_u64 v[26:27], s[28:29], 3, v[14:15]
	v_lshl_add_u64 v[28:29], s[2:3], 3, v[12:13]
	s_mov_b64 s[2:3], 0
	s_branch .LBB185_9
.LBB185_8:                              ;   in Loop: Header=BB185_9 Depth=2
	s_wait_xcnt 0x0
	s_or_b32 exec_lo, exec_lo, s5
	s_wait_loadcnt 0x0
	ds_store_b64 v35, v[32:33]
	s_wait_dscnt 0x0
	s_barrier_signal -1
	s_barrier_wait -1
	ds_load_b128 v[30:33], v9
	ds_load_2addr_b64 v[36:39], v1 offset1:16
	ds_load_b128 v[40:43], v9 offset:1024
	ds_load_b128 v[44:47], v9 offset:16
	;; [unrolled: 1-line block ×3, first 2 shown]
	s_add_nc_u64 s[2:3], s[2:3], 8
	s_delay_alu instid0(SALU_CYCLE_1)
	v_cmp_gt_i64_e64 s5, s[8:9], s[2:3]
	s_and_b32 vcc_lo, exec_lo, s5
	s_wait_dscnt 0x3
	v_fmac_f64_e32 v[24:25], v[36:37], v[30:31]
	v_fmac_f64_e32 v[22:23], v[38:39], v[30:31]
	s_wait_dscnt 0x2
	v_fmac_f64_e32 v[20:21], v[36:37], v[40:41]
	v_fmac_f64_e32 v[18:19], v[38:39], v[40:41]
	ds_load_2addr_b64 v[36:39], v1 offset0:32 offset1:48
	s_wait_dscnt 0x0
	v_fmac_f64_e32 v[24:25], v[36:37], v[32:33]
	v_fmac_f64_e32 v[22:23], v[38:39], v[32:33]
	v_fmac_f64_e32 v[20:21], v[36:37], v[42:43]
	v_fmac_f64_e32 v[18:19], v[38:39], v[42:43]
	ds_load_2addr_b64 v[30:33], v1 offset0:64 offset1:80
	s_wait_dscnt 0x0
	v_fmac_f64_e32 v[24:25], v[30:31], v[44:45]
	v_fmac_f64_e32 v[22:23], v[32:33], v[44:45]
	;; [unrolled: 6-line block ×3, first 2 shown]
	v_fmac_f64_e32 v[20:21], v[30:31], v[50:51]
	v_fmac_f64_e32 v[18:19], v[32:33], v[50:51]
	ds_load_b128 v[30:33], v9 offset:32
	ds_load_2addr_b64 v[36:39], v1 offset0:128 offset1:144
	ds_load_b128 v[40:43], v9 offset:1056
	ds_load_b128 v[44:47], v9 offset:48
	;; [unrolled: 1-line block ×3, first 2 shown]
	s_wait_dscnt 0x3
	v_fmac_f64_e32 v[24:25], v[36:37], v[30:31]
	v_fmac_f64_e32 v[22:23], v[38:39], v[30:31]
	s_wait_dscnt 0x2
	v_fmac_f64_e32 v[20:21], v[36:37], v[40:41]
	v_fmac_f64_e32 v[18:19], v[38:39], v[40:41]
	ds_load_2addr_b64 v[36:39], v1 offset0:160 offset1:176
	s_wait_dscnt 0x0
	v_fmac_f64_e32 v[24:25], v[36:37], v[32:33]
	v_fmac_f64_e32 v[22:23], v[38:39], v[32:33]
	;; [unrolled: 1-line block ×4, first 2 shown]
	ds_load_2addr_b64 v[30:33], v1 offset0:192 offset1:208
	s_wait_dscnt 0x0
	v_fmac_f64_e32 v[24:25], v[30:31], v[44:45]
	v_fmac_f64_e32 v[22:23], v[32:33], v[44:45]
	;; [unrolled: 1-line block ×4, first 2 shown]
	ds_load_2addr_b64 v[30:33], v1 offset0:224 offset1:240
	s_wait_dscnt 0x0
	s_barrier_signal -1
	s_barrier_wait -1
	v_fmac_f64_e32 v[24:25], v[30:31], v[46:47]
	v_fmac_f64_e32 v[22:23], v[32:33], v[46:47]
	;; [unrolled: 1-line block ×4, first 2 shown]
	s_cbranch_vccz .LBB185_15
.LBB185_9:                              ;   Parent Loop BB185_6 Depth=1
                                        ; =>  This Inner Loop Header: Depth=2
	v_mov_b64_e32 v[30:31], 0
	s_and_saveexec_b32 s5, s0
	s_cbranch_execz .LBB185_13
; %bb.10:                               ;   in Loop: Header=BB185_9 Depth=2
	v_mov_b64_e32 v[30:31], 0
	v_add_nc_u32_e32 v16, s2, v8
	s_mov_b32 s19, exec_lo
	s_delay_alu instid0(VALU_DEP_1)
	v_cmpx_gt_u64_e64 s[8:9], v[16:17]
	s_cbranch_execz .LBB185_12
; %bb.11:                               ;   in Loop: Header=BB185_9 Depth=2
	v_lshl_add_u64 v[30:31], v[16:17], 3, v[26:27]
	global_load_b64 v[30:31], v[30:31], off
.LBB185_12:                             ;   in Loop: Header=BB185_9 Depth=2
	s_wait_xcnt 0x0
	s_or_b32 exec_lo, exec_lo, s19
.LBB185_13:                             ;   in Loop: Header=BB185_9 Depth=2
	s_delay_alu instid0(SALU_CYCLE_1)
	s_or_b32 exec_lo, exec_lo, s5
	v_add_nc_u32_e32 v16, s2, v0
	v_mov_b64_e32 v[32:33], 0
	s_wait_loadcnt 0x0
	ds_store_b64 v34, v[30:31]
	v_cmp_gt_u64_e32 vcc_lo, s[8:9], v[16:17]
	s_and_b32 s19, vcc_lo, s1
	s_delay_alu instid0(SALU_CYCLE_1)
	s_and_saveexec_b32 s5, s19
	s_cbranch_execz .LBB185_8
; %bb.14:                               ;   in Loop: Header=BB185_9 Depth=2
	v_mul_u64_e32 v[30:31], s[20:21], v[16:17]
	s_delay_alu instid0(VALU_DEP_1)
	v_lshl_add_u64 v[30:31], v[30:31], 3, v[28:29]
	global_load_b64 v[32:33], v[30:31], off
	s_branch .LBB185_8
.LBB185_15:                             ;   in Loop: Header=BB185_6 Depth=1
	s_mul_u64 s[2:3], s[30:31], s[24:25]
	s_delay_alu instid0(SALU_CYCLE_1) | instskip(NEXT) | instid1(SALU_CYCLE_1)
	s_lshl_b64 s[2:3], s[2:3], 3
	s_add_nc_u64 s[2:3], s[26:27], s[2:3]
	s_delay_alu instid0(SALU_CYCLE_1)
	v_lshl_add_u64 v[26:27], v[2:3], 3, s[2:3]
	s_and_saveexec_b32 s5, s15
	s_cbranch_execz .LBB185_19
; %bb.16:                               ;   in Loop: Header=BB185_6 Depth=1
	v_mul_f64_e32 v[24:25], s[10:11], v[24:25]
	s_delay_alu instid0(VALU_DEP_2)
	v_lshl_add_u64 v[28:29], v[6:7], 3, v[26:27]
	s_and_b32 vcc_lo, exec_lo, s14
	s_cbranch_vccz .LBB185_30
; %bb.17:                               ;   in Loop: Header=BB185_6 Depth=1
	global_load_b64 v[30:31], v[28:29], off
	s_wait_loadcnt 0x0
	v_fma_f64 v[30:31], s[6:7], v[30:31], v[24:25]
	global_store_b64 v[28:29], v[30:31], off
	s_cbranch_execnz .LBB185_19
.LBB185_18:                             ;   in Loop: Header=BB185_6 Depth=1
	global_store_b64 v[28:29], v[24:25], off
.LBB185_19:                             ;   in Loop: Header=BB185_6 Depth=1
	s_wait_xcnt 0x0
	s_or_b32 exec_lo, exec_lo, s5
	s_and_saveexec_b32 s5, s13
	s_cbranch_execz .LBB185_23
; %bb.20:                               ;   in Loop: Header=BB185_6 Depth=1
	s_delay_alu instid0(VALU_DEP_4)
	v_mul_f64_e32 v[22:23], s[10:11], v[22:23]
	v_lshl_add_u64 v[24:25], v[10:11], 3, v[26:27]
	s_and_not1_b32 vcc_lo, exec_lo, s14
	s_cbranch_vccnz .LBB185_31
; %bb.21:                               ;   in Loop: Header=BB185_6 Depth=1
	global_load_b64 v[26:27], v[24:25], off
	s_wait_loadcnt 0x0
	v_fma_f64 v[26:27], s[6:7], v[26:27], v[22:23]
	global_store_b64 v[24:25], v[26:27], off
	s_cbranch_execnz .LBB185_23
.LBB185_22:                             ;   in Loop: Header=BB185_6 Depth=1
	global_store_b64 v[24:25], v[22:23], off
.LBB185_23:                             ;   in Loop: Header=BB185_6 Depth=1
	s_wait_xcnt 0x0
	s_or_b32 exec_lo, exec_lo, s5
	v_lshl_add_u64 v[22:23], v[4:5], 3, s[2:3]
	s_and_saveexec_b32 s2, s18
	s_cbranch_execz .LBB185_27
; %bb.24:                               ;   in Loop: Header=BB185_6 Depth=1
	s_delay_alu instid0(VALU_DEP_4) | instskip(NEXT) | instid1(VALU_DEP_2)
	v_mul_f64_e32 v[20:21], s[10:11], v[20:21]
	v_lshl_add_u64 v[24:25], v[6:7], 3, v[22:23]
	s_and_not1_b32 vcc_lo, exec_lo, s14
	s_cbranch_vccnz .LBB185_32
; %bb.25:                               ;   in Loop: Header=BB185_6 Depth=1
	global_load_b64 v[26:27], v[24:25], off
	s_wait_loadcnt 0x0
	v_fma_f64 v[26:27], s[6:7], v[26:27], v[20:21]
	global_store_b64 v[24:25], v[26:27], off
	s_cbranch_execnz .LBB185_27
.LBB185_26:                             ;   in Loop: Header=BB185_6 Depth=1
	global_store_b64 v[24:25], v[20:21], off
.LBB185_27:                             ;   in Loop: Header=BB185_6 Depth=1
	s_wait_xcnt 0x0
	s_or_b32 exec_lo, exec_lo, s2
	s_and_saveexec_b32 s2, s4
	s_cbranch_execz .LBB185_5
; %bb.28:                               ;   in Loop: Header=BB185_6 Depth=1
	s_delay_alu instid0(VALU_DEP_3)
	v_mul_f64_e32 v[18:19], s[10:11], v[18:19]
	v_lshl_add_u64 v[20:21], v[10:11], 3, v[22:23]
	s_and_not1_b32 vcc_lo, exec_lo, s14
	s_cbranch_vccnz .LBB185_33
; %bb.29:                               ;   in Loop: Header=BB185_6 Depth=1
	global_load_b64 v[22:23], v[20:21], off
	s_wait_loadcnt 0x0
	v_fma_f64 v[22:23], s[6:7], v[22:23], v[18:19]
	global_store_b64 v[20:21], v[22:23], off
	s_cbranch_execnz .LBB185_5
	s_branch .LBB185_34
.LBB185_30:                             ;   in Loop: Header=BB185_6 Depth=1
	s_branch .LBB185_18
.LBB185_31:                             ;   in Loop: Header=BB185_6 Depth=1
	s_branch .LBB185_22
.LBB185_32:                             ;   in Loop: Header=BB185_6 Depth=1
	s_branch .LBB185_26
.LBB185_33:                             ;   in Loop: Header=BB185_6 Depth=1
.LBB185_34:                             ;   in Loop: Header=BB185_6 Depth=1
	global_store_b64 v[20:21], v[18:19], off
	s_branch .LBB185_5
.LBB185_35:
	s_endpgm
	.section	.rodata,"a",@progbits
	.p2align	6, 0x0
	.amdhsa_kernel _ZL29rocblas_internal_gemmt_kernelIlLi16ELi32ELi8ELc84ELc67ELc85ELb0ELb0EdPKdS1_PdEviT_T9_T10_S3_lS5_S3_lS4_T11_S3_li
		.amdhsa_group_segment_fixed_size 4096
		.amdhsa_private_segment_fixed_size 0
		.amdhsa_kernarg_size 108
		.amdhsa_user_sgpr_count 2
		.amdhsa_user_sgpr_dispatch_ptr 0
		.amdhsa_user_sgpr_queue_ptr 0
		.amdhsa_user_sgpr_kernarg_segment_ptr 1
		.amdhsa_user_sgpr_dispatch_id 0
		.amdhsa_user_sgpr_kernarg_preload_length 0
		.amdhsa_user_sgpr_kernarg_preload_offset 0
		.amdhsa_user_sgpr_private_segment_size 0
		.amdhsa_wavefront_size32 1
		.amdhsa_uses_dynamic_stack 0
		.amdhsa_enable_private_segment 0
		.amdhsa_system_sgpr_workgroup_id_x 1
		.amdhsa_system_sgpr_workgroup_id_y 1
		.amdhsa_system_sgpr_workgroup_id_z 1
		.amdhsa_system_sgpr_workgroup_info 0
		.amdhsa_system_vgpr_workitem_id 1
		.amdhsa_next_free_vgpr 52
		.amdhsa_next_free_sgpr 36
		.amdhsa_named_barrier_count 0
		.amdhsa_reserve_vcc 1
		.amdhsa_float_round_mode_32 0
		.amdhsa_float_round_mode_16_64 0
		.amdhsa_float_denorm_mode_32 3
		.amdhsa_float_denorm_mode_16_64 3
		.amdhsa_fp16_overflow 0
		.amdhsa_memory_ordered 1
		.amdhsa_forward_progress 1
		.amdhsa_inst_pref_size 13
		.amdhsa_round_robin_scheduling 0
		.amdhsa_exception_fp_ieee_invalid_op 0
		.amdhsa_exception_fp_denorm_src 0
		.amdhsa_exception_fp_ieee_div_zero 0
		.amdhsa_exception_fp_ieee_overflow 0
		.amdhsa_exception_fp_ieee_underflow 0
		.amdhsa_exception_fp_ieee_inexact 0
		.amdhsa_exception_int_div_zero 0
	.end_amdhsa_kernel
	.section	.text._ZL29rocblas_internal_gemmt_kernelIlLi16ELi32ELi8ELc84ELc67ELc85ELb0ELb0EdPKdS1_PdEviT_T9_T10_S3_lS5_S3_lS4_T11_S3_li,"axG",@progbits,_ZL29rocblas_internal_gemmt_kernelIlLi16ELi32ELi8ELc84ELc67ELc85ELb0ELb0EdPKdS1_PdEviT_T9_T10_S3_lS5_S3_lS4_T11_S3_li,comdat
.Lfunc_end185:
	.size	_ZL29rocblas_internal_gemmt_kernelIlLi16ELi32ELi8ELc84ELc67ELc85ELb0ELb0EdPKdS1_PdEviT_T9_T10_S3_lS5_S3_lS4_T11_S3_li, .Lfunc_end185-_ZL29rocblas_internal_gemmt_kernelIlLi16ELi32ELi8ELc84ELc67ELc85ELb0ELb0EdPKdS1_PdEviT_T9_T10_S3_lS5_S3_lS4_T11_S3_li
                                        ; -- End function
	.set _ZL29rocblas_internal_gemmt_kernelIlLi16ELi32ELi8ELc84ELc67ELc85ELb0ELb0EdPKdS1_PdEviT_T9_T10_S3_lS5_S3_lS4_T11_S3_li.num_vgpr, 52
	.set _ZL29rocblas_internal_gemmt_kernelIlLi16ELi32ELi8ELc84ELc67ELc85ELb0ELb0EdPKdS1_PdEviT_T9_T10_S3_lS5_S3_lS4_T11_S3_li.num_agpr, 0
	.set _ZL29rocblas_internal_gemmt_kernelIlLi16ELi32ELi8ELc84ELc67ELc85ELb0ELb0EdPKdS1_PdEviT_T9_T10_S3_lS5_S3_lS4_T11_S3_li.numbered_sgpr, 36
	.set _ZL29rocblas_internal_gemmt_kernelIlLi16ELi32ELi8ELc84ELc67ELc85ELb0ELb0EdPKdS1_PdEviT_T9_T10_S3_lS5_S3_lS4_T11_S3_li.num_named_barrier, 0
	.set _ZL29rocblas_internal_gemmt_kernelIlLi16ELi32ELi8ELc84ELc67ELc85ELb0ELb0EdPKdS1_PdEviT_T9_T10_S3_lS5_S3_lS4_T11_S3_li.private_seg_size, 0
	.set _ZL29rocblas_internal_gemmt_kernelIlLi16ELi32ELi8ELc84ELc67ELc85ELb0ELb0EdPKdS1_PdEviT_T9_T10_S3_lS5_S3_lS4_T11_S3_li.uses_vcc, 1
	.set _ZL29rocblas_internal_gemmt_kernelIlLi16ELi32ELi8ELc84ELc67ELc85ELb0ELb0EdPKdS1_PdEviT_T9_T10_S3_lS5_S3_lS4_T11_S3_li.uses_flat_scratch, 0
	.set _ZL29rocblas_internal_gemmt_kernelIlLi16ELi32ELi8ELc84ELc67ELc85ELb0ELb0EdPKdS1_PdEviT_T9_T10_S3_lS5_S3_lS4_T11_S3_li.has_dyn_sized_stack, 0
	.set _ZL29rocblas_internal_gemmt_kernelIlLi16ELi32ELi8ELc84ELc67ELc85ELb0ELb0EdPKdS1_PdEviT_T9_T10_S3_lS5_S3_lS4_T11_S3_li.has_recursion, 0
	.set _ZL29rocblas_internal_gemmt_kernelIlLi16ELi32ELi8ELc84ELc67ELc85ELb0ELb0EdPKdS1_PdEviT_T9_T10_S3_lS5_S3_lS4_T11_S3_li.has_indirect_call, 0
	.section	.AMDGPU.csdata,"",@progbits
; Kernel info:
; codeLenInByte = 1584
; TotalNumSgprs: 38
; NumVgprs: 52
; ScratchSize: 0
; MemoryBound: 0
; FloatMode: 240
; IeeeMode: 1
; LDSByteSize: 4096 bytes/workgroup (compile time only)
; SGPRBlocks: 0
; VGPRBlocks: 3
; NumSGPRsForWavesPerEU: 38
; NumVGPRsForWavesPerEU: 52
; NamedBarCnt: 0
; Occupancy: 16
; WaveLimiterHint : 0
; COMPUTE_PGM_RSRC2:SCRATCH_EN: 0
; COMPUTE_PGM_RSRC2:USER_SGPR: 2
; COMPUTE_PGM_RSRC2:TRAP_HANDLER: 0
; COMPUTE_PGM_RSRC2:TGID_X_EN: 1
; COMPUTE_PGM_RSRC2:TGID_Y_EN: 1
; COMPUTE_PGM_RSRC2:TGID_Z_EN: 1
; COMPUTE_PGM_RSRC2:TIDIG_COMP_CNT: 1
	.section	.text._ZL29rocblas_internal_gemmt_kernelIlLi16ELi32ELi8ELc67ELc78ELc85ELb0ELb0EdPKdS1_PdEviT_T9_T10_S3_lS5_S3_lS4_T11_S3_li,"axG",@progbits,_ZL29rocblas_internal_gemmt_kernelIlLi16ELi32ELi8ELc67ELc78ELc85ELb0ELb0EdPKdS1_PdEviT_T9_T10_S3_lS5_S3_lS4_T11_S3_li,comdat
	.globl	_ZL29rocblas_internal_gemmt_kernelIlLi16ELi32ELi8ELc67ELc78ELc85ELb0ELb0EdPKdS1_PdEviT_T9_T10_S3_lS5_S3_lS4_T11_S3_li ; -- Begin function _ZL29rocblas_internal_gemmt_kernelIlLi16ELi32ELi8ELc67ELc78ELc85ELb0ELb0EdPKdS1_PdEviT_T9_T10_S3_lS5_S3_lS4_T11_S3_li
	.p2align	8
	.type	_ZL29rocblas_internal_gemmt_kernelIlLi16ELi32ELi8ELc67ELc78ELc85ELb0ELb0EdPKdS1_PdEviT_T9_T10_S3_lS5_S3_lS4_T11_S3_li,@function
_ZL29rocblas_internal_gemmt_kernelIlLi16ELi32ELi8ELc67ELc78ELc85ELb0ELb0EdPKdS1_PdEviT_T9_T10_S3_lS5_S3_lS4_T11_S3_li: ; @_ZL29rocblas_internal_gemmt_kernelIlLi16ELi32ELi8ELc67ELc78ELc85ELb0ELb0EdPKdS1_PdEviT_T9_T10_S3_lS5_S3_lS4_T11_S3_li
; %bb.0:
	s_load_b256 s[24:31], s[0:1], 0x48
	s_wait_kmcnt 0x0
	s_load_b64 s[6:7], s[24:25], 0x0
	s_load_b512 s[8:23], s[0:1], 0x8
	s_wait_kmcnt 0x0
	v_cmp_neq_f64_e64 s2, s[6:7], 1.0
	s_load_b64 s[10:11], s[10:11], 0x0
	s_and_b32 vcc_lo, exec_lo, s2
	s_cbranch_vccnz .LBB186_2
; %bb.1:
	s_wait_kmcnt 0x0
	v_cmp_neq_f64_e64 s2, s[10:11], 0
	s_cmp_lg_u64 s[8:9], 0
	s_cselect_b32 s3, -1, 0
	s_delay_alu instid0(SALU_CYCLE_1)
	s_and_b32 s2, s3, s2
.LBB186_2:
	s_delay_alu instid0(SALU_CYCLE_1)
	s_and_not1_b32 vcc_lo, exec_lo, s2
	s_cbranch_vccnz .LBB186_35
; %bb.3:
	s_load_b32 s33, s[0:1], 0x68
	s_bfe_u32 s2, ttmp6, 0x40014
	s_lshr_b32 s3, ttmp7, 16
	s_add_co_i32 s2, s2, 1
	s_bfe_u32 s5, ttmp6, 0x40008
	s_mul_i32 s4, s3, s2
	s_getreg_b32 s2, hwreg(HW_REG_IB_STS2, 6, 4)
	s_add_co_i32 s5, s5, s4
	s_cmp_eq_u32 s2, 0
	s_mov_b32 s25, 0
	s_cselect_b32 s24, s3, s5
	s_wait_kmcnt 0x0
	s_cmp_ge_u32 s24, s33
	s_cbranch_scc1 .LBB186_35
; %bb.4:
	v_and_b32_e32 v6, 0x3ff, v0
	v_bfe_u32 v7, v0, 10, 10
	s_bfe_u32 s4, ttmp6, 0x4000c
	s_bfe_u32 s34, ttmp6, 0x40010
	s_and_b32 s5, ttmp7, 0xffff
	s_add_co_i32 s4, s4, 1
	s_add_co_i32 s34, s34, 1
	v_lshl_add_u32 v8, v7, 4, v6
	s_and_b32 s3, ttmp6, 15
	s_mul_i32 s4, ttmp9, s4
	s_mul_i32 s34, s5, s34
	s_bfe_u32 s35, ttmp6, 0x40004
	s_add_co_i32 s3, s3, s4
	s_add_co_i32 s35, s35, s34
	s_cmp_eq_u32 s2, 0
	v_dual_lshrrev_b32 v10, 3, v8 :: v_dual_bitop2_b32 v11, 31, v8 bitop3:0x40
	s_cselect_b32 s2, ttmp9, s3
	s_cselect_b32 s3, s5, s35
	s_lshl_b32 s2, s2, 5
	s_lshl_b32 s3, s3, 5
	s_delay_alu instid0(SALU_CYCLE_1) | instskip(SKIP_3) | instid1(VALU_DEP_3)
	v_dual_add_nc_u32 v14, s3, v10 :: v_dual_bitop2_b32 v12, s2, v11 bitop3:0x54
	v_add_nc_u32_e32 v16, s3, v7
	s_load_b32 s4, s[0:1], 0x0
	v_dual_lshlrev_b32 v1, 3, v6 :: v_dual_bitop2_b32 v0, 7, v0 bitop3:0x40
	v_dual_ashrrev_i32 v13, 31, v12 :: v_dual_ashrrev_i32 v15, 31, v14
	s_delay_alu instid0(VALU_DEP_3) | instskip(SKIP_1) | instid1(VALU_DEP_3)
	v_dual_add_nc_u32 v22, 16, v16 :: v_dual_add_nc_u32 v6, s2, v6
	v_lshl_add_u32 v9, v7, 6, 0x800
	v_mul_u64_e32 v[18:19], s[14:15], v[12:13]
	s_delay_alu instid0(VALU_DEP_4) | instskip(NEXT) | instid1(VALU_DEP_4)
	v_mul_u64_e32 v[20:21], s[20:21], v[14:15]
	v_dual_ashrrev_i32 v23, 31, v22 :: v_dual_ashrrev_i32 v17, 31, v16
	v_cmp_neq_f64_e64 s20, s[10:11], 0
	v_cmp_neq_f64_e64 s14, s[6:7], 0
	v_lshlrev_b32_e32 v13, 3, v0
	s_delay_alu instid0(VALU_DEP_4)
	v_mul_u64_e32 v[4:5], s[28:29], v[22:23]
	v_mul_u64_e32 v[2:3], s[28:29], v[16:17]
	v_cmp_le_i32_e32 vcc_lo, v6, v16
	v_ashrrev_i32_e32 v7, 31, v6
	v_lshl_or_b32 v13, v10, 6, v13
	v_add_nc_u32_e32 v10, 16, v6
	s_wait_kmcnt 0x0
	v_cmp_gt_i32_e64 s2, s4, v16
	v_dual_lshrrev_b32 v8, 5, v8 :: v_dual_lshlrev_b32 v11, 3, v11
	v_cmp_gt_i64_e64 s21, s[8:9], 0
	v_cmp_gt_i32_e64 s0, s4, v12
	v_cmp_gt_i32_e64 s1, s4, v14
	v_cmp_le_i32_e64 s3, v10, v16
	s_and_b32 s15, s2, vcc_lo
	v_cmp_gt_i32_e32 vcc_lo, s4, v22
	v_cmp_le_i32_e64 s4, v6, v22
	v_cmp_le_i32_e64 s5, v10, v22
	v_lshl_or_b32 v34, v8, 8, v11
	v_add_nc_u32_e32 v35, 0x800, v13
	v_dual_ashrrev_i32 v11, 31, v10 :: v_dual_mov_b32 v17, 0
	s_and_b32 s4, vcc_lo, s4
	s_and_b32 s5, vcc_lo, s5
	v_lshl_add_u64 v[12:13], v[18:19], 3, s[12:13]
	v_lshl_add_u64 v[14:15], v[20:21], 3, s[18:19]
	s_and_b32 s13, s2, s3
	s_and_b32 s12, s20, s21
	s_branch .LBB186_6
.LBB186_5:                              ;   in Loop: Header=BB186_6 Depth=1
	s_wait_xcnt 0x0
	s_or_b32 exec_lo, exec_lo, s2
	s_add_co_i32 s24, s24, 0x10000
	s_delay_alu instid0(SALU_CYCLE_1)
	s_cmp_lt_u32 s24, s33
	s_cbranch_scc0 .LBB186_35
.LBB186_6:                              ; =>This Loop Header: Depth=1
                                        ;     Child Loop BB186_9 Depth 2
	v_mov_b64_e32 v[24:25], 0
	v_mov_b64_e32 v[22:23], 0
	;; [unrolled: 1-line block ×4, first 2 shown]
	s_and_not1_b32 vcc_lo, exec_lo, s12
	s_cbranch_vccnz .LBB186_15
; %bb.7:                                ;   in Loop: Header=BB186_6 Depth=1
	s_mul_u64 s[2:3], s[22:23], s[24:25]
	s_mul_u64 s[18:19], s[16:17], s[24:25]
	v_mov_b64_e32 v[18:19], 0
	v_mov_b64_e32 v[20:21], 0
	;; [unrolled: 1-line block ×4, first 2 shown]
	v_lshl_add_u64 v[26:27], s[18:19], 3, v[12:13]
	v_lshl_add_u64 v[28:29], s[2:3], 3, v[14:15]
	s_mov_b64 s[2:3], 0
	s_branch .LBB186_9
.LBB186_8:                              ;   in Loop: Header=BB186_9 Depth=2
	s_wait_xcnt 0x0
	s_or_b32 exec_lo, exec_lo, s18
	s_wait_loadcnt 0x0
	ds_store_b64 v35, v[32:33]
	s_wait_dscnt 0x0
	s_barrier_signal -1
	s_barrier_wait -1
	ds_load_b128 v[30:33], v9
	ds_load_2addr_b64 v[36:39], v1 offset1:16
	ds_load_b128 v[40:43], v9 offset:1024
	ds_load_b128 v[44:47], v9 offset:16
	;; [unrolled: 1-line block ×3, first 2 shown]
	s_add_nc_u64 s[2:3], s[2:3], 8
	s_delay_alu instid0(SALU_CYCLE_1)
	v_cmp_gt_i64_e64 s18, s[8:9], s[2:3]
	s_and_b32 vcc_lo, exec_lo, s18
	s_wait_dscnt 0x3
	v_fmac_f64_e32 v[24:25], v[36:37], v[30:31]
	v_fmac_f64_e32 v[22:23], v[38:39], v[30:31]
	s_wait_dscnt 0x2
	v_fmac_f64_e32 v[20:21], v[36:37], v[40:41]
	v_fmac_f64_e32 v[18:19], v[38:39], v[40:41]
	ds_load_2addr_b64 v[36:39], v1 offset0:32 offset1:48
	s_wait_dscnt 0x0
	v_fmac_f64_e32 v[24:25], v[36:37], v[32:33]
	v_fmac_f64_e32 v[22:23], v[38:39], v[32:33]
	v_fmac_f64_e32 v[20:21], v[36:37], v[42:43]
	v_fmac_f64_e32 v[18:19], v[38:39], v[42:43]
	ds_load_2addr_b64 v[30:33], v1 offset0:64 offset1:80
	s_wait_dscnt 0x0
	v_fmac_f64_e32 v[24:25], v[30:31], v[44:45]
	v_fmac_f64_e32 v[22:23], v[32:33], v[44:45]
	;; [unrolled: 6-line block ×3, first 2 shown]
	v_fmac_f64_e32 v[20:21], v[30:31], v[50:51]
	v_fmac_f64_e32 v[18:19], v[32:33], v[50:51]
	ds_load_b128 v[30:33], v9 offset:32
	ds_load_2addr_b64 v[36:39], v1 offset0:128 offset1:144
	ds_load_b128 v[40:43], v9 offset:1056
	ds_load_b128 v[44:47], v9 offset:48
	;; [unrolled: 1-line block ×3, first 2 shown]
	s_wait_dscnt 0x3
	v_fmac_f64_e32 v[24:25], v[36:37], v[30:31]
	v_fmac_f64_e32 v[22:23], v[38:39], v[30:31]
	s_wait_dscnt 0x2
	v_fmac_f64_e32 v[20:21], v[36:37], v[40:41]
	v_fmac_f64_e32 v[18:19], v[38:39], v[40:41]
	ds_load_2addr_b64 v[36:39], v1 offset0:160 offset1:176
	s_wait_dscnt 0x0
	v_fmac_f64_e32 v[24:25], v[36:37], v[32:33]
	v_fmac_f64_e32 v[22:23], v[38:39], v[32:33]
	v_fmac_f64_e32 v[20:21], v[36:37], v[42:43]
	v_fmac_f64_e32 v[18:19], v[38:39], v[42:43]
	ds_load_2addr_b64 v[30:33], v1 offset0:192 offset1:208
	s_wait_dscnt 0x0
	v_fmac_f64_e32 v[24:25], v[30:31], v[44:45]
	v_fmac_f64_e32 v[22:23], v[32:33], v[44:45]
	;; [unrolled: 1-line block ×4, first 2 shown]
	ds_load_2addr_b64 v[30:33], v1 offset0:224 offset1:240
	s_wait_dscnt 0x0
	s_barrier_signal -1
	s_barrier_wait -1
	v_fmac_f64_e32 v[24:25], v[30:31], v[46:47]
	v_fmac_f64_e32 v[22:23], v[32:33], v[46:47]
	;; [unrolled: 1-line block ×4, first 2 shown]
	s_cbranch_vccz .LBB186_15
.LBB186_9:                              ;   Parent Loop BB186_6 Depth=1
                                        ; =>  This Inner Loop Header: Depth=2
	v_mov_b64_e32 v[30:31], 0
	s_and_saveexec_b32 s18, s0
	s_cbranch_execz .LBB186_13
; %bb.10:                               ;   in Loop: Header=BB186_9 Depth=2
	v_mov_b64_e32 v[30:31], 0
	v_add_nc_u32_e32 v16, s2, v8
	s_mov_b32 s19, exec_lo
	s_delay_alu instid0(VALU_DEP_1)
	v_cmpx_gt_u64_e64 s[8:9], v[16:17]
	s_cbranch_execz .LBB186_12
; %bb.11:                               ;   in Loop: Header=BB186_9 Depth=2
	v_lshl_add_u64 v[30:31], v[16:17], 3, v[26:27]
	global_load_b64 v[30:31], v[30:31], off
.LBB186_12:                             ;   in Loop: Header=BB186_9 Depth=2
	s_wait_xcnt 0x0
	s_or_b32 exec_lo, exec_lo, s19
.LBB186_13:                             ;   in Loop: Header=BB186_9 Depth=2
	s_delay_alu instid0(SALU_CYCLE_1)
	s_or_b32 exec_lo, exec_lo, s18
	v_add_nc_u32_e32 v16, s2, v0
	v_mov_b64_e32 v[32:33], 0
	s_wait_loadcnt 0x0
	ds_store_b64 v34, v[30:31]
	v_cmp_gt_u64_e32 vcc_lo, s[8:9], v[16:17]
	s_and_b32 s19, vcc_lo, s1
	s_delay_alu instid0(SALU_CYCLE_1)
	s_and_saveexec_b32 s18, s19
	s_cbranch_execz .LBB186_8
; %bb.14:                               ;   in Loop: Header=BB186_9 Depth=2
	v_lshl_add_u64 v[30:31], v[16:17], 3, v[28:29]
	global_load_b64 v[32:33], v[30:31], off
	s_branch .LBB186_8
.LBB186_15:                             ;   in Loop: Header=BB186_6 Depth=1
	s_mul_u64 s[2:3], s[30:31], s[24:25]
	s_delay_alu instid0(SALU_CYCLE_1) | instskip(NEXT) | instid1(SALU_CYCLE_1)
	s_lshl_b64 s[2:3], s[2:3], 3
	s_add_nc_u64 s[2:3], s[26:27], s[2:3]
	s_delay_alu instid0(SALU_CYCLE_1)
	v_lshl_add_u64 v[26:27], v[2:3], 3, s[2:3]
	s_and_saveexec_b32 s18, s15
	s_cbranch_execz .LBB186_19
; %bb.16:                               ;   in Loop: Header=BB186_6 Depth=1
	v_mul_f64_e32 v[24:25], s[10:11], v[24:25]
	s_delay_alu instid0(VALU_DEP_2)
	v_lshl_add_u64 v[28:29], v[6:7], 3, v[26:27]
	s_and_b32 vcc_lo, exec_lo, s14
	s_cbranch_vccz .LBB186_30
; %bb.17:                               ;   in Loop: Header=BB186_6 Depth=1
	global_load_b64 v[30:31], v[28:29], off
	s_wait_loadcnt 0x0
	v_fma_f64 v[30:31], s[6:7], v[30:31], v[24:25]
	global_store_b64 v[28:29], v[30:31], off
	s_cbranch_execnz .LBB186_19
.LBB186_18:                             ;   in Loop: Header=BB186_6 Depth=1
	global_store_b64 v[28:29], v[24:25], off
.LBB186_19:                             ;   in Loop: Header=BB186_6 Depth=1
	s_wait_xcnt 0x0
	s_or_b32 exec_lo, exec_lo, s18
	s_and_saveexec_b32 s18, s13
	s_cbranch_execz .LBB186_23
; %bb.20:                               ;   in Loop: Header=BB186_6 Depth=1
	s_delay_alu instid0(VALU_DEP_4)
	v_mul_f64_e32 v[22:23], s[10:11], v[22:23]
	v_lshl_add_u64 v[24:25], v[10:11], 3, v[26:27]
	s_and_not1_b32 vcc_lo, exec_lo, s14
	s_cbranch_vccnz .LBB186_31
; %bb.21:                               ;   in Loop: Header=BB186_6 Depth=1
	global_load_b64 v[26:27], v[24:25], off
	s_wait_loadcnt 0x0
	v_fma_f64 v[26:27], s[6:7], v[26:27], v[22:23]
	global_store_b64 v[24:25], v[26:27], off
	s_cbranch_execnz .LBB186_23
.LBB186_22:                             ;   in Loop: Header=BB186_6 Depth=1
	global_store_b64 v[24:25], v[22:23], off
.LBB186_23:                             ;   in Loop: Header=BB186_6 Depth=1
	s_wait_xcnt 0x0
	s_or_b32 exec_lo, exec_lo, s18
	v_lshl_add_u64 v[22:23], v[4:5], 3, s[2:3]
	s_and_saveexec_b32 s2, s4
	s_cbranch_execz .LBB186_27
; %bb.24:                               ;   in Loop: Header=BB186_6 Depth=1
	s_delay_alu instid0(VALU_DEP_4) | instskip(NEXT) | instid1(VALU_DEP_2)
	v_mul_f64_e32 v[20:21], s[10:11], v[20:21]
	v_lshl_add_u64 v[24:25], v[6:7], 3, v[22:23]
	s_and_not1_b32 vcc_lo, exec_lo, s14
	s_cbranch_vccnz .LBB186_32
; %bb.25:                               ;   in Loop: Header=BB186_6 Depth=1
	global_load_b64 v[26:27], v[24:25], off
	s_wait_loadcnt 0x0
	v_fma_f64 v[26:27], s[6:7], v[26:27], v[20:21]
	global_store_b64 v[24:25], v[26:27], off
	s_cbranch_execnz .LBB186_27
.LBB186_26:                             ;   in Loop: Header=BB186_6 Depth=1
	global_store_b64 v[24:25], v[20:21], off
.LBB186_27:                             ;   in Loop: Header=BB186_6 Depth=1
	s_wait_xcnt 0x0
	s_or_b32 exec_lo, exec_lo, s2
	s_and_saveexec_b32 s2, s5
	s_cbranch_execz .LBB186_5
; %bb.28:                               ;   in Loop: Header=BB186_6 Depth=1
	s_delay_alu instid0(VALU_DEP_3)
	v_mul_f64_e32 v[18:19], s[10:11], v[18:19]
	v_lshl_add_u64 v[20:21], v[10:11], 3, v[22:23]
	s_and_not1_b32 vcc_lo, exec_lo, s14
	s_cbranch_vccnz .LBB186_33
; %bb.29:                               ;   in Loop: Header=BB186_6 Depth=1
	global_load_b64 v[22:23], v[20:21], off
	s_wait_loadcnt 0x0
	v_fma_f64 v[22:23], s[6:7], v[22:23], v[18:19]
	global_store_b64 v[20:21], v[22:23], off
	s_cbranch_execnz .LBB186_5
	s_branch .LBB186_34
.LBB186_30:                             ;   in Loop: Header=BB186_6 Depth=1
	s_branch .LBB186_18
.LBB186_31:                             ;   in Loop: Header=BB186_6 Depth=1
	s_branch .LBB186_22
.LBB186_32:                             ;   in Loop: Header=BB186_6 Depth=1
	s_branch .LBB186_26
.LBB186_33:                             ;   in Loop: Header=BB186_6 Depth=1
.LBB186_34:                             ;   in Loop: Header=BB186_6 Depth=1
	global_store_b64 v[20:21], v[18:19], off
	s_branch .LBB186_5
.LBB186_35:
	s_endpgm
	.section	.rodata,"a",@progbits
	.p2align	6, 0x0
	.amdhsa_kernel _ZL29rocblas_internal_gemmt_kernelIlLi16ELi32ELi8ELc67ELc78ELc85ELb0ELb0EdPKdS1_PdEviT_T9_T10_S3_lS5_S3_lS4_T11_S3_li
		.amdhsa_group_segment_fixed_size 4096
		.amdhsa_private_segment_fixed_size 0
		.amdhsa_kernarg_size 108
		.amdhsa_user_sgpr_count 2
		.amdhsa_user_sgpr_dispatch_ptr 0
		.amdhsa_user_sgpr_queue_ptr 0
		.amdhsa_user_sgpr_kernarg_segment_ptr 1
		.amdhsa_user_sgpr_dispatch_id 0
		.amdhsa_user_sgpr_kernarg_preload_length 0
		.amdhsa_user_sgpr_kernarg_preload_offset 0
		.amdhsa_user_sgpr_private_segment_size 0
		.amdhsa_wavefront_size32 1
		.amdhsa_uses_dynamic_stack 0
		.amdhsa_enable_private_segment 0
		.amdhsa_system_sgpr_workgroup_id_x 1
		.amdhsa_system_sgpr_workgroup_id_y 1
		.amdhsa_system_sgpr_workgroup_id_z 1
		.amdhsa_system_sgpr_workgroup_info 0
		.amdhsa_system_vgpr_workitem_id 1
		.amdhsa_next_free_vgpr 52
		.amdhsa_next_free_sgpr 36
		.amdhsa_named_barrier_count 0
		.amdhsa_reserve_vcc 1
		.amdhsa_float_round_mode_32 0
		.amdhsa_float_round_mode_16_64 0
		.amdhsa_float_denorm_mode_32 3
		.amdhsa_float_denorm_mode_16_64 3
		.amdhsa_fp16_overflow 0
		.amdhsa_memory_ordered 1
		.amdhsa_forward_progress 1
		.amdhsa_inst_pref_size 13
		.amdhsa_round_robin_scheduling 0
		.amdhsa_exception_fp_ieee_invalid_op 0
		.amdhsa_exception_fp_denorm_src 0
		.amdhsa_exception_fp_ieee_div_zero 0
		.amdhsa_exception_fp_ieee_overflow 0
		.amdhsa_exception_fp_ieee_underflow 0
		.amdhsa_exception_fp_ieee_inexact 0
		.amdhsa_exception_int_div_zero 0
	.end_amdhsa_kernel
	.section	.text._ZL29rocblas_internal_gemmt_kernelIlLi16ELi32ELi8ELc67ELc78ELc85ELb0ELb0EdPKdS1_PdEviT_T9_T10_S3_lS5_S3_lS4_T11_S3_li,"axG",@progbits,_ZL29rocblas_internal_gemmt_kernelIlLi16ELi32ELi8ELc67ELc78ELc85ELb0ELb0EdPKdS1_PdEviT_T9_T10_S3_lS5_S3_lS4_T11_S3_li,comdat
.Lfunc_end186:
	.size	_ZL29rocblas_internal_gemmt_kernelIlLi16ELi32ELi8ELc67ELc78ELc85ELb0ELb0EdPKdS1_PdEviT_T9_T10_S3_lS5_S3_lS4_T11_S3_li, .Lfunc_end186-_ZL29rocblas_internal_gemmt_kernelIlLi16ELi32ELi8ELc67ELc78ELc85ELb0ELb0EdPKdS1_PdEviT_T9_T10_S3_lS5_S3_lS4_T11_S3_li
                                        ; -- End function
	.set _ZL29rocblas_internal_gemmt_kernelIlLi16ELi32ELi8ELc67ELc78ELc85ELb0ELb0EdPKdS1_PdEviT_T9_T10_S3_lS5_S3_lS4_T11_S3_li.num_vgpr, 52
	.set _ZL29rocblas_internal_gemmt_kernelIlLi16ELi32ELi8ELc67ELc78ELc85ELb0ELb0EdPKdS1_PdEviT_T9_T10_S3_lS5_S3_lS4_T11_S3_li.num_agpr, 0
	.set _ZL29rocblas_internal_gemmt_kernelIlLi16ELi32ELi8ELc67ELc78ELc85ELb0ELb0EdPKdS1_PdEviT_T9_T10_S3_lS5_S3_lS4_T11_S3_li.numbered_sgpr, 36
	.set _ZL29rocblas_internal_gemmt_kernelIlLi16ELi32ELi8ELc67ELc78ELc85ELb0ELb0EdPKdS1_PdEviT_T9_T10_S3_lS5_S3_lS4_T11_S3_li.num_named_barrier, 0
	.set _ZL29rocblas_internal_gemmt_kernelIlLi16ELi32ELi8ELc67ELc78ELc85ELb0ELb0EdPKdS1_PdEviT_T9_T10_S3_lS5_S3_lS4_T11_S3_li.private_seg_size, 0
	.set _ZL29rocblas_internal_gemmt_kernelIlLi16ELi32ELi8ELc67ELc78ELc85ELb0ELb0EdPKdS1_PdEviT_T9_T10_S3_lS5_S3_lS4_T11_S3_li.uses_vcc, 1
	.set _ZL29rocblas_internal_gemmt_kernelIlLi16ELi32ELi8ELc67ELc78ELc85ELb0ELb0EdPKdS1_PdEviT_T9_T10_S3_lS5_S3_lS4_T11_S3_li.uses_flat_scratch, 0
	.set _ZL29rocblas_internal_gemmt_kernelIlLi16ELi32ELi8ELc67ELc78ELc85ELb0ELb0EdPKdS1_PdEviT_T9_T10_S3_lS5_S3_lS4_T11_S3_li.has_dyn_sized_stack, 0
	.set _ZL29rocblas_internal_gemmt_kernelIlLi16ELi32ELi8ELc67ELc78ELc85ELb0ELb0EdPKdS1_PdEviT_T9_T10_S3_lS5_S3_lS4_T11_S3_li.has_recursion, 0
	.set _ZL29rocblas_internal_gemmt_kernelIlLi16ELi32ELi8ELc67ELc78ELc85ELb0ELb0EdPKdS1_PdEviT_T9_T10_S3_lS5_S3_lS4_T11_S3_li.has_indirect_call, 0
	.section	.AMDGPU.csdata,"",@progbits
; Kernel info:
; codeLenInByte = 1600
; TotalNumSgprs: 38
; NumVgprs: 52
; ScratchSize: 0
; MemoryBound: 0
; FloatMode: 240
; IeeeMode: 1
; LDSByteSize: 4096 bytes/workgroup (compile time only)
; SGPRBlocks: 0
; VGPRBlocks: 3
; NumSGPRsForWavesPerEU: 38
; NumVGPRsForWavesPerEU: 52
; NamedBarCnt: 0
; Occupancy: 16
; WaveLimiterHint : 0
; COMPUTE_PGM_RSRC2:SCRATCH_EN: 0
; COMPUTE_PGM_RSRC2:USER_SGPR: 2
; COMPUTE_PGM_RSRC2:TRAP_HANDLER: 0
; COMPUTE_PGM_RSRC2:TGID_X_EN: 1
; COMPUTE_PGM_RSRC2:TGID_Y_EN: 1
; COMPUTE_PGM_RSRC2:TGID_Z_EN: 1
; COMPUTE_PGM_RSRC2:TIDIG_COMP_CNT: 1
	.section	.text._ZL29rocblas_internal_gemmt_kernelIlLi16ELi32ELi8ELc67ELc84ELc85ELb0ELb0EdPKdS1_PdEviT_T9_T10_S3_lS5_S3_lS4_T11_S3_li,"axG",@progbits,_ZL29rocblas_internal_gemmt_kernelIlLi16ELi32ELi8ELc67ELc84ELc85ELb0ELb0EdPKdS1_PdEviT_T9_T10_S3_lS5_S3_lS4_T11_S3_li,comdat
	.globl	_ZL29rocblas_internal_gemmt_kernelIlLi16ELi32ELi8ELc67ELc84ELc85ELb0ELb0EdPKdS1_PdEviT_T9_T10_S3_lS5_S3_lS4_T11_S3_li ; -- Begin function _ZL29rocblas_internal_gemmt_kernelIlLi16ELi32ELi8ELc67ELc84ELc85ELb0ELb0EdPKdS1_PdEviT_T9_T10_S3_lS5_S3_lS4_T11_S3_li
	.p2align	8
	.type	_ZL29rocblas_internal_gemmt_kernelIlLi16ELi32ELi8ELc67ELc84ELc85ELb0ELb0EdPKdS1_PdEviT_T9_T10_S3_lS5_S3_lS4_T11_S3_li,@function
_ZL29rocblas_internal_gemmt_kernelIlLi16ELi32ELi8ELc67ELc84ELc85ELb0ELb0EdPKdS1_PdEviT_T9_T10_S3_lS5_S3_lS4_T11_S3_li: ; @_ZL29rocblas_internal_gemmt_kernelIlLi16ELi32ELi8ELc67ELc84ELc85ELb0ELb0EdPKdS1_PdEviT_T9_T10_S3_lS5_S3_lS4_T11_S3_li
; %bb.0:
	s_load_b256 s[24:31], s[0:1], 0x48
	s_wait_kmcnt 0x0
	s_load_b64 s[6:7], s[24:25], 0x0
	s_load_b512 s[8:23], s[0:1], 0x8
	s_wait_kmcnt 0x0
	v_cmp_neq_f64_e64 s2, s[6:7], 1.0
	s_load_b64 s[10:11], s[10:11], 0x0
	s_and_b32 vcc_lo, exec_lo, s2
	s_cbranch_vccnz .LBB187_2
; %bb.1:
	s_wait_kmcnt 0x0
	v_cmp_neq_f64_e64 s2, s[10:11], 0
	s_cmp_lg_u64 s[8:9], 0
	s_cselect_b32 s3, -1, 0
	s_delay_alu instid0(SALU_CYCLE_1)
	s_and_b32 s2, s3, s2
.LBB187_2:
	s_delay_alu instid0(SALU_CYCLE_1)
	s_and_not1_b32 vcc_lo, exec_lo, s2
	s_cbranch_vccnz .LBB187_35
; %bb.3:
	s_load_b32 s33, s[0:1], 0x68
	s_bfe_u32 s2, ttmp6, 0x40014
	s_lshr_b32 s3, ttmp7, 16
	s_add_co_i32 s2, s2, 1
	s_bfe_u32 s5, ttmp6, 0x40008
	s_mul_i32 s4, s3, s2
	s_getreg_b32 s2, hwreg(HW_REG_IB_STS2, 6, 4)
	s_add_co_i32 s5, s5, s4
	s_cmp_eq_u32 s2, 0
	s_mov_b32 s25, 0
	s_cselect_b32 s24, s3, s5
	s_wait_kmcnt 0x0
	s_cmp_ge_u32 s24, s33
	s_cbranch_scc1 .LBB187_35
; %bb.4:
	s_bfe_u32 s3, ttmp6, 0x4000c
	s_bfe_u32 s5, ttmp6, 0x40010
	s_add_co_i32 s3, s3, 1
	s_and_b32 s34, ttmp7, 0xffff
	s_add_co_i32 s5, s5, 1
	v_and_b32_e32 v6, 0x3ff, v0
	v_bfe_u32 v7, v0, 10, 10
	s_and_b32 s4, ttmp6, 15
	s_mul_i32 s3, ttmp9, s3
	s_mul_i32 s5, s34, s5
	s_bfe_u32 s35, ttmp6, 0x40004
	s_add_co_i32 s4, s4, s3
	s_add_co_i32 s35, s35, s5
	s_cmp_eq_u32 s2, 0
	v_lshl_add_u32 v8, v7, 4, v6
	s_cselect_b32 s3, s34, s35
	s_cselect_b32 s2, ttmp9, s4
	s_lshl_b32 s3, s3, 5
	s_lshl_b32 s2, s2, 5
	v_dual_add_nc_u32 v14, s3, v7 :: v_dual_bitop2_b32 v10, 31, v8 bitop3:0x40
	v_and_b32_e32 v0, 7, v0
	v_cmp_neq_f64_e64 s34, s[10:11], 0
	s_load_b32 s4, s[0:1], 0x0
	v_lshlrev_b32_e32 v1, 3, v6
	v_add_nc_u32_e32 v16, 16, v14
	v_or_b32_e32 v12, s2, v10
	v_dual_ashrrev_i32 v15, 31, v14 :: v_dual_lshlrev_b32 v11, 3, v0
	s_delay_alu instid0(VALU_DEP_3) | instskip(NEXT) | instid1(VALU_DEP_3)
	v_dual_add_nc_u32 v6, s2, v6 :: v_dual_ashrrev_i32 v17, 31, v16
	v_ashrrev_i32_e32 v13, 31, v12
	s_delay_alu instid0(VALU_DEP_3) | instskip(SKIP_1) | instid1(VALU_DEP_4)
	v_mul_u64_e32 v[2:3], s[28:29], v[14:15]
	v_lshl_add_u32 v9, v7, 6, 0x800
	v_cmp_le_i32_e32 vcc_lo, v6, v14
	v_mul_u64_e32 v[4:5], s[28:29], v[16:17]
	v_mul_u64_e32 v[18:19], s[14:15], v[12:13]
	v_cmp_neq_f64_e64 s14, s[6:7], 0
	v_dual_lshrrev_b32 v13, 3, v8 :: v_dual_lshrrev_b32 v8, 5, v8
	v_ashrrev_i32_e32 v7, 31, v6
	v_cmp_gt_i64_e64 s35, s[8:9], 0
	s_delay_alu instid0(VALU_DEP_3)
	v_dual_mov_b32 v17, 0 :: v_dual_add_nc_u32 v20, s3, v13
	v_lshlrev_b32_e32 v15, 3, v10
	v_add_nc_u32_e32 v10, 16, v6
	s_wait_kmcnt 0x0
	v_cmp_gt_i32_e64 s2, s4, v14
	v_lshl_or_b32 v11, v13, 6, v11
	v_ashrrev_i32_e32 v21, 31, v20
	v_cmp_gt_i32_e64 s0, s4, v12
	v_cmp_gt_i32_e64 s1, s4, v20
	v_cmp_le_i32_e64 s3, v10, v14
	v_cmp_gt_i32_e64 s4, s4, v16
	s_and_b32 s15, s2, vcc_lo
	v_cmp_le_i32_e32 vcc_lo, v6, v16
	v_cmp_le_i32_e64 s5, v10, v16
	v_lshl_or_b32 v34, v8, 8, v15
	v_add_nc_u32_e32 v35, 0x800, v11
	v_ashrrev_i32_e32 v11, 31, v10
	v_lshl_add_u64 v[12:13], v[20:21], 3, s[18:19]
	s_and_b32 s18, s4, vcc_lo
	s_and_b32 s4, s4, s5
	v_lshl_add_u64 v[14:15], v[18:19], 3, s[12:13]
	s_and_b32 s12, s34, s35
	s_and_b32 s13, s2, s3
	s_branch .LBB187_6
.LBB187_5:                              ;   in Loop: Header=BB187_6 Depth=1
	s_wait_xcnt 0x0
	s_or_b32 exec_lo, exec_lo, s2
	s_add_co_i32 s24, s24, 0x10000
	s_delay_alu instid0(SALU_CYCLE_1)
	s_cmp_lt_u32 s24, s33
	s_cbranch_scc0 .LBB187_35
.LBB187_6:                              ; =>This Loop Header: Depth=1
                                        ;     Child Loop BB187_9 Depth 2
	v_mov_b64_e32 v[24:25], 0
	v_mov_b64_e32 v[22:23], 0
	;; [unrolled: 1-line block ×4, first 2 shown]
	s_and_not1_b32 vcc_lo, exec_lo, s12
	s_cbranch_vccnz .LBB187_15
; %bb.7:                                ;   in Loop: Header=BB187_6 Depth=1
	s_mul_u64 s[2:3], s[22:23], s[24:25]
	s_mul_u64 s[28:29], s[16:17], s[24:25]
	v_mov_b64_e32 v[18:19], 0
	v_mov_b64_e32 v[20:21], 0
	;; [unrolled: 1-line block ×4, first 2 shown]
	v_lshl_add_u64 v[26:27], s[28:29], 3, v[14:15]
	v_lshl_add_u64 v[28:29], s[2:3], 3, v[12:13]
	s_mov_b64 s[2:3], 0
	s_branch .LBB187_9
.LBB187_8:                              ;   in Loop: Header=BB187_9 Depth=2
	s_wait_xcnt 0x0
	s_or_b32 exec_lo, exec_lo, s5
	s_wait_loadcnt 0x0
	ds_store_b64 v35, v[32:33]
	s_wait_dscnt 0x0
	s_barrier_signal -1
	s_barrier_wait -1
	ds_load_b128 v[30:33], v9
	ds_load_2addr_b64 v[36:39], v1 offset1:16
	ds_load_b128 v[40:43], v9 offset:1024
	ds_load_b128 v[44:47], v9 offset:16
	;; [unrolled: 1-line block ×3, first 2 shown]
	s_add_nc_u64 s[2:3], s[2:3], 8
	s_delay_alu instid0(SALU_CYCLE_1)
	v_cmp_gt_i64_e64 s5, s[8:9], s[2:3]
	s_and_b32 vcc_lo, exec_lo, s5
	s_wait_dscnt 0x3
	v_fmac_f64_e32 v[24:25], v[36:37], v[30:31]
	v_fmac_f64_e32 v[22:23], v[38:39], v[30:31]
	s_wait_dscnt 0x2
	v_fmac_f64_e32 v[20:21], v[36:37], v[40:41]
	v_fmac_f64_e32 v[18:19], v[38:39], v[40:41]
	ds_load_2addr_b64 v[36:39], v1 offset0:32 offset1:48
	s_wait_dscnt 0x0
	v_fmac_f64_e32 v[24:25], v[36:37], v[32:33]
	v_fmac_f64_e32 v[22:23], v[38:39], v[32:33]
	v_fmac_f64_e32 v[20:21], v[36:37], v[42:43]
	v_fmac_f64_e32 v[18:19], v[38:39], v[42:43]
	ds_load_2addr_b64 v[30:33], v1 offset0:64 offset1:80
	s_wait_dscnt 0x0
	v_fmac_f64_e32 v[24:25], v[30:31], v[44:45]
	v_fmac_f64_e32 v[22:23], v[32:33], v[44:45]
	;; [unrolled: 6-line block ×3, first 2 shown]
	v_fmac_f64_e32 v[20:21], v[30:31], v[50:51]
	v_fmac_f64_e32 v[18:19], v[32:33], v[50:51]
	ds_load_b128 v[30:33], v9 offset:32
	ds_load_2addr_b64 v[36:39], v1 offset0:128 offset1:144
	ds_load_b128 v[40:43], v9 offset:1056
	ds_load_b128 v[44:47], v9 offset:48
	;; [unrolled: 1-line block ×3, first 2 shown]
	s_wait_dscnt 0x3
	v_fmac_f64_e32 v[24:25], v[36:37], v[30:31]
	v_fmac_f64_e32 v[22:23], v[38:39], v[30:31]
	s_wait_dscnt 0x2
	v_fmac_f64_e32 v[20:21], v[36:37], v[40:41]
	v_fmac_f64_e32 v[18:19], v[38:39], v[40:41]
	ds_load_2addr_b64 v[36:39], v1 offset0:160 offset1:176
	s_wait_dscnt 0x0
	v_fmac_f64_e32 v[24:25], v[36:37], v[32:33]
	v_fmac_f64_e32 v[22:23], v[38:39], v[32:33]
	;; [unrolled: 1-line block ×4, first 2 shown]
	ds_load_2addr_b64 v[30:33], v1 offset0:192 offset1:208
	s_wait_dscnt 0x0
	v_fmac_f64_e32 v[24:25], v[30:31], v[44:45]
	v_fmac_f64_e32 v[22:23], v[32:33], v[44:45]
	;; [unrolled: 1-line block ×4, first 2 shown]
	ds_load_2addr_b64 v[30:33], v1 offset0:224 offset1:240
	s_wait_dscnt 0x0
	s_barrier_signal -1
	s_barrier_wait -1
	v_fmac_f64_e32 v[24:25], v[30:31], v[46:47]
	v_fmac_f64_e32 v[22:23], v[32:33], v[46:47]
	;; [unrolled: 1-line block ×4, first 2 shown]
	s_cbranch_vccz .LBB187_15
.LBB187_9:                              ;   Parent Loop BB187_6 Depth=1
                                        ; =>  This Inner Loop Header: Depth=2
	v_mov_b64_e32 v[30:31], 0
	s_and_saveexec_b32 s5, s0
	s_cbranch_execz .LBB187_13
; %bb.10:                               ;   in Loop: Header=BB187_9 Depth=2
	v_mov_b64_e32 v[30:31], 0
	v_add_nc_u32_e32 v16, s2, v8
	s_mov_b32 s19, exec_lo
	s_delay_alu instid0(VALU_DEP_1)
	v_cmpx_gt_u64_e64 s[8:9], v[16:17]
	s_cbranch_execz .LBB187_12
; %bb.11:                               ;   in Loop: Header=BB187_9 Depth=2
	v_lshl_add_u64 v[30:31], v[16:17], 3, v[26:27]
	global_load_b64 v[30:31], v[30:31], off
.LBB187_12:                             ;   in Loop: Header=BB187_9 Depth=2
	s_wait_xcnt 0x0
	s_or_b32 exec_lo, exec_lo, s19
.LBB187_13:                             ;   in Loop: Header=BB187_9 Depth=2
	s_delay_alu instid0(SALU_CYCLE_1)
	s_or_b32 exec_lo, exec_lo, s5
	v_add_nc_u32_e32 v16, s2, v0
	v_mov_b64_e32 v[32:33], 0
	s_wait_loadcnt 0x0
	ds_store_b64 v34, v[30:31]
	v_cmp_gt_u64_e32 vcc_lo, s[8:9], v[16:17]
	s_and_b32 s19, vcc_lo, s1
	s_delay_alu instid0(SALU_CYCLE_1)
	s_and_saveexec_b32 s5, s19
	s_cbranch_execz .LBB187_8
; %bb.14:                               ;   in Loop: Header=BB187_9 Depth=2
	v_mul_u64_e32 v[30:31], s[20:21], v[16:17]
	s_delay_alu instid0(VALU_DEP_1)
	v_lshl_add_u64 v[30:31], v[30:31], 3, v[28:29]
	global_load_b64 v[32:33], v[30:31], off
	s_branch .LBB187_8
.LBB187_15:                             ;   in Loop: Header=BB187_6 Depth=1
	s_mul_u64 s[2:3], s[30:31], s[24:25]
	s_delay_alu instid0(SALU_CYCLE_1) | instskip(NEXT) | instid1(SALU_CYCLE_1)
	s_lshl_b64 s[2:3], s[2:3], 3
	s_add_nc_u64 s[2:3], s[26:27], s[2:3]
	s_delay_alu instid0(SALU_CYCLE_1)
	v_lshl_add_u64 v[26:27], v[2:3], 3, s[2:3]
	s_and_saveexec_b32 s5, s15
	s_cbranch_execz .LBB187_19
; %bb.16:                               ;   in Loop: Header=BB187_6 Depth=1
	v_mul_f64_e32 v[24:25], s[10:11], v[24:25]
	s_delay_alu instid0(VALU_DEP_2)
	v_lshl_add_u64 v[28:29], v[6:7], 3, v[26:27]
	s_and_b32 vcc_lo, exec_lo, s14
	s_cbranch_vccz .LBB187_30
; %bb.17:                               ;   in Loop: Header=BB187_6 Depth=1
	global_load_b64 v[30:31], v[28:29], off
	s_wait_loadcnt 0x0
	v_fma_f64 v[30:31], s[6:7], v[30:31], v[24:25]
	global_store_b64 v[28:29], v[30:31], off
	s_cbranch_execnz .LBB187_19
.LBB187_18:                             ;   in Loop: Header=BB187_6 Depth=1
	global_store_b64 v[28:29], v[24:25], off
.LBB187_19:                             ;   in Loop: Header=BB187_6 Depth=1
	s_wait_xcnt 0x0
	s_or_b32 exec_lo, exec_lo, s5
	s_and_saveexec_b32 s5, s13
	s_cbranch_execz .LBB187_23
; %bb.20:                               ;   in Loop: Header=BB187_6 Depth=1
	s_delay_alu instid0(VALU_DEP_4)
	v_mul_f64_e32 v[22:23], s[10:11], v[22:23]
	v_lshl_add_u64 v[24:25], v[10:11], 3, v[26:27]
	s_and_not1_b32 vcc_lo, exec_lo, s14
	s_cbranch_vccnz .LBB187_31
; %bb.21:                               ;   in Loop: Header=BB187_6 Depth=1
	global_load_b64 v[26:27], v[24:25], off
	s_wait_loadcnt 0x0
	v_fma_f64 v[26:27], s[6:7], v[26:27], v[22:23]
	global_store_b64 v[24:25], v[26:27], off
	s_cbranch_execnz .LBB187_23
.LBB187_22:                             ;   in Loop: Header=BB187_6 Depth=1
	global_store_b64 v[24:25], v[22:23], off
.LBB187_23:                             ;   in Loop: Header=BB187_6 Depth=1
	s_wait_xcnt 0x0
	s_or_b32 exec_lo, exec_lo, s5
	v_lshl_add_u64 v[22:23], v[4:5], 3, s[2:3]
	s_and_saveexec_b32 s2, s18
	s_cbranch_execz .LBB187_27
; %bb.24:                               ;   in Loop: Header=BB187_6 Depth=1
	s_delay_alu instid0(VALU_DEP_4) | instskip(NEXT) | instid1(VALU_DEP_2)
	v_mul_f64_e32 v[20:21], s[10:11], v[20:21]
	v_lshl_add_u64 v[24:25], v[6:7], 3, v[22:23]
	s_and_not1_b32 vcc_lo, exec_lo, s14
	s_cbranch_vccnz .LBB187_32
; %bb.25:                               ;   in Loop: Header=BB187_6 Depth=1
	global_load_b64 v[26:27], v[24:25], off
	s_wait_loadcnt 0x0
	v_fma_f64 v[26:27], s[6:7], v[26:27], v[20:21]
	global_store_b64 v[24:25], v[26:27], off
	s_cbranch_execnz .LBB187_27
.LBB187_26:                             ;   in Loop: Header=BB187_6 Depth=1
	global_store_b64 v[24:25], v[20:21], off
.LBB187_27:                             ;   in Loop: Header=BB187_6 Depth=1
	s_wait_xcnt 0x0
	s_or_b32 exec_lo, exec_lo, s2
	s_and_saveexec_b32 s2, s4
	s_cbranch_execz .LBB187_5
; %bb.28:                               ;   in Loop: Header=BB187_6 Depth=1
	s_delay_alu instid0(VALU_DEP_3)
	v_mul_f64_e32 v[18:19], s[10:11], v[18:19]
	v_lshl_add_u64 v[20:21], v[10:11], 3, v[22:23]
	s_and_not1_b32 vcc_lo, exec_lo, s14
	s_cbranch_vccnz .LBB187_33
; %bb.29:                               ;   in Loop: Header=BB187_6 Depth=1
	global_load_b64 v[22:23], v[20:21], off
	s_wait_loadcnt 0x0
	v_fma_f64 v[22:23], s[6:7], v[22:23], v[18:19]
	global_store_b64 v[20:21], v[22:23], off
	s_cbranch_execnz .LBB187_5
	s_branch .LBB187_34
.LBB187_30:                             ;   in Loop: Header=BB187_6 Depth=1
	s_branch .LBB187_18
.LBB187_31:                             ;   in Loop: Header=BB187_6 Depth=1
	s_branch .LBB187_22
.LBB187_32:                             ;   in Loop: Header=BB187_6 Depth=1
	s_branch .LBB187_26
.LBB187_33:                             ;   in Loop: Header=BB187_6 Depth=1
.LBB187_34:                             ;   in Loop: Header=BB187_6 Depth=1
	global_store_b64 v[20:21], v[18:19], off
	s_branch .LBB187_5
.LBB187_35:
	s_endpgm
	.section	.rodata,"a",@progbits
	.p2align	6, 0x0
	.amdhsa_kernel _ZL29rocblas_internal_gemmt_kernelIlLi16ELi32ELi8ELc67ELc84ELc85ELb0ELb0EdPKdS1_PdEviT_T9_T10_S3_lS5_S3_lS4_T11_S3_li
		.amdhsa_group_segment_fixed_size 4096
		.amdhsa_private_segment_fixed_size 0
		.amdhsa_kernarg_size 108
		.amdhsa_user_sgpr_count 2
		.amdhsa_user_sgpr_dispatch_ptr 0
		.amdhsa_user_sgpr_queue_ptr 0
		.amdhsa_user_sgpr_kernarg_segment_ptr 1
		.amdhsa_user_sgpr_dispatch_id 0
		.amdhsa_user_sgpr_kernarg_preload_length 0
		.amdhsa_user_sgpr_kernarg_preload_offset 0
		.amdhsa_user_sgpr_private_segment_size 0
		.amdhsa_wavefront_size32 1
		.amdhsa_uses_dynamic_stack 0
		.amdhsa_enable_private_segment 0
		.amdhsa_system_sgpr_workgroup_id_x 1
		.amdhsa_system_sgpr_workgroup_id_y 1
		.amdhsa_system_sgpr_workgroup_id_z 1
		.amdhsa_system_sgpr_workgroup_info 0
		.amdhsa_system_vgpr_workitem_id 1
		.amdhsa_next_free_vgpr 52
		.amdhsa_next_free_sgpr 36
		.amdhsa_named_barrier_count 0
		.amdhsa_reserve_vcc 1
		.amdhsa_float_round_mode_32 0
		.amdhsa_float_round_mode_16_64 0
		.amdhsa_float_denorm_mode_32 3
		.amdhsa_float_denorm_mode_16_64 3
		.amdhsa_fp16_overflow 0
		.amdhsa_memory_ordered 1
		.amdhsa_forward_progress 1
		.amdhsa_inst_pref_size 13
		.amdhsa_round_robin_scheduling 0
		.amdhsa_exception_fp_ieee_invalid_op 0
		.amdhsa_exception_fp_denorm_src 0
		.amdhsa_exception_fp_ieee_div_zero 0
		.amdhsa_exception_fp_ieee_overflow 0
		.amdhsa_exception_fp_ieee_underflow 0
		.amdhsa_exception_fp_ieee_inexact 0
		.amdhsa_exception_int_div_zero 0
	.end_amdhsa_kernel
	.section	.text._ZL29rocblas_internal_gemmt_kernelIlLi16ELi32ELi8ELc67ELc84ELc85ELb0ELb0EdPKdS1_PdEviT_T9_T10_S3_lS5_S3_lS4_T11_S3_li,"axG",@progbits,_ZL29rocblas_internal_gemmt_kernelIlLi16ELi32ELi8ELc67ELc84ELc85ELb0ELb0EdPKdS1_PdEviT_T9_T10_S3_lS5_S3_lS4_T11_S3_li,comdat
.Lfunc_end187:
	.size	_ZL29rocblas_internal_gemmt_kernelIlLi16ELi32ELi8ELc67ELc84ELc85ELb0ELb0EdPKdS1_PdEviT_T9_T10_S3_lS5_S3_lS4_T11_S3_li, .Lfunc_end187-_ZL29rocblas_internal_gemmt_kernelIlLi16ELi32ELi8ELc67ELc84ELc85ELb0ELb0EdPKdS1_PdEviT_T9_T10_S3_lS5_S3_lS4_T11_S3_li
                                        ; -- End function
	.set _ZL29rocblas_internal_gemmt_kernelIlLi16ELi32ELi8ELc67ELc84ELc85ELb0ELb0EdPKdS1_PdEviT_T9_T10_S3_lS5_S3_lS4_T11_S3_li.num_vgpr, 52
	.set _ZL29rocblas_internal_gemmt_kernelIlLi16ELi32ELi8ELc67ELc84ELc85ELb0ELb0EdPKdS1_PdEviT_T9_T10_S3_lS5_S3_lS4_T11_S3_li.num_agpr, 0
	.set _ZL29rocblas_internal_gemmt_kernelIlLi16ELi32ELi8ELc67ELc84ELc85ELb0ELb0EdPKdS1_PdEviT_T9_T10_S3_lS5_S3_lS4_T11_S3_li.numbered_sgpr, 36
	.set _ZL29rocblas_internal_gemmt_kernelIlLi16ELi32ELi8ELc67ELc84ELc85ELb0ELb0EdPKdS1_PdEviT_T9_T10_S3_lS5_S3_lS4_T11_S3_li.num_named_barrier, 0
	.set _ZL29rocblas_internal_gemmt_kernelIlLi16ELi32ELi8ELc67ELc84ELc85ELb0ELb0EdPKdS1_PdEviT_T9_T10_S3_lS5_S3_lS4_T11_S3_li.private_seg_size, 0
	.set _ZL29rocblas_internal_gemmt_kernelIlLi16ELi32ELi8ELc67ELc84ELc85ELb0ELb0EdPKdS1_PdEviT_T9_T10_S3_lS5_S3_lS4_T11_S3_li.uses_vcc, 1
	.set _ZL29rocblas_internal_gemmt_kernelIlLi16ELi32ELi8ELc67ELc84ELc85ELb0ELb0EdPKdS1_PdEviT_T9_T10_S3_lS5_S3_lS4_T11_S3_li.uses_flat_scratch, 0
	.set _ZL29rocblas_internal_gemmt_kernelIlLi16ELi32ELi8ELc67ELc84ELc85ELb0ELb0EdPKdS1_PdEviT_T9_T10_S3_lS5_S3_lS4_T11_S3_li.has_dyn_sized_stack, 0
	.set _ZL29rocblas_internal_gemmt_kernelIlLi16ELi32ELi8ELc67ELc84ELc85ELb0ELb0EdPKdS1_PdEviT_T9_T10_S3_lS5_S3_lS4_T11_S3_li.has_recursion, 0
	.set _ZL29rocblas_internal_gemmt_kernelIlLi16ELi32ELi8ELc67ELc84ELc85ELb0ELb0EdPKdS1_PdEviT_T9_T10_S3_lS5_S3_lS4_T11_S3_li.has_indirect_call, 0
	.section	.AMDGPU.csdata,"",@progbits
; Kernel info:
; codeLenInByte = 1584
; TotalNumSgprs: 38
; NumVgprs: 52
; ScratchSize: 0
; MemoryBound: 0
; FloatMode: 240
; IeeeMode: 1
; LDSByteSize: 4096 bytes/workgroup (compile time only)
; SGPRBlocks: 0
; VGPRBlocks: 3
; NumSGPRsForWavesPerEU: 38
; NumVGPRsForWavesPerEU: 52
; NamedBarCnt: 0
; Occupancy: 16
; WaveLimiterHint : 0
; COMPUTE_PGM_RSRC2:SCRATCH_EN: 0
; COMPUTE_PGM_RSRC2:USER_SGPR: 2
; COMPUTE_PGM_RSRC2:TRAP_HANDLER: 0
; COMPUTE_PGM_RSRC2:TGID_X_EN: 1
; COMPUTE_PGM_RSRC2:TGID_Y_EN: 1
; COMPUTE_PGM_RSRC2:TGID_Z_EN: 1
; COMPUTE_PGM_RSRC2:TIDIG_COMP_CNT: 1
	.section	.text._ZL29rocblas_internal_gemmt_kernelIlLi16ELi32ELi8ELc67ELc67ELc85ELb0ELb0EdPKdS1_PdEviT_T9_T10_S3_lS5_S3_lS4_T11_S3_li,"axG",@progbits,_ZL29rocblas_internal_gemmt_kernelIlLi16ELi32ELi8ELc67ELc67ELc85ELb0ELb0EdPKdS1_PdEviT_T9_T10_S3_lS5_S3_lS4_T11_S3_li,comdat
	.globl	_ZL29rocblas_internal_gemmt_kernelIlLi16ELi32ELi8ELc67ELc67ELc85ELb0ELb0EdPKdS1_PdEviT_T9_T10_S3_lS5_S3_lS4_T11_S3_li ; -- Begin function _ZL29rocblas_internal_gemmt_kernelIlLi16ELi32ELi8ELc67ELc67ELc85ELb0ELb0EdPKdS1_PdEviT_T9_T10_S3_lS5_S3_lS4_T11_S3_li
	.p2align	8
	.type	_ZL29rocblas_internal_gemmt_kernelIlLi16ELi32ELi8ELc67ELc67ELc85ELb0ELb0EdPKdS1_PdEviT_T9_T10_S3_lS5_S3_lS4_T11_S3_li,@function
_ZL29rocblas_internal_gemmt_kernelIlLi16ELi32ELi8ELc67ELc67ELc85ELb0ELb0EdPKdS1_PdEviT_T9_T10_S3_lS5_S3_lS4_T11_S3_li: ; @_ZL29rocblas_internal_gemmt_kernelIlLi16ELi32ELi8ELc67ELc67ELc85ELb0ELb0EdPKdS1_PdEviT_T9_T10_S3_lS5_S3_lS4_T11_S3_li
; %bb.0:
	s_load_b256 s[24:31], s[0:1], 0x48
	s_wait_kmcnt 0x0
	s_load_b64 s[6:7], s[24:25], 0x0
	s_load_b512 s[8:23], s[0:1], 0x8
	s_wait_kmcnt 0x0
	v_cmp_neq_f64_e64 s2, s[6:7], 1.0
	s_load_b64 s[10:11], s[10:11], 0x0
	s_and_b32 vcc_lo, exec_lo, s2
	s_cbranch_vccnz .LBB188_2
; %bb.1:
	s_wait_kmcnt 0x0
	v_cmp_neq_f64_e64 s2, s[10:11], 0
	s_cmp_lg_u64 s[8:9], 0
	s_cselect_b32 s3, -1, 0
	s_delay_alu instid0(SALU_CYCLE_1)
	s_and_b32 s2, s3, s2
.LBB188_2:
	s_delay_alu instid0(SALU_CYCLE_1)
	s_and_not1_b32 vcc_lo, exec_lo, s2
	s_cbranch_vccnz .LBB188_35
; %bb.3:
	s_load_b32 s33, s[0:1], 0x68
	s_bfe_u32 s2, ttmp6, 0x40014
	s_lshr_b32 s3, ttmp7, 16
	s_add_co_i32 s2, s2, 1
	s_bfe_u32 s5, ttmp6, 0x40008
	s_mul_i32 s4, s3, s2
	s_getreg_b32 s2, hwreg(HW_REG_IB_STS2, 6, 4)
	s_add_co_i32 s5, s5, s4
	s_cmp_eq_u32 s2, 0
	s_mov_b32 s25, 0
	s_cselect_b32 s24, s3, s5
	s_wait_kmcnt 0x0
	s_cmp_ge_u32 s24, s33
	s_cbranch_scc1 .LBB188_35
; %bb.4:
	s_bfe_u32 s3, ttmp6, 0x4000c
	s_bfe_u32 s5, ttmp6, 0x40010
	s_add_co_i32 s3, s3, 1
	s_and_b32 s34, ttmp7, 0xffff
	s_add_co_i32 s5, s5, 1
	v_and_b32_e32 v6, 0x3ff, v0
	v_bfe_u32 v7, v0, 10, 10
	s_and_b32 s4, ttmp6, 15
	s_mul_i32 s3, ttmp9, s3
	s_mul_i32 s5, s34, s5
	s_bfe_u32 s35, ttmp6, 0x40004
	s_add_co_i32 s4, s4, s3
	s_add_co_i32 s35, s35, s5
	s_cmp_eq_u32 s2, 0
	v_lshl_add_u32 v8, v7, 4, v6
	s_cselect_b32 s3, s34, s35
	s_cselect_b32 s2, ttmp9, s4
	s_lshl_b32 s3, s3, 5
	s_lshl_b32 s2, s2, 5
	v_dual_add_nc_u32 v14, s3, v7 :: v_dual_bitop2_b32 v10, 31, v8 bitop3:0x40
	v_and_b32_e32 v0, 7, v0
	v_cmp_neq_f64_e64 s34, s[10:11], 0
	s_load_b32 s4, s[0:1], 0x0
	v_lshlrev_b32_e32 v1, 3, v6
	v_add_nc_u32_e32 v16, 16, v14
	v_or_b32_e32 v12, s2, v10
	v_dual_ashrrev_i32 v15, 31, v14 :: v_dual_lshlrev_b32 v11, 3, v0
	s_delay_alu instid0(VALU_DEP_3) | instskip(NEXT) | instid1(VALU_DEP_3)
	v_dual_add_nc_u32 v6, s2, v6 :: v_dual_ashrrev_i32 v17, 31, v16
	v_ashrrev_i32_e32 v13, 31, v12
	s_delay_alu instid0(VALU_DEP_3) | instskip(SKIP_1) | instid1(VALU_DEP_4)
	v_mul_u64_e32 v[2:3], s[28:29], v[14:15]
	v_lshl_add_u32 v9, v7, 6, 0x800
	v_cmp_le_i32_e32 vcc_lo, v6, v14
	v_mul_u64_e32 v[4:5], s[28:29], v[16:17]
	v_mul_u64_e32 v[18:19], s[14:15], v[12:13]
	v_cmp_neq_f64_e64 s14, s[6:7], 0
	v_dual_lshrrev_b32 v13, 3, v8 :: v_dual_lshrrev_b32 v8, 5, v8
	v_ashrrev_i32_e32 v7, 31, v6
	v_cmp_gt_i64_e64 s35, s[8:9], 0
	s_delay_alu instid0(VALU_DEP_3)
	v_dual_mov_b32 v17, 0 :: v_dual_add_nc_u32 v20, s3, v13
	v_lshlrev_b32_e32 v15, 3, v10
	v_add_nc_u32_e32 v10, 16, v6
	s_wait_kmcnt 0x0
	v_cmp_gt_i32_e64 s2, s4, v14
	v_lshl_or_b32 v11, v13, 6, v11
	v_ashrrev_i32_e32 v21, 31, v20
	v_cmp_gt_i32_e64 s0, s4, v12
	v_cmp_gt_i32_e64 s1, s4, v20
	v_cmp_le_i32_e64 s3, v10, v14
	v_cmp_gt_i32_e64 s4, s4, v16
	s_and_b32 s15, s2, vcc_lo
	v_cmp_le_i32_e32 vcc_lo, v6, v16
	v_cmp_le_i32_e64 s5, v10, v16
	v_lshl_or_b32 v34, v8, 8, v15
	v_add_nc_u32_e32 v35, 0x800, v11
	v_ashrrev_i32_e32 v11, 31, v10
	v_lshl_add_u64 v[12:13], v[20:21], 3, s[18:19]
	s_and_b32 s18, s4, vcc_lo
	s_and_b32 s4, s4, s5
	v_lshl_add_u64 v[14:15], v[18:19], 3, s[12:13]
	s_and_b32 s12, s34, s35
	s_and_b32 s13, s2, s3
	s_branch .LBB188_6
.LBB188_5:                              ;   in Loop: Header=BB188_6 Depth=1
	s_wait_xcnt 0x0
	s_or_b32 exec_lo, exec_lo, s2
	s_add_co_i32 s24, s24, 0x10000
	s_delay_alu instid0(SALU_CYCLE_1)
	s_cmp_lt_u32 s24, s33
	s_cbranch_scc0 .LBB188_35
.LBB188_6:                              ; =>This Loop Header: Depth=1
                                        ;     Child Loop BB188_9 Depth 2
	v_mov_b64_e32 v[24:25], 0
	v_mov_b64_e32 v[22:23], 0
	;; [unrolled: 1-line block ×4, first 2 shown]
	s_and_not1_b32 vcc_lo, exec_lo, s12
	s_cbranch_vccnz .LBB188_15
; %bb.7:                                ;   in Loop: Header=BB188_6 Depth=1
	s_mul_u64 s[2:3], s[22:23], s[24:25]
	s_mul_u64 s[28:29], s[16:17], s[24:25]
	v_mov_b64_e32 v[18:19], 0
	v_mov_b64_e32 v[20:21], 0
	;; [unrolled: 1-line block ×4, first 2 shown]
	v_lshl_add_u64 v[26:27], s[28:29], 3, v[14:15]
	v_lshl_add_u64 v[28:29], s[2:3], 3, v[12:13]
	s_mov_b64 s[2:3], 0
	s_branch .LBB188_9
.LBB188_8:                              ;   in Loop: Header=BB188_9 Depth=2
	s_wait_xcnt 0x0
	s_or_b32 exec_lo, exec_lo, s5
	s_wait_loadcnt 0x0
	ds_store_b64 v35, v[32:33]
	s_wait_dscnt 0x0
	s_barrier_signal -1
	s_barrier_wait -1
	ds_load_b128 v[30:33], v9
	ds_load_2addr_b64 v[36:39], v1 offset1:16
	ds_load_b128 v[40:43], v9 offset:1024
	ds_load_b128 v[44:47], v9 offset:16
	;; [unrolled: 1-line block ×3, first 2 shown]
	s_add_nc_u64 s[2:3], s[2:3], 8
	s_delay_alu instid0(SALU_CYCLE_1)
	v_cmp_gt_i64_e64 s5, s[8:9], s[2:3]
	s_and_b32 vcc_lo, exec_lo, s5
	s_wait_dscnt 0x3
	v_fmac_f64_e32 v[24:25], v[36:37], v[30:31]
	v_fmac_f64_e32 v[22:23], v[38:39], v[30:31]
	s_wait_dscnt 0x2
	v_fmac_f64_e32 v[20:21], v[36:37], v[40:41]
	v_fmac_f64_e32 v[18:19], v[38:39], v[40:41]
	ds_load_2addr_b64 v[36:39], v1 offset0:32 offset1:48
	s_wait_dscnt 0x0
	v_fmac_f64_e32 v[24:25], v[36:37], v[32:33]
	v_fmac_f64_e32 v[22:23], v[38:39], v[32:33]
	v_fmac_f64_e32 v[20:21], v[36:37], v[42:43]
	v_fmac_f64_e32 v[18:19], v[38:39], v[42:43]
	ds_load_2addr_b64 v[30:33], v1 offset0:64 offset1:80
	s_wait_dscnt 0x0
	v_fmac_f64_e32 v[24:25], v[30:31], v[44:45]
	v_fmac_f64_e32 v[22:23], v[32:33], v[44:45]
	;; [unrolled: 6-line block ×3, first 2 shown]
	v_fmac_f64_e32 v[20:21], v[30:31], v[50:51]
	v_fmac_f64_e32 v[18:19], v[32:33], v[50:51]
	ds_load_b128 v[30:33], v9 offset:32
	ds_load_2addr_b64 v[36:39], v1 offset0:128 offset1:144
	ds_load_b128 v[40:43], v9 offset:1056
	ds_load_b128 v[44:47], v9 offset:48
	;; [unrolled: 1-line block ×3, first 2 shown]
	s_wait_dscnt 0x3
	v_fmac_f64_e32 v[24:25], v[36:37], v[30:31]
	v_fmac_f64_e32 v[22:23], v[38:39], v[30:31]
	s_wait_dscnt 0x2
	v_fmac_f64_e32 v[20:21], v[36:37], v[40:41]
	v_fmac_f64_e32 v[18:19], v[38:39], v[40:41]
	ds_load_2addr_b64 v[36:39], v1 offset0:160 offset1:176
	s_wait_dscnt 0x0
	v_fmac_f64_e32 v[24:25], v[36:37], v[32:33]
	v_fmac_f64_e32 v[22:23], v[38:39], v[32:33]
	;; [unrolled: 1-line block ×4, first 2 shown]
	ds_load_2addr_b64 v[30:33], v1 offset0:192 offset1:208
	s_wait_dscnt 0x0
	v_fmac_f64_e32 v[24:25], v[30:31], v[44:45]
	v_fmac_f64_e32 v[22:23], v[32:33], v[44:45]
	;; [unrolled: 1-line block ×4, first 2 shown]
	ds_load_2addr_b64 v[30:33], v1 offset0:224 offset1:240
	s_wait_dscnt 0x0
	s_barrier_signal -1
	s_barrier_wait -1
	v_fmac_f64_e32 v[24:25], v[30:31], v[46:47]
	v_fmac_f64_e32 v[22:23], v[32:33], v[46:47]
	;; [unrolled: 1-line block ×4, first 2 shown]
	s_cbranch_vccz .LBB188_15
.LBB188_9:                              ;   Parent Loop BB188_6 Depth=1
                                        ; =>  This Inner Loop Header: Depth=2
	v_mov_b64_e32 v[30:31], 0
	s_and_saveexec_b32 s5, s0
	s_cbranch_execz .LBB188_13
; %bb.10:                               ;   in Loop: Header=BB188_9 Depth=2
	v_mov_b64_e32 v[30:31], 0
	v_add_nc_u32_e32 v16, s2, v8
	s_mov_b32 s19, exec_lo
	s_delay_alu instid0(VALU_DEP_1)
	v_cmpx_gt_u64_e64 s[8:9], v[16:17]
	s_cbranch_execz .LBB188_12
; %bb.11:                               ;   in Loop: Header=BB188_9 Depth=2
	v_lshl_add_u64 v[30:31], v[16:17], 3, v[26:27]
	global_load_b64 v[30:31], v[30:31], off
.LBB188_12:                             ;   in Loop: Header=BB188_9 Depth=2
	s_wait_xcnt 0x0
	s_or_b32 exec_lo, exec_lo, s19
.LBB188_13:                             ;   in Loop: Header=BB188_9 Depth=2
	s_delay_alu instid0(SALU_CYCLE_1)
	s_or_b32 exec_lo, exec_lo, s5
	v_add_nc_u32_e32 v16, s2, v0
	v_mov_b64_e32 v[32:33], 0
	s_wait_loadcnt 0x0
	ds_store_b64 v34, v[30:31]
	v_cmp_gt_u64_e32 vcc_lo, s[8:9], v[16:17]
	s_and_b32 s19, vcc_lo, s1
	s_delay_alu instid0(SALU_CYCLE_1)
	s_and_saveexec_b32 s5, s19
	s_cbranch_execz .LBB188_8
; %bb.14:                               ;   in Loop: Header=BB188_9 Depth=2
	v_mul_u64_e32 v[30:31], s[20:21], v[16:17]
	s_delay_alu instid0(VALU_DEP_1)
	v_lshl_add_u64 v[30:31], v[30:31], 3, v[28:29]
	global_load_b64 v[32:33], v[30:31], off
	s_branch .LBB188_8
.LBB188_15:                             ;   in Loop: Header=BB188_6 Depth=1
	s_mul_u64 s[2:3], s[30:31], s[24:25]
	s_delay_alu instid0(SALU_CYCLE_1) | instskip(NEXT) | instid1(SALU_CYCLE_1)
	s_lshl_b64 s[2:3], s[2:3], 3
	s_add_nc_u64 s[2:3], s[26:27], s[2:3]
	s_delay_alu instid0(SALU_CYCLE_1)
	v_lshl_add_u64 v[26:27], v[2:3], 3, s[2:3]
	s_and_saveexec_b32 s5, s15
	s_cbranch_execz .LBB188_19
; %bb.16:                               ;   in Loop: Header=BB188_6 Depth=1
	v_mul_f64_e32 v[24:25], s[10:11], v[24:25]
	s_delay_alu instid0(VALU_DEP_2)
	v_lshl_add_u64 v[28:29], v[6:7], 3, v[26:27]
	s_and_b32 vcc_lo, exec_lo, s14
	s_cbranch_vccz .LBB188_30
; %bb.17:                               ;   in Loop: Header=BB188_6 Depth=1
	global_load_b64 v[30:31], v[28:29], off
	s_wait_loadcnt 0x0
	v_fma_f64 v[30:31], s[6:7], v[30:31], v[24:25]
	global_store_b64 v[28:29], v[30:31], off
	s_cbranch_execnz .LBB188_19
.LBB188_18:                             ;   in Loop: Header=BB188_6 Depth=1
	global_store_b64 v[28:29], v[24:25], off
.LBB188_19:                             ;   in Loop: Header=BB188_6 Depth=1
	s_wait_xcnt 0x0
	s_or_b32 exec_lo, exec_lo, s5
	s_and_saveexec_b32 s5, s13
	s_cbranch_execz .LBB188_23
; %bb.20:                               ;   in Loop: Header=BB188_6 Depth=1
	s_delay_alu instid0(VALU_DEP_4)
	v_mul_f64_e32 v[22:23], s[10:11], v[22:23]
	v_lshl_add_u64 v[24:25], v[10:11], 3, v[26:27]
	s_and_not1_b32 vcc_lo, exec_lo, s14
	s_cbranch_vccnz .LBB188_31
; %bb.21:                               ;   in Loop: Header=BB188_6 Depth=1
	global_load_b64 v[26:27], v[24:25], off
	s_wait_loadcnt 0x0
	v_fma_f64 v[26:27], s[6:7], v[26:27], v[22:23]
	global_store_b64 v[24:25], v[26:27], off
	s_cbranch_execnz .LBB188_23
.LBB188_22:                             ;   in Loop: Header=BB188_6 Depth=1
	global_store_b64 v[24:25], v[22:23], off
.LBB188_23:                             ;   in Loop: Header=BB188_6 Depth=1
	s_wait_xcnt 0x0
	s_or_b32 exec_lo, exec_lo, s5
	v_lshl_add_u64 v[22:23], v[4:5], 3, s[2:3]
	s_and_saveexec_b32 s2, s18
	s_cbranch_execz .LBB188_27
; %bb.24:                               ;   in Loop: Header=BB188_6 Depth=1
	s_delay_alu instid0(VALU_DEP_4) | instskip(NEXT) | instid1(VALU_DEP_2)
	v_mul_f64_e32 v[20:21], s[10:11], v[20:21]
	v_lshl_add_u64 v[24:25], v[6:7], 3, v[22:23]
	s_and_not1_b32 vcc_lo, exec_lo, s14
	s_cbranch_vccnz .LBB188_32
; %bb.25:                               ;   in Loop: Header=BB188_6 Depth=1
	global_load_b64 v[26:27], v[24:25], off
	s_wait_loadcnt 0x0
	v_fma_f64 v[26:27], s[6:7], v[26:27], v[20:21]
	global_store_b64 v[24:25], v[26:27], off
	s_cbranch_execnz .LBB188_27
.LBB188_26:                             ;   in Loop: Header=BB188_6 Depth=1
	global_store_b64 v[24:25], v[20:21], off
.LBB188_27:                             ;   in Loop: Header=BB188_6 Depth=1
	s_wait_xcnt 0x0
	s_or_b32 exec_lo, exec_lo, s2
	s_and_saveexec_b32 s2, s4
	s_cbranch_execz .LBB188_5
; %bb.28:                               ;   in Loop: Header=BB188_6 Depth=1
	s_delay_alu instid0(VALU_DEP_3)
	v_mul_f64_e32 v[18:19], s[10:11], v[18:19]
	v_lshl_add_u64 v[20:21], v[10:11], 3, v[22:23]
	s_and_not1_b32 vcc_lo, exec_lo, s14
	s_cbranch_vccnz .LBB188_33
; %bb.29:                               ;   in Loop: Header=BB188_6 Depth=1
	global_load_b64 v[22:23], v[20:21], off
	s_wait_loadcnt 0x0
	v_fma_f64 v[22:23], s[6:7], v[22:23], v[18:19]
	global_store_b64 v[20:21], v[22:23], off
	s_cbranch_execnz .LBB188_5
	s_branch .LBB188_34
.LBB188_30:                             ;   in Loop: Header=BB188_6 Depth=1
	s_branch .LBB188_18
.LBB188_31:                             ;   in Loop: Header=BB188_6 Depth=1
	s_branch .LBB188_22
.LBB188_32:                             ;   in Loop: Header=BB188_6 Depth=1
	s_branch .LBB188_26
.LBB188_33:                             ;   in Loop: Header=BB188_6 Depth=1
.LBB188_34:                             ;   in Loop: Header=BB188_6 Depth=1
	global_store_b64 v[20:21], v[18:19], off
	s_branch .LBB188_5
.LBB188_35:
	s_endpgm
	.section	.rodata,"a",@progbits
	.p2align	6, 0x0
	.amdhsa_kernel _ZL29rocblas_internal_gemmt_kernelIlLi16ELi32ELi8ELc67ELc67ELc85ELb0ELb0EdPKdS1_PdEviT_T9_T10_S3_lS5_S3_lS4_T11_S3_li
		.amdhsa_group_segment_fixed_size 4096
		.amdhsa_private_segment_fixed_size 0
		.amdhsa_kernarg_size 108
		.amdhsa_user_sgpr_count 2
		.amdhsa_user_sgpr_dispatch_ptr 0
		.amdhsa_user_sgpr_queue_ptr 0
		.amdhsa_user_sgpr_kernarg_segment_ptr 1
		.amdhsa_user_sgpr_dispatch_id 0
		.amdhsa_user_sgpr_kernarg_preload_length 0
		.amdhsa_user_sgpr_kernarg_preload_offset 0
		.amdhsa_user_sgpr_private_segment_size 0
		.amdhsa_wavefront_size32 1
		.amdhsa_uses_dynamic_stack 0
		.amdhsa_enable_private_segment 0
		.amdhsa_system_sgpr_workgroup_id_x 1
		.amdhsa_system_sgpr_workgroup_id_y 1
		.amdhsa_system_sgpr_workgroup_id_z 1
		.amdhsa_system_sgpr_workgroup_info 0
		.amdhsa_system_vgpr_workitem_id 1
		.amdhsa_next_free_vgpr 52
		.amdhsa_next_free_sgpr 36
		.amdhsa_named_barrier_count 0
		.amdhsa_reserve_vcc 1
		.amdhsa_float_round_mode_32 0
		.amdhsa_float_round_mode_16_64 0
		.amdhsa_float_denorm_mode_32 3
		.amdhsa_float_denorm_mode_16_64 3
		.amdhsa_fp16_overflow 0
		.amdhsa_memory_ordered 1
		.amdhsa_forward_progress 1
		.amdhsa_inst_pref_size 13
		.amdhsa_round_robin_scheduling 0
		.amdhsa_exception_fp_ieee_invalid_op 0
		.amdhsa_exception_fp_denorm_src 0
		.amdhsa_exception_fp_ieee_div_zero 0
		.amdhsa_exception_fp_ieee_overflow 0
		.amdhsa_exception_fp_ieee_underflow 0
		.amdhsa_exception_fp_ieee_inexact 0
		.amdhsa_exception_int_div_zero 0
	.end_amdhsa_kernel
	.section	.text._ZL29rocblas_internal_gemmt_kernelIlLi16ELi32ELi8ELc67ELc67ELc85ELb0ELb0EdPKdS1_PdEviT_T9_T10_S3_lS5_S3_lS4_T11_S3_li,"axG",@progbits,_ZL29rocblas_internal_gemmt_kernelIlLi16ELi32ELi8ELc67ELc67ELc85ELb0ELb0EdPKdS1_PdEviT_T9_T10_S3_lS5_S3_lS4_T11_S3_li,comdat
.Lfunc_end188:
	.size	_ZL29rocblas_internal_gemmt_kernelIlLi16ELi32ELi8ELc67ELc67ELc85ELb0ELb0EdPKdS1_PdEviT_T9_T10_S3_lS5_S3_lS4_T11_S3_li, .Lfunc_end188-_ZL29rocblas_internal_gemmt_kernelIlLi16ELi32ELi8ELc67ELc67ELc85ELb0ELb0EdPKdS1_PdEviT_T9_T10_S3_lS5_S3_lS4_T11_S3_li
                                        ; -- End function
	.set _ZL29rocblas_internal_gemmt_kernelIlLi16ELi32ELi8ELc67ELc67ELc85ELb0ELb0EdPKdS1_PdEviT_T9_T10_S3_lS5_S3_lS4_T11_S3_li.num_vgpr, 52
	.set _ZL29rocblas_internal_gemmt_kernelIlLi16ELi32ELi8ELc67ELc67ELc85ELb0ELb0EdPKdS1_PdEviT_T9_T10_S3_lS5_S3_lS4_T11_S3_li.num_agpr, 0
	.set _ZL29rocblas_internal_gemmt_kernelIlLi16ELi32ELi8ELc67ELc67ELc85ELb0ELb0EdPKdS1_PdEviT_T9_T10_S3_lS5_S3_lS4_T11_S3_li.numbered_sgpr, 36
	.set _ZL29rocblas_internal_gemmt_kernelIlLi16ELi32ELi8ELc67ELc67ELc85ELb0ELb0EdPKdS1_PdEviT_T9_T10_S3_lS5_S3_lS4_T11_S3_li.num_named_barrier, 0
	.set _ZL29rocblas_internal_gemmt_kernelIlLi16ELi32ELi8ELc67ELc67ELc85ELb0ELb0EdPKdS1_PdEviT_T9_T10_S3_lS5_S3_lS4_T11_S3_li.private_seg_size, 0
	.set _ZL29rocblas_internal_gemmt_kernelIlLi16ELi32ELi8ELc67ELc67ELc85ELb0ELb0EdPKdS1_PdEviT_T9_T10_S3_lS5_S3_lS4_T11_S3_li.uses_vcc, 1
	.set _ZL29rocblas_internal_gemmt_kernelIlLi16ELi32ELi8ELc67ELc67ELc85ELb0ELb0EdPKdS1_PdEviT_T9_T10_S3_lS5_S3_lS4_T11_S3_li.uses_flat_scratch, 0
	.set _ZL29rocblas_internal_gemmt_kernelIlLi16ELi32ELi8ELc67ELc67ELc85ELb0ELb0EdPKdS1_PdEviT_T9_T10_S3_lS5_S3_lS4_T11_S3_li.has_dyn_sized_stack, 0
	.set _ZL29rocblas_internal_gemmt_kernelIlLi16ELi32ELi8ELc67ELc67ELc85ELb0ELb0EdPKdS1_PdEviT_T9_T10_S3_lS5_S3_lS4_T11_S3_li.has_recursion, 0
	.set _ZL29rocblas_internal_gemmt_kernelIlLi16ELi32ELi8ELc67ELc67ELc85ELb0ELb0EdPKdS1_PdEviT_T9_T10_S3_lS5_S3_lS4_T11_S3_li.has_indirect_call, 0
	.section	.AMDGPU.csdata,"",@progbits
; Kernel info:
; codeLenInByte = 1584
; TotalNumSgprs: 38
; NumVgprs: 52
; ScratchSize: 0
; MemoryBound: 0
; FloatMode: 240
; IeeeMode: 1
; LDSByteSize: 4096 bytes/workgroup (compile time only)
; SGPRBlocks: 0
; VGPRBlocks: 3
; NumSGPRsForWavesPerEU: 38
; NumVGPRsForWavesPerEU: 52
; NamedBarCnt: 0
; Occupancy: 16
; WaveLimiterHint : 0
; COMPUTE_PGM_RSRC2:SCRATCH_EN: 0
; COMPUTE_PGM_RSRC2:USER_SGPR: 2
; COMPUTE_PGM_RSRC2:TRAP_HANDLER: 0
; COMPUTE_PGM_RSRC2:TGID_X_EN: 1
; COMPUTE_PGM_RSRC2:TGID_Y_EN: 1
; COMPUTE_PGM_RSRC2:TGID_Z_EN: 1
; COMPUTE_PGM_RSRC2:TIDIG_COMP_CNT: 1
	.section	.text._ZL29rocblas_internal_gemmt_kernelIlLi16ELi32ELi8ELc78ELc78ELc76ELb0ELb0EdPKdS1_PdEviT_T9_T10_S3_lS5_S3_lS4_T11_S3_li,"axG",@progbits,_ZL29rocblas_internal_gemmt_kernelIlLi16ELi32ELi8ELc78ELc78ELc76ELb0ELb0EdPKdS1_PdEviT_T9_T10_S3_lS5_S3_lS4_T11_S3_li,comdat
	.globl	_ZL29rocblas_internal_gemmt_kernelIlLi16ELi32ELi8ELc78ELc78ELc76ELb0ELb0EdPKdS1_PdEviT_T9_T10_S3_lS5_S3_lS4_T11_S3_li ; -- Begin function _ZL29rocblas_internal_gemmt_kernelIlLi16ELi32ELi8ELc78ELc78ELc76ELb0ELb0EdPKdS1_PdEviT_T9_T10_S3_lS5_S3_lS4_T11_S3_li
	.p2align	8
	.type	_ZL29rocblas_internal_gemmt_kernelIlLi16ELi32ELi8ELc78ELc78ELc76ELb0ELb0EdPKdS1_PdEviT_T9_T10_S3_lS5_S3_lS4_T11_S3_li,@function
_ZL29rocblas_internal_gemmt_kernelIlLi16ELi32ELi8ELc78ELc78ELc76ELb0ELb0EdPKdS1_PdEviT_T9_T10_S3_lS5_S3_lS4_T11_S3_li: ; @_ZL29rocblas_internal_gemmt_kernelIlLi16ELi32ELi8ELc78ELc78ELc76ELb0ELb0EdPKdS1_PdEviT_T9_T10_S3_lS5_S3_lS4_T11_S3_li
; %bb.0:
	s_load_b256 s[24:31], s[0:1], 0x48
	s_wait_kmcnt 0x0
	s_load_b64 s[6:7], s[24:25], 0x0
	s_load_b512 s[8:23], s[0:1], 0x8
	s_wait_kmcnt 0x0
	v_cmp_neq_f64_e64 s2, s[6:7], 1.0
	s_load_b64 s[10:11], s[10:11], 0x0
	s_and_b32 vcc_lo, exec_lo, s2
	s_cbranch_vccnz .LBB189_2
; %bb.1:
	s_wait_kmcnt 0x0
	v_cmp_neq_f64_e64 s2, s[10:11], 0
	s_cmp_lg_u64 s[8:9], 0
	s_cselect_b32 s3, -1, 0
	s_delay_alu instid0(SALU_CYCLE_1)
	s_and_b32 s2, s3, s2
.LBB189_2:
	s_delay_alu instid0(SALU_CYCLE_1)
	s_and_not1_b32 vcc_lo, exec_lo, s2
	s_cbranch_vccnz .LBB189_35
; %bb.3:
	s_load_b32 s33, s[0:1], 0x68
	s_bfe_u32 s2, ttmp6, 0x40014
	s_lshr_b32 s3, ttmp7, 16
	s_add_co_i32 s2, s2, 1
	s_bfe_u32 s5, ttmp6, 0x40008
	s_mul_i32 s4, s3, s2
	s_getreg_b32 s2, hwreg(HW_REG_IB_STS2, 6, 4)
	s_add_co_i32 s5, s5, s4
	s_cmp_eq_u32 s2, 0
	s_mov_b32 s25, 0
	s_cselect_b32 s24, s3, s5
	s_wait_kmcnt 0x0
	s_cmp_ge_u32 s24, s33
	s_cbranch_scc1 .LBB189_35
; %bb.4:
	s_bfe_u32 s3, ttmp6, 0x4000c
	s_bfe_u32 s5, ttmp6, 0x40010
	v_and_b32_e32 v6, 0x3ff, v0
	v_bfe_u32 v7, v0, 10, 10
	s_add_co_i32 s3, s3, 1
	s_and_b32 s34, ttmp7, 0xffff
	s_add_co_i32 s5, s5, 1
	s_and_b32 s4, ttmp6, 15
	s_mul_i32 s3, ttmp9, s3
	s_mul_i32 s5, s34, s5
	s_bfe_u32 s35, ttmp6, 0x40004
	v_lshl_add_u32 v8, v7, 4, v6
	s_add_co_i32 s4, s4, s3
	s_add_co_i32 s35, s35, s5
	s_cmp_eq_u32 s2, 0
	v_lshl_add_u32 v9, v7, 6, 0x800
	s_cselect_b32 s2, s34, s35
	s_cselect_b32 s3, ttmp9, s4
	s_lshl_b32 s2, s2, 5
	s_delay_alu instid0(SALU_CYCLE_1)
	v_dual_lshrrev_b32 v10, 3, v8 :: v_dual_add_nc_u32 v14, s2, v7
	v_and_b32_e32 v0, 7, v0
	s_load_b32 s4, s[0:1], 0x0
	s_wait_xcnt 0x0
	s_lshl_b32 s0, s3, 5
	v_add_nc_u32_e32 v12, s2, v10
	v_dual_add_nc_u32 v16, 16, v14 :: v_dual_ashrrev_i32 v15, 31, v14
	v_dual_lshlrev_b32 v11, 3, v0 :: v_dual_lshlrev_b32 v1, 3, v6
	s_delay_alu instid0(VALU_DEP_3) | instskip(NEXT) | instid1(VALU_DEP_3)
	v_ashrrev_i32_e32 v13, 31, v12
	v_ashrrev_i32_e32 v17, 31, v16
	s_delay_alu instid0(VALU_DEP_4)
	v_mul_u64_e32 v[2:3], s[28:29], v[14:15]
	v_add_nc_u32_e32 v6, s0, v6
	v_lshl_or_b32 v11, v10, 6, v11
	v_mul_u64_e32 v[18:19], s[20:21], v[12:13]
	v_cmp_neq_f64_e64 s21, s[10:11], 0
	v_cmp_neq_f64_e64 s20, s[6:7], 0
	v_mul_u64_e32 v[4:5], s[28:29], v[16:17]
	v_dual_lshrrev_b32 v8, 5, v8 :: v_dual_bitop2_b32 v13, 31, v8 bitop3:0x40
	v_cmp_le_i32_e32 vcc_lo, v14, v6
	v_cmp_gt_i64_e64 s34, s[8:9], 0
	s_wait_kmcnt 0x0
	v_cmp_gt_i32_e64 s2, s4, v6
	v_dual_lshlrev_b32 v13, 3, v13 :: v_dual_bitop2_b32 v20, s0, v13 bitop3:0x54
	v_dual_ashrrev_i32 v7, 31, v6 :: v_dual_add_nc_u32 v10, 16, v6
	v_cmp_gt_i32_e64 s1, s4, v12
	s_delay_alu instid0(VALU_DEP_3)
	v_ashrrev_i32_e32 v21, 31, v20
	v_cmp_gt_i32_e64 s0, s4, v20
	v_lshl_or_b32 v34, v8, 8, v13
	v_cmp_le_i32_e64 s3, v14, v10
	v_cmp_gt_i32_e64 s4, s4, v10
	v_lshl_add_u64 v[12:13], v[20:21], 3, s[12:13]
	s_and_b32 s12, vcc_lo, s2
	v_cmp_le_i32_e32 vcc_lo, v16, v6
	v_cmp_le_i32_e64 s5, v16, v10
	v_add_nc_u32_e32 v35, 0x800, v11
	v_dual_ashrrev_i32 v11, 31, v10 :: v_dual_mov_b32 v17, 0
	v_lshl_add_u64 v[14:15], v[18:19], 3, s[18:19]
	s_and_b32 s13, s21, s34
	s_and_b32 s18, s3, s4
	s_and_b32 s19, vcc_lo, s2
	s_and_b32 s4, s5, s4
	s_branch .LBB189_6
.LBB189_5:                              ;   in Loop: Header=BB189_6 Depth=1
	s_wait_xcnt 0x0
	s_or_b32 exec_lo, exec_lo, s2
	s_add_co_i32 s24, s24, 0x10000
	s_delay_alu instid0(SALU_CYCLE_1)
	s_cmp_lt_u32 s24, s33
	s_cbranch_scc0 .LBB189_35
.LBB189_6:                              ; =>This Loop Header: Depth=1
                                        ;     Child Loop BB189_9 Depth 2
	v_mov_b64_e32 v[24:25], 0
	v_mov_b64_e32 v[22:23], 0
	;; [unrolled: 1-line block ×4, first 2 shown]
	s_and_not1_b32 vcc_lo, exec_lo, s13
	s_cbranch_vccnz .LBB189_15
; %bb.7:                                ;   in Loop: Header=BB189_6 Depth=1
	s_mul_u64 s[2:3], s[22:23], s[24:25]
	s_mul_u64 s[28:29], s[16:17], s[24:25]
	v_mov_b64_e32 v[18:19], 0
	v_mov_b64_e32 v[20:21], 0
	;; [unrolled: 1-line block ×4, first 2 shown]
	v_lshl_add_u64 v[26:27], s[28:29], 3, v[12:13]
	v_lshl_add_u64 v[28:29], s[2:3], 3, v[14:15]
	s_mov_b64 s[2:3], 0
	s_branch .LBB189_9
.LBB189_8:                              ;   in Loop: Header=BB189_9 Depth=2
	s_wait_xcnt 0x0
	s_or_b32 exec_lo, exec_lo, s5
	s_wait_loadcnt 0x0
	ds_store_b64 v35, v[32:33]
	s_wait_dscnt 0x0
	s_barrier_signal -1
	s_barrier_wait -1
	ds_load_b128 v[30:33], v9
	ds_load_2addr_b64 v[36:39], v1 offset1:16
	ds_load_b128 v[40:43], v9 offset:1024
	ds_load_b128 v[44:47], v9 offset:16
	;; [unrolled: 1-line block ×3, first 2 shown]
	s_add_nc_u64 s[2:3], s[2:3], 8
	s_delay_alu instid0(SALU_CYCLE_1)
	v_cmp_gt_i64_e64 s5, s[8:9], s[2:3]
	s_and_b32 vcc_lo, exec_lo, s5
	s_wait_dscnt 0x3
	v_fmac_f64_e32 v[24:25], v[36:37], v[30:31]
	v_fmac_f64_e32 v[22:23], v[38:39], v[30:31]
	s_wait_dscnt 0x2
	v_fmac_f64_e32 v[20:21], v[36:37], v[40:41]
	v_fmac_f64_e32 v[18:19], v[38:39], v[40:41]
	ds_load_2addr_b64 v[36:39], v1 offset0:32 offset1:48
	s_wait_dscnt 0x0
	v_fmac_f64_e32 v[24:25], v[36:37], v[32:33]
	v_fmac_f64_e32 v[22:23], v[38:39], v[32:33]
	v_fmac_f64_e32 v[20:21], v[36:37], v[42:43]
	v_fmac_f64_e32 v[18:19], v[38:39], v[42:43]
	ds_load_2addr_b64 v[30:33], v1 offset0:64 offset1:80
	s_wait_dscnt 0x0
	v_fmac_f64_e32 v[24:25], v[30:31], v[44:45]
	v_fmac_f64_e32 v[22:23], v[32:33], v[44:45]
	;; [unrolled: 6-line block ×3, first 2 shown]
	v_fmac_f64_e32 v[20:21], v[30:31], v[50:51]
	v_fmac_f64_e32 v[18:19], v[32:33], v[50:51]
	ds_load_b128 v[30:33], v9 offset:32
	ds_load_2addr_b64 v[36:39], v1 offset0:128 offset1:144
	ds_load_b128 v[40:43], v9 offset:1056
	ds_load_b128 v[44:47], v9 offset:48
	;; [unrolled: 1-line block ×3, first 2 shown]
	s_wait_dscnt 0x3
	v_fmac_f64_e32 v[24:25], v[36:37], v[30:31]
	v_fmac_f64_e32 v[22:23], v[38:39], v[30:31]
	s_wait_dscnt 0x2
	v_fmac_f64_e32 v[20:21], v[36:37], v[40:41]
	v_fmac_f64_e32 v[18:19], v[38:39], v[40:41]
	ds_load_2addr_b64 v[36:39], v1 offset0:160 offset1:176
	s_wait_dscnt 0x0
	v_fmac_f64_e32 v[24:25], v[36:37], v[32:33]
	v_fmac_f64_e32 v[22:23], v[38:39], v[32:33]
	;; [unrolled: 1-line block ×4, first 2 shown]
	ds_load_2addr_b64 v[30:33], v1 offset0:192 offset1:208
	s_wait_dscnt 0x0
	v_fmac_f64_e32 v[24:25], v[30:31], v[44:45]
	v_fmac_f64_e32 v[22:23], v[32:33], v[44:45]
	;; [unrolled: 1-line block ×4, first 2 shown]
	ds_load_2addr_b64 v[30:33], v1 offset0:224 offset1:240
	s_wait_dscnt 0x0
	s_barrier_signal -1
	s_barrier_wait -1
	v_fmac_f64_e32 v[24:25], v[30:31], v[46:47]
	v_fmac_f64_e32 v[22:23], v[32:33], v[46:47]
	;; [unrolled: 1-line block ×4, first 2 shown]
	s_cbranch_vccz .LBB189_15
.LBB189_9:                              ;   Parent Loop BB189_6 Depth=1
                                        ; =>  This Inner Loop Header: Depth=2
	v_mov_b64_e32 v[30:31], 0
	s_and_saveexec_b32 s5, s0
	s_cbranch_execz .LBB189_13
; %bb.10:                               ;   in Loop: Header=BB189_9 Depth=2
	v_mov_b64_e32 v[30:31], 0
	v_add_nc_u32_e32 v16, s2, v8
	s_mov_b32 s21, exec_lo
	s_delay_alu instid0(VALU_DEP_1)
	v_cmpx_gt_u64_e64 s[8:9], v[16:17]
	s_cbranch_execz .LBB189_12
; %bb.11:                               ;   in Loop: Header=BB189_9 Depth=2
	v_mul_u64_e32 v[30:31], s[14:15], v[16:17]
	s_delay_alu instid0(VALU_DEP_1)
	v_lshl_add_u64 v[30:31], v[30:31], 3, v[26:27]
	global_load_b64 v[30:31], v[30:31], off
.LBB189_12:                             ;   in Loop: Header=BB189_9 Depth=2
	s_wait_xcnt 0x0
	s_or_b32 exec_lo, exec_lo, s21
.LBB189_13:                             ;   in Loop: Header=BB189_9 Depth=2
	s_delay_alu instid0(SALU_CYCLE_1)
	s_or_b32 exec_lo, exec_lo, s5
	v_add_nc_u32_e32 v16, s2, v0
	v_mov_b64_e32 v[32:33], 0
	s_wait_loadcnt 0x0
	ds_store_b64 v34, v[30:31]
	v_cmp_gt_u64_e32 vcc_lo, s[8:9], v[16:17]
	s_and_b32 s21, vcc_lo, s1
	s_delay_alu instid0(SALU_CYCLE_1)
	s_and_saveexec_b32 s5, s21
	s_cbranch_execz .LBB189_8
; %bb.14:                               ;   in Loop: Header=BB189_9 Depth=2
	v_lshl_add_u64 v[30:31], v[16:17], 3, v[28:29]
	global_load_b64 v[32:33], v[30:31], off
	s_branch .LBB189_8
.LBB189_15:                             ;   in Loop: Header=BB189_6 Depth=1
	s_mul_u64 s[2:3], s[30:31], s[24:25]
	s_delay_alu instid0(SALU_CYCLE_1) | instskip(NEXT) | instid1(SALU_CYCLE_1)
	s_lshl_b64 s[2:3], s[2:3], 3
	s_add_nc_u64 s[2:3], s[26:27], s[2:3]
	s_delay_alu instid0(SALU_CYCLE_1)
	v_lshl_add_u64 v[26:27], v[2:3], 3, s[2:3]
	s_and_saveexec_b32 s5, s12
	s_cbranch_execz .LBB189_19
; %bb.16:                               ;   in Loop: Header=BB189_6 Depth=1
	v_mul_f64_e32 v[24:25], s[10:11], v[24:25]
	s_delay_alu instid0(VALU_DEP_2)
	v_lshl_add_u64 v[28:29], v[6:7], 3, v[26:27]
	s_and_b32 vcc_lo, exec_lo, s20
	s_cbranch_vccz .LBB189_30
; %bb.17:                               ;   in Loop: Header=BB189_6 Depth=1
	global_load_b64 v[30:31], v[28:29], off
	s_wait_loadcnt 0x0
	v_fma_f64 v[30:31], s[6:7], v[30:31], v[24:25]
	global_store_b64 v[28:29], v[30:31], off
	s_cbranch_execnz .LBB189_19
.LBB189_18:                             ;   in Loop: Header=BB189_6 Depth=1
	global_store_b64 v[28:29], v[24:25], off
.LBB189_19:                             ;   in Loop: Header=BB189_6 Depth=1
	s_wait_xcnt 0x0
	s_or_b32 exec_lo, exec_lo, s5
	s_and_saveexec_b32 s5, s18
	s_cbranch_execz .LBB189_23
; %bb.20:                               ;   in Loop: Header=BB189_6 Depth=1
	s_delay_alu instid0(VALU_DEP_4)
	v_mul_f64_e32 v[22:23], s[10:11], v[22:23]
	v_lshl_add_u64 v[24:25], v[10:11], 3, v[26:27]
	s_and_not1_b32 vcc_lo, exec_lo, s20
	s_cbranch_vccnz .LBB189_31
; %bb.21:                               ;   in Loop: Header=BB189_6 Depth=1
	global_load_b64 v[26:27], v[24:25], off
	s_wait_loadcnt 0x0
	v_fma_f64 v[26:27], s[6:7], v[26:27], v[22:23]
	global_store_b64 v[24:25], v[26:27], off
	s_cbranch_execnz .LBB189_23
.LBB189_22:                             ;   in Loop: Header=BB189_6 Depth=1
	global_store_b64 v[24:25], v[22:23], off
.LBB189_23:                             ;   in Loop: Header=BB189_6 Depth=1
	s_wait_xcnt 0x0
	s_or_b32 exec_lo, exec_lo, s5
	v_lshl_add_u64 v[22:23], v[4:5], 3, s[2:3]
	s_and_saveexec_b32 s2, s19
	s_cbranch_execz .LBB189_27
; %bb.24:                               ;   in Loop: Header=BB189_6 Depth=1
	s_delay_alu instid0(VALU_DEP_4) | instskip(NEXT) | instid1(VALU_DEP_2)
	v_mul_f64_e32 v[20:21], s[10:11], v[20:21]
	v_lshl_add_u64 v[24:25], v[6:7], 3, v[22:23]
	s_and_not1_b32 vcc_lo, exec_lo, s20
	s_cbranch_vccnz .LBB189_32
; %bb.25:                               ;   in Loop: Header=BB189_6 Depth=1
	global_load_b64 v[26:27], v[24:25], off
	s_wait_loadcnt 0x0
	v_fma_f64 v[26:27], s[6:7], v[26:27], v[20:21]
	global_store_b64 v[24:25], v[26:27], off
	s_cbranch_execnz .LBB189_27
.LBB189_26:                             ;   in Loop: Header=BB189_6 Depth=1
	global_store_b64 v[24:25], v[20:21], off
.LBB189_27:                             ;   in Loop: Header=BB189_6 Depth=1
	s_wait_xcnt 0x0
	s_or_b32 exec_lo, exec_lo, s2
	s_and_saveexec_b32 s2, s4
	s_cbranch_execz .LBB189_5
; %bb.28:                               ;   in Loop: Header=BB189_6 Depth=1
	s_delay_alu instid0(VALU_DEP_3)
	v_mul_f64_e32 v[18:19], s[10:11], v[18:19]
	v_lshl_add_u64 v[20:21], v[10:11], 3, v[22:23]
	s_and_not1_b32 vcc_lo, exec_lo, s20
	s_cbranch_vccnz .LBB189_33
; %bb.29:                               ;   in Loop: Header=BB189_6 Depth=1
	global_load_b64 v[22:23], v[20:21], off
	s_wait_loadcnt 0x0
	v_fma_f64 v[22:23], s[6:7], v[22:23], v[18:19]
	global_store_b64 v[20:21], v[22:23], off
	s_cbranch_execnz .LBB189_5
	s_branch .LBB189_34
.LBB189_30:                             ;   in Loop: Header=BB189_6 Depth=1
	s_branch .LBB189_18
.LBB189_31:                             ;   in Loop: Header=BB189_6 Depth=1
	s_branch .LBB189_22
.LBB189_32:                             ;   in Loop: Header=BB189_6 Depth=1
	s_branch .LBB189_26
.LBB189_33:                             ;   in Loop: Header=BB189_6 Depth=1
.LBB189_34:                             ;   in Loop: Header=BB189_6 Depth=1
	global_store_b64 v[20:21], v[18:19], off
	s_branch .LBB189_5
.LBB189_35:
	s_endpgm
	.section	.rodata,"a",@progbits
	.p2align	6, 0x0
	.amdhsa_kernel _ZL29rocblas_internal_gemmt_kernelIlLi16ELi32ELi8ELc78ELc78ELc76ELb0ELb0EdPKdS1_PdEviT_T9_T10_S3_lS5_S3_lS4_T11_S3_li
		.amdhsa_group_segment_fixed_size 4096
		.amdhsa_private_segment_fixed_size 0
		.amdhsa_kernarg_size 108
		.amdhsa_user_sgpr_count 2
		.amdhsa_user_sgpr_dispatch_ptr 0
		.amdhsa_user_sgpr_queue_ptr 0
		.amdhsa_user_sgpr_kernarg_segment_ptr 1
		.amdhsa_user_sgpr_dispatch_id 0
		.amdhsa_user_sgpr_kernarg_preload_length 0
		.amdhsa_user_sgpr_kernarg_preload_offset 0
		.amdhsa_user_sgpr_private_segment_size 0
		.amdhsa_wavefront_size32 1
		.amdhsa_uses_dynamic_stack 0
		.amdhsa_enable_private_segment 0
		.amdhsa_system_sgpr_workgroup_id_x 1
		.amdhsa_system_sgpr_workgroup_id_y 1
		.amdhsa_system_sgpr_workgroup_id_z 1
		.amdhsa_system_sgpr_workgroup_info 0
		.amdhsa_system_vgpr_workitem_id 1
		.amdhsa_next_free_vgpr 52
		.amdhsa_next_free_sgpr 36
		.amdhsa_named_barrier_count 0
		.amdhsa_reserve_vcc 1
		.amdhsa_float_round_mode_32 0
		.amdhsa_float_round_mode_16_64 0
		.amdhsa_float_denorm_mode_32 3
		.amdhsa_float_denorm_mode_16_64 3
		.amdhsa_fp16_overflow 0
		.amdhsa_memory_ordered 1
		.amdhsa_forward_progress 1
		.amdhsa_inst_pref_size 13
		.amdhsa_round_robin_scheduling 0
		.amdhsa_exception_fp_ieee_invalid_op 0
		.amdhsa_exception_fp_denorm_src 0
		.amdhsa_exception_fp_ieee_div_zero 0
		.amdhsa_exception_fp_ieee_overflow 0
		.amdhsa_exception_fp_ieee_underflow 0
		.amdhsa_exception_fp_ieee_inexact 0
		.amdhsa_exception_int_div_zero 0
	.end_amdhsa_kernel
	.section	.text._ZL29rocblas_internal_gemmt_kernelIlLi16ELi32ELi8ELc78ELc78ELc76ELb0ELb0EdPKdS1_PdEviT_T9_T10_S3_lS5_S3_lS4_T11_S3_li,"axG",@progbits,_ZL29rocblas_internal_gemmt_kernelIlLi16ELi32ELi8ELc78ELc78ELc76ELb0ELb0EdPKdS1_PdEviT_T9_T10_S3_lS5_S3_lS4_T11_S3_li,comdat
.Lfunc_end189:
	.size	_ZL29rocblas_internal_gemmt_kernelIlLi16ELi32ELi8ELc78ELc78ELc76ELb0ELb0EdPKdS1_PdEviT_T9_T10_S3_lS5_S3_lS4_T11_S3_li, .Lfunc_end189-_ZL29rocblas_internal_gemmt_kernelIlLi16ELi32ELi8ELc78ELc78ELc76ELb0ELb0EdPKdS1_PdEviT_T9_T10_S3_lS5_S3_lS4_T11_S3_li
                                        ; -- End function
	.set _ZL29rocblas_internal_gemmt_kernelIlLi16ELi32ELi8ELc78ELc78ELc76ELb0ELb0EdPKdS1_PdEviT_T9_T10_S3_lS5_S3_lS4_T11_S3_li.num_vgpr, 52
	.set _ZL29rocblas_internal_gemmt_kernelIlLi16ELi32ELi8ELc78ELc78ELc76ELb0ELb0EdPKdS1_PdEviT_T9_T10_S3_lS5_S3_lS4_T11_S3_li.num_agpr, 0
	.set _ZL29rocblas_internal_gemmt_kernelIlLi16ELi32ELi8ELc78ELc78ELc76ELb0ELb0EdPKdS1_PdEviT_T9_T10_S3_lS5_S3_lS4_T11_S3_li.numbered_sgpr, 36
	.set _ZL29rocblas_internal_gemmt_kernelIlLi16ELi32ELi8ELc78ELc78ELc76ELb0ELb0EdPKdS1_PdEviT_T9_T10_S3_lS5_S3_lS4_T11_S3_li.num_named_barrier, 0
	.set _ZL29rocblas_internal_gemmt_kernelIlLi16ELi32ELi8ELc78ELc78ELc76ELb0ELb0EdPKdS1_PdEviT_T9_T10_S3_lS5_S3_lS4_T11_S3_li.private_seg_size, 0
	.set _ZL29rocblas_internal_gemmt_kernelIlLi16ELi32ELi8ELc78ELc78ELc76ELb0ELb0EdPKdS1_PdEviT_T9_T10_S3_lS5_S3_lS4_T11_S3_li.uses_vcc, 1
	.set _ZL29rocblas_internal_gemmt_kernelIlLi16ELi32ELi8ELc78ELc78ELc76ELb0ELb0EdPKdS1_PdEviT_T9_T10_S3_lS5_S3_lS4_T11_S3_li.uses_flat_scratch, 0
	.set _ZL29rocblas_internal_gemmt_kernelIlLi16ELi32ELi8ELc78ELc78ELc76ELb0ELb0EdPKdS1_PdEviT_T9_T10_S3_lS5_S3_lS4_T11_S3_li.has_dyn_sized_stack, 0
	.set _ZL29rocblas_internal_gemmt_kernelIlLi16ELi32ELi8ELc78ELc78ELc76ELb0ELb0EdPKdS1_PdEviT_T9_T10_S3_lS5_S3_lS4_T11_S3_li.has_recursion, 0
	.set _ZL29rocblas_internal_gemmt_kernelIlLi16ELi32ELi8ELc78ELc78ELc76ELb0ELb0EdPKdS1_PdEviT_T9_T10_S3_lS5_S3_lS4_T11_S3_li.has_indirect_call, 0
	.section	.AMDGPU.csdata,"",@progbits
; Kernel info:
; codeLenInByte = 1604
; TotalNumSgprs: 38
; NumVgprs: 52
; ScratchSize: 0
; MemoryBound: 0
; FloatMode: 240
; IeeeMode: 1
; LDSByteSize: 4096 bytes/workgroup (compile time only)
; SGPRBlocks: 0
; VGPRBlocks: 3
; NumSGPRsForWavesPerEU: 38
; NumVGPRsForWavesPerEU: 52
; NamedBarCnt: 0
; Occupancy: 16
; WaveLimiterHint : 0
; COMPUTE_PGM_RSRC2:SCRATCH_EN: 0
; COMPUTE_PGM_RSRC2:USER_SGPR: 2
; COMPUTE_PGM_RSRC2:TRAP_HANDLER: 0
; COMPUTE_PGM_RSRC2:TGID_X_EN: 1
; COMPUTE_PGM_RSRC2:TGID_Y_EN: 1
; COMPUTE_PGM_RSRC2:TGID_Z_EN: 1
; COMPUTE_PGM_RSRC2:TIDIG_COMP_CNT: 1
	.section	.text._ZL29rocblas_internal_gemmt_kernelIlLi16ELi32ELi8ELc78ELc84ELc76ELb0ELb0EdPKdS1_PdEviT_T9_T10_S3_lS5_S3_lS4_T11_S3_li,"axG",@progbits,_ZL29rocblas_internal_gemmt_kernelIlLi16ELi32ELi8ELc78ELc84ELc76ELb0ELb0EdPKdS1_PdEviT_T9_T10_S3_lS5_S3_lS4_T11_S3_li,comdat
	.globl	_ZL29rocblas_internal_gemmt_kernelIlLi16ELi32ELi8ELc78ELc84ELc76ELb0ELb0EdPKdS1_PdEviT_T9_T10_S3_lS5_S3_lS4_T11_S3_li ; -- Begin function _ZL29rocblas_internal_gemmt_kernelIlLi16ELi32ELi8ELc78ELc84ELc76ELb0ELb0EdPKdS1_PdEviT_T9_T10_S3_lS5_S3_lS4_T11_S3_li
	.p2align	8
	.type	_ZL29rocblas_internal_gemmt_kernelIlLi16ELi32ELi8ELc78ELc84ELc76ELb0ELb0EdPKdS1_PdEviT_T9_T10_S3_lS5_S3_lS4_T11_S3_li,@function
_ZL29rocblas_internal_gemmt_kernelIlLi16ELi32ELi8ELc78ELc84ELc76ELb0ELb0EdPKdS1_PdEviT_T9_T10_S3_lS5_S3_lS4_T11_S3_li: ; @_ZL29rocblas_internal_gemmt_kernelIlLi16ELi32ELi8ELc78ELc84ELc76ELb0ELb0EdPKdS1_PdEviT_T9_T10_S3_lS5_S3_lS4_T11_S3_li
; %bb.0:
	s_load_b256 s[24:31], s[0:1], 0x48
	s_wait_kmcnt 0x0
	s_load_b64 s[6:7], s[24:25], 0x0
	s_load_b512 s[8:23], s[0:1], 0x8
	s_wait_kmcnt 0x0
	v_cmp_neq_f64_e64 s2, s[6:7], 1.0
	s_load_b64 s[10:11], s[10:11], 0x0
	s_and_b32 vcc_lo, exec_lo, s2
	s_cbranch_vccnz .LBB190_2
; %bb.1:
	s_wait_kmcnt 0x0
	v_cmp_neq_f64_e64 s2, s[10:11], 0
	s_cmp_lg_u64 s[8:9], 0
	s_cselect_b32 s3, -1, 0
	s_delay_alu instid0(SALU_CYCLE_1)
	s_and_b32 s2, s3, s2
.LBB190_2:
	s_delay_alu instid0(SALU_CYCLE_1)
	s_and_not1_b32 vcc_lo, exec_lo, s2
	s_cbranch_vccnz .LBB190_35
; %bb.3:
	s_load_b32 s33, s[0:1], 0x68
	s_bfe_u32 s2, ttmp6, 0x40014
	s_lshr_b32 s3, ttmp7, 16
	s_add_co_i32 s2, s2, 1
	s_bfe_u32 s5, ttmp6, 0x40008
	s_mul_i32 s4, s3, s2
	s_getreg_b32 s2, hwreg(HW_REG_IB_STS2, 6, 4)
	s_add_co_i32 s5, s5, s4
	s_cmp_eq_u32 s2, 0
	s_mov_b32 s25, 0
	s_cselect_b32 s24, s3, s5
	s_wait_kmcnt 0x0
	s_cmp_ge_u32 s24, s33
	s_cbranch_scc1 .LBB190_35
; %bb.4:
	s_bfe_u32 s3, ttmp6, 0x4000c
	s_bfe_u32 s5, ttmp6, 0x40010
	s_add_co_i32 s3, s3, 1
	s_and_b32 s34, ttmp7, 0xffff
	s_add_co_i32 s5, s5, 1
	s_and_b32 s4, ttmp6, 15
	s_mul_i32 s3, ttmp9, s3
	s_mul_i32 s5, s34, s5
	s_bfe_u32 s35, ttmp6, 0x40004
	s_add_co_i32 s4, s4, s3
	s_add_co_i32 s35, s35, s5
	s_cmp_eq_u32 s2, 0
	v_and_b32_e32 v9, 0x3ff, v0
	v_bfe_u32 v15, v0, 10, 10
	s_cselect_b32 s2, s34, s35
	s_cselect_b32 s3, ttmp9, s4
	s_lshl_b32 s2, s2, 5
	s_load_b32 s4, s[0:1], 0x0
	v_lshl_add_u32 v1, v15, 4, v9
	v_add_nc_u32_e32 v16, s2, v15
	s_wait_xcnt 0x0
	s_lshl_b32 s1, s3, 5
	v_and_b32_e32 v0, 7, v0
	v_cmp_neq_f64_e64 s35, s[10:11], 0
	v_dual_lshrrev_b32 v2, 5, v1 :: v_dual_bitop2_b32 v3, 31, v1 bitop3:0x40
	v_dual_add_nc_u32 v18, 16, v16 :: v_dual_lshrrev_b32 v8, 3, v1
	v_ashrrev_i32_e32 v17, 31, v16
	v_cmp_neq_f64_e64 s34, s[6:7], 0
	s_delay_alu instid0(VALU_DEP_3) | instskip(NEXT) | instid1(VALU_DEP_4)
	v_dual_ashrrev_i32 v19, 31, v18 :: v_dual_bitop2_b32 v10, s1, v3 bitop3:0x54
	v_add_nc_u32_e32 v12, s2, v8
	s_delay_alu instid0(VALU_DEP_4) | instskip(SKIP_1) | instid1(VALU_DEP_4)
	v_mul_u64_e32 v[4:5], s[28:29], v[16:17]
	v_dual_lshlrev_b32 v1, 3, v3 :: v_dual_lshlrev_b32 v3, 3, v0
	v_mul_u64_e32 v[6:7], s[28:29], v[18:19]
	s_delay_alu instid0(VALU_DEP_4) | instskip(SKIP_1) | instid1(VALU_DEP_4)
	v_dual_ashrrev_i32 v11, 31, v10 :: v_dual_ashrrev_i32 v13, 31, v12
	v_lshlrev_b32_e32 v34, 3, v9
	v_lshl_or_b32 v3, v8, 6, v3
	v_add_nc_u32_e32 v8, s1, v9
	v_cmp_gt_i64_e64 s28, s[8:9], 0
	s_wait_kmcnt 0x0
	v_cmp_gt_i32_e64 s0, s4, v10
	v_lshl_add_u64 v[10:11], v[10:11], 3, s[12:13]
	v_cmp_gt_i32_e64 s1, s4, v12
	v_cmp_le_i32_e32 vcc_lo, v16, v8
	v_cmp_gt_i32_e64 s2, s4, v8
	v_dual_add_nc_u32 v14, 16, v8 :: v_dual_ashrrev_i32 v9, 31, v8
	v_lshl_or_b32 v1, v2, 8, v1
	v_add_nc_u32_e32 v3, 0x800, v3
	s_and_b32 s12, vcc_lo, s2
	s_delay_alu instid0(VALU_DEP_3)
	v_cmp_le_i32_e32 vcc_lo, v16, v14
	v_cmp_gt_i32_e64 s3, s4, v14
	v_cmp_le_i32_e64 s4, v18, v8
	v_cmp_le_i32_e64 s5, v18, v14
	v_lshl_add_u64 v[12:13], v[12:13], 3, s[18:19]
	v_lshl_add_u32 v35, v15, 6, 0x800
	v_dual_ashrrev_i32 v15, 31, v14 :: v_dual_mov_b32 v17, 0
	s_and_b32 s13, s35, s28
	s_and_b32 s18, vcc_lo, s3
	s_and_b32 s4, s4, s2
	s_and_b32 s5, s5, s3
	s_branch .LBB190_6
.LBB190_5:                              ;   in Loop: Header=BB190_6 Depth=1
	s_wait_xcnt 0x0
	s_or_b32 exec_lo, exec_lo, s2
	s_add_co_i32 s24, s24, 0x10000
	s_delay_alu instid0(SALU_CYCLE_1)
	s_cmp_lt_u32 s24, s33
	s_cbranch_scc0 .LBB190_35
.LBB190_6:                              ; =>This Loop Header: Depth=1
                                        ;     Child Loop BB190_9 Depth 2
	v_mov_b64_e32 v[24:25], 0
	v_mov_b64_e32 v[22:23], 0
	;; [unrolled: 1-line block ×4, first 2 shown]
	s_and_not1_b32 vcc_lo, exec_lo, s13
	s_cbranch_vccnz .LBB190_15
; %bb.7:                                ;   in Loop: Header=BB190_6 Depth=1
	s_mul_u64 s[2:3], s[22:23], s[24:25]
	s_mul_u64 s[28:29], s[16:17], s[24:25]
	v_mov_b64_e32 v[18:19], 0
	v_mov_b64_e32 v[20:21], 0
	v_mov_b64_e32 v[22:23], 0
	v_mov_b64_e32 v[24:25], 0
	v_lshl_add_u64 v[26:27], s[28:29], 3, v[10:11]
	v_lshl_add_u64 v[28:29], s[2:3], 3, v[12:13]
	s_mov_b64 s[2:3], 0
	s_branch .LBB190_9
.LBB190_8:                              ;   in Loop: Header=BB190_9 Depth=2
	s_wait_xcnt 0x0
	s_or_b32 exec_lo, exec_lo, s19
	s_wait_loadcnt 0x0
	ds_store_b64 v3, v[32:33]
	s_wait_dscnt 0x0
	s_barrier_signal -1
	s_barrier_wait -1
	ds_load_b128 v[30:33], v35
	ds_load_2addr_b64 v[36:39], v34 offset1:16
	ds_load_b128 v[40:43], v35 offset:1024
	ds_load_b128 v[44:47], v35 offset:16
	;; [unrolled: 1-line block ×3, first 2 shown]
	s_add_nc_u64 s[2:3], s[2:3], 8
	s_delay_alu instid0(SALU_CYCLE_1)
	v_cmp_gt_i64_e64 s19, s[8:9], s[2:3]
	s_and_b32 vcc_lo, exec_lo, s19
	s_wait_dscnt 0x3
	v_fmac_f64_e32 v[24:25], v[36:37], v[30:31]
	v_fmac_f64_e32 v[22:23], v[38:39], v[30:31]
	s_wait_dscnt 0x2
	v_fmac_f64_e32 v[20:21], v[36:37], v[40:41]
	v_fmac_f64_e32 v[18:19], v[38:39], v[40:41]
	ds_load_2addr_b64 v[36:39], v34 offset0:32 offset1:48
	s_wait_dscnt 0x0
	v_fmac_f64_e32 v[24:25], v[36:37], v[32:33]
	v_fmac_f64_e32 v[22:23], v[38:39], v[32:33]
	v_fmac_f64_e32 v[20:21], v[36:37], v[42:43]
	v_fmac_f64_e32 v[18:19], v[38:39], v[42:43]
	ds_load_2addr_b64 v[30:33], v34 offset0:64 offset1:80
	s_wait_dscnt 0x0
	v_fmac_f64_e32 v[24:25], v[30:31], v[44:45]
	v_fmac_f64_e32 v[22:23], v[32:33], v[44:45]
	;; [unrolled: 6-line block ×3, first 2 shown]
	v_fmac_f64_e32 v[20:21], v[30:31], v[50:51]
	v_fmac_f64_e32 v[18:19], v[32:33], v[50:51]
	ds_load_b128 v[30:33], v35 offset:32
	ds_load_2addr_b64 v[36:39], v34 offset0:128 offset1:144
	ds_load_b128 v[40:43], v35 offset:1056
	ds_load_b128 v[44:47], v35 offset:48
	;; [unrolled: 1-line block ×3, first 2 shown]
	s_wait_dscnt 0x3
	v_fmac_f64_e32 v[24:25], v[36:37], v[30:31]
	v_fmac_f64_e32 v[22:23], v[38:39], v[30:31]
	s_wait_dscnt 0x2
	v_fmac_f64_e32 v[20:21], v[36:37], v[40:41]
	v_fmac_f64_e32 v[18:19], v[38:39], v[40:41]
	ds_load_2addr_b64 v[36:39], v34 offset0:160 offset1:176
	s_wait_dscnt 0x0
	v_fmac_f64_e32 v[24:25], v[36:37], v[32:33]
	v_fmac_f64_e32 v[22:23], v[38:39], v[32:33]
	;; [unrolled: 1-line block ×4, first 2 shown]
	ds_load_2addr_b64 v[30:33], v34 offset0:192 offset1:208
	s_wait_dscnt 0x0
	v_fmac_f64_e32 v[24:25], v[30:31], v[44:45]
	v_fmac_f64_e32 v[22:23], v[32:33], v[44:45]
	;; [unrolled: 1-line block ×4, first 2 shown]
	ds_load_2addr_b64 v[30:33], v34 offset0:224 offset1:240
	s_wait_dscnt 0x0
	s_barrier_signal -1
	s_barrier_wait -1
	v_fmac_f64_e32 v[24:25], v[30:31], v[46:47]
	v_fmac_f64_e32 v[22:23], v[32:33], v[46:47]
	;; [unrolled: 1-line block ×4, first 2 shown]
	s_cbranch_vccz .LBB190_15
.LBB190_9:                              ;   Parent Loop BB190_6 Depth=1
                                        ; =>  This Inner Loop Header: Depth=2
	v_mov_b64_e32 v[30:31], 0
	s_and_saveexec_b32 s19, s0
	s_cbranch_execz .LBB190_13
; %bb.10:                               ;   in Loop: Header=BB190_9 Depth=2
	v_mov_b64_e32 v[30:31], 0
	v_add_nc_u32_e32 v16, s2, v2
	s_mov_b32 s28, exec_lo
	s_delay_alu instid0(VALU_DEP_1)
	v_cmpx_gt_u64_e64 s[8:9], v[16:17]
	s_cbranch_execz .LBB190_12
; %bb.11:                               ;   in Loop: Header=BB190_9 Depth=2
	v_mul_u64_e32 v[30:31], s[14:15], v[16:17]
	s_delay_alu instid0(VALU_DEP_1)
	v_lshl_add_u64 v[30:31], v[30:31], 3, v[26:27]
	global_load_b64 v[30:31], v[30:31], off
.LBB190_12:                             ;   in Loop: Header=BB190_9 Depth=2
	s_wait_xcnt 0x0
	s_or_b32 exec_lo, exec_lo, s28
.LBB190_13:                             ;   in Loop: Header=BB190_9 Depth=2
	s_delay_alu instid0(SALU_CYCLE_1)
	s_or_b32 exec_lo, exec_lo, s19
	v_add_nc_u32_e32 v16, s2, v0
	v_mov_b64_e32 v[32:33], 0
	s_wait_loadcnt 0x0
	ds_store_b64 v1, v[30:31]
	v_cmp_gt_u64_e32 vcc_lo, s[8:9], v[16:17]
	s_and_b32 s28, vcc_lo, s1
	s_delay_alu instid0(SALU_CYCLE_1)
	s_and_saveexec_b32 s19, s28
	s_cbranch_execz .LBB190_8
; %bb.14:                               ;   in Loop: Header=BB190_9 Depth=2
	v_mul_u64_e32 v[30:31], s[20:21], v[16:17]
	s_delay_alu instid0(VALU_DEP_1)
	v_lshl_add_u64 v[30:31], v[30:31], 3, v[28:29]
	global_load_b64 v[32:33], v[30:31], off
	s_branch .LBB190_8
.LBB190_15:                             ;   in Loop: Header=BB190_6 Depth=1
	s_mul_u64 s[2:3], s[30:31], s[24:25]
	s_delay_alu instid0(SALU_CYCLE_1) | instskip(NEXT) | instid1(SALU_CYCLE_1)
	s_lshl_b64 s[2:3], s[2:3], 3
	s_add_nc_u64 s[2:3], s[26:27], s[2:3]
	s_delay_alu instid0(SALU_CYCLE_1)
	v_lshl_add_u64 v[26:27], v[4:5], 3, s[2:3]
	s_and_saveexec_b32 s19, s12
	s_cbranch_execz .LBB190_19
; %bb.16:                               ;   in Loop: Header=BB190_6 Depth=1
	v_mul_f64_e32 v[24:25], s[10:11], v[24:25]
	s_delay_alu instid0(VALU_DEP_2)
	v_lshl_add_u64 v[28:29], v[8:9], 3, v[26:27]
	s_and_b32 vcc_lo, exec_lo, s34
	s_cbranch_vccz .LBB190_30
; %bb.17:                               ;   in Loop: Header=BB190_6 Depth=1
	global_load_b64 v[30:31], v[28:29], off
	s_wait_loadcnt 0x0
	v_fma_f64 v[30:31], s[6:7], v[30:31], v[24:25]
	global_store_b64 v[28:29], v[30:31], off
	s_cbranch_execnz .LBB190_19
.LBB190_18:                             ;   in Loop: Header=BB190_6 Depth=1
	global_store_b64 v[28:29], v[24:25], off
.LBB190_19:                             ;   in Loop: Header=BB190_6 Depth=1
	s_wait_xcnt 0x0
	s_or_b32 exec_lo, exec_lo, s19
	s_and_saveexec_b32 s19, s18
	s_cbranch_execz .LBB190_23
; %bb.20:                               ;   in Loop: Header=BB190_6 Depth=1
	s_delay_alu instid0(VALU_DEP_4)
	v_mul_f64_e32 v[22:23], s[10:11], v[22:23]
	v_lshl_add_u64 v[24:25], v[14:15], 3, v[26:27]
	s_and_not1_b32 vcc_lo, exec_lo, s34
	s_cbranch_vccnz .LBB190_31
; %bb.21:                               ;   in Loop: Header=BB190_6 Depth=1
	global_load_b64 v[26:27], v[24:25], off
	s_wait_loadcnt 0x0
	v_fma_f64 v[26:27], s[6:7], v[26:27], v[22:23]
	global_store_b64 v[24:25], v[26:27], off
	s_cbranch_execnz .LBB190_23
.LBB190_22:                             ;   in Loop: Header=BB190_6 Depth=1
	global_store_b64 v[24:25], v[22:23], off
.LBB190_23:                             ;   in Loop: Header=BB190_6 Depth=1
	s_wait_xcnt 0x0
	s_or_b32 exec_lo, exec_lo, s19
	v_lshl_add_u64 v[22:23], v[6:7], 3, s[2:3]
	s_and_saveexec_b32 s2, s4
	s_cbranch_execz .LBB190_27
; %bb.24:                               ;   in Loop: Header=BB190_6 Depth=1
	s_delay_alu instid0(VALU_DEP_4) | instskip(NEXT) | instid1(VALU_DEP_2)
	v_mul_f64_e32 v[20:21], s[10:11], v[20:21]
	v_lshl_add_u64 v[24:25], v[8:9], 3, v[22:23]
	s_and_not1_b32 vcc_lo, exec_lo, s34
	s_cbranch_vccnz .LBB190_32
; %bb.25:                               ;   in Loop: Header=BB190_6 Depth=1
	global_load_b64 v[26:27], v[24:25], off
	s_wait_loadcnt 0x0
	v_fma_f64 v[26:27], s[6:7], v[26:27], v[20:21]
	global_store_b64 v[24:25], v[26:27], off
	s_cbranch_execnz .LBB190_27
.LBB190_26:                             ;   in Loop: Header=BB190_6 Depth=1
	global_store_b64 v[24:25], v[20:21], off
.LBB190_27:                             ;   in Loop: Header=BB190_6 Depth=1
	s_wait_xcnt 0x0
	s_or_b32 exec_lo, exec_lo, s2
	s_and_saveexec_b32 s2, s5
	s_cbranch_execz .LBB190_5
; %bb.28:                               ;   in Loop: Header=BB190_6 Depth=1
	s_delay_alu instid0(VALU_DEP_3)
	v_mul_f64_e32 v[18:19], s[10:11], v[18:19]
	v_lshl_add_u64 v[20:21], v[14:15], 3, v[22:23]
	s_and_not1_b32 vcc_lo, exec_lo, s34
	s_cbranch_vccnz .LBB190_33
; %bb.29:                               ;   in Loop: Header=BB190_6 Depth=1
	global_load_b64 v[22:23], v[20:21], off
	s_wait_loadcnt 0x0
	v_fma_f64 v[22:23], s[6:7], v[22:23], v[18:19]
	global_store_b64 v[20:21], v[22:23], off
	s_cbranch_execnz .LBB190_5
	s_branch .LBB190_34
.LBB190_30:                             ;   in Loop: Header=BB190_6 Depth=1
	s_branch .LBB190_18
.LBB190_31:                             ;   in Loop: Header=BB190_6 Depth=1
	s_branch .LBB190_22
.LBB190_32:                             ;   in Loop: Header=BB190_6 Depth=1
	s_branch .LBB190_26
.LBB190_33:                             ;   in Loop: Header=BB190_6 Depth=1
.LBB190_34:                             ;   in Loop: Header=BB190_6 Depth=1
	global_store_b64 v[20:21], v[18:19], off
	s_branch .LBB190_5
.LBB190_35:
	s_endpgm
	.section	.rodata,"a",@progbits
	.p2align	6, 0x0
	.amdhsa_kernel _ZL29rocblas_internal_gemmt_kernelIlLi16ELi32ELi8ELc78ELc84ELc76ELb0ELb0EdPKdS1_PdEviT_T9_T10_S3_lS5_S3_lS4_T11_S3_li
		.amdhsa_group_segment_fixed_size 4096
		.amdhsa_private_segment_fixed_size 0
		.amdhsa_kernarg_size 108
		.amdhsa_user_sgpr_count 2
		.amdhsa_user_sgpr_dispatch_ptr 0
		.amdhsa_user_sgpr_queue_ptr 0
		.amdhsa_user_sgpr_kernarg_segment_ptr 1
		.amdhsa_user_sgpr_dispatch_id 0
		.amdhsa_user_sgpr_kernarg_preload_length 0
		.amdhsa_user_sgpr_kernarg_preload_offset 0
		.amdhsa_user_sgpr_private_segment_size 0
		.amdhsa_wavefront_size32 1
		.amdhsa_uses_dynamic_stack 0
		.amdhsa_enable_private_segment 0
		.amdhsa_system_sgpr_workgroup_id_x 1
		.amdhsa_system_sgpr_workgroup_id_y 1
		.amdhsa_system_sgpr_workgroup_id_z 1
		.amdhsa_system_sgpr_workgroup_info 0
		.amdhsa_system_vgpr_workitem_id 1
		.amdhsa_next_free_vgpr 52
		.amdhsa_next_free_sgpr 36
		.amdhsa_named_barrier_count 0
		.amdhsa_reserve_vcc 1
		.amdhsa_float_round_mode_32 0
		.amdhsa_float_round_mode_16_64 0
		.amdhsa_float_denorm_mode_32 3
		.amdhsa_float_denorm_mode_16_64 3
		.amdhsa_fp16_overflow 0
		.amdhsa_memory_ordered 1
		.amdhsa_forward_progress 1
		.amdhsa_inst_pref_size 13
		.amdhsa_round_robin_scheduling 0
		.amdhsa_exception_fp_ieee_invalid_op 0
		.amdhsa_exception_fp_denorm_src 0
		.amdhsa_exception_fp_ieee_div_zero 0
		.amdhsa_exception_fp_ieee_overflow 0
		.amdhsa_exception_fp_ieee_underflow 0
		.amdhsa_exception_fp_ieee_inexact 0
		.amdhsa_exception_int_div_zero 0
	.end_amdhsa_kernel
	.section	.text._ZL29rocblas_internal_gemmt_kernelIlLi16ELi32ELi8ELc78ELc84ELc76ELb0ELb0EdPKdS1_PdEviT_T9_T10_S3_lS5_S3_lS4_T11_S3_li,"axG",@progbits,_ZL29rocblas_internal_gemmt_kernelIlLi16ELi32ELi8ELc78ELc84ELc76ELb0ELb0EdPKdS1_PdEviT_T9_T10_S3_lS5_S3_lS4_T11_S3_li,comdat
.Lfunc_end190:
	.size	_ZL29rocblas_internal_gemmt_kernelIlLi16ELi32ELi8ELc78ELc84ELc76ELb0ELb0EdPKdS1_PdEviT_T9_T10_S3_lS5_S3_lS4_T11_S3_li, .Lfunc_end190-_ZL29rocblas_internal_gemmt_kernelIlLi16ELi32ELi8ELc78ELc84ELc76ELb0ELb0EdPKdS1_PdEviT_T9_T10_S3_lS5_S3_lS4_T11_S3_li
                                        ; -- End function
	.set _ZL29rocblas_internal_gemmt_kernelIlLi16ELi32ELi8ELc78ELc84ELc76ELb0ELb0EdPKdS1_PdEviT_T9_T10_S3_lS5_S3_lS4_T11_S3_li.num_vgpr, 52
	.set _ZL29rocblas_internal_gemmt_kernelIlLi16ELi32ELi8ELc78ELc84ELc76ELb0ELb0EdPKdS1_PdEviT_T9_T10_S3_lS5_S3_lS4_T11_S3_li.num_agpr, 0
	.set _ZL29rocblas_internal_gemmt_kernelIlLi16ELi32ELi8ELc78ELc84ELc76ELb0ELb0EdPKdS1_PdEviT_T9_T10_S3_lS5_S3_lS4_T11_S3_li.numbered_sgpr, 36
	.set _ZL29rocblas_internal_gemmt_kernelIlLi16ELi32ELi8ELc78ELc84ELc76ELb0ELb0EdPKdS1_PdEviT_T9_T10_S3_lS5_S3_lS4_T11_S3_li.num_named_barrier, 0
	.set _ZL29rocblas_internal_gemmt_kernelIlLi16ELi32ELi8ELc78ELc84ELc76ELb0ELb0EdPKdS1_PdEviT_T9_T10_S3_lS5_S3_lS4_T11_S3_li.private_seg_size, 0
	.set _ZL29rocblas_internal_gemmt_kernelIlLi16ELi32ELi8ELc78ELc84ELc76ELb0ELb0EdPKdS1_PdEviT_T9_T10_S3_lS5_S3_lS4_T11_S3_li.uses_vcc, 1
	.set _ZL29rocblas_internal_gemmt_kernelIlLi16ELi32ELi8ELc78ELc84ELc76ELb0ELb0EdPKdS1_PdEviT_T9_T10_S3_lS5_S3_lS4_T11_S3_li.uses_flat_scratch, 0
	.set _ZL29rocblas_internal_gemmt_kernelIlLi16ELi32ELi8ELc78ELc84ELc76ELb0ELb0EdPKdS1_PdEviT_T9_T10_S3_lS5_S3_lS4_T11_S3_li.has_dyn_sized_stack, 0
	.set _ZL29rocblas_internal_gemmt_kernelIlLi16ELi32ELi8ELc78ELc84ELc76ELb0ELb0EdPKdS1_PdEviT_T9_T10_S3_lS5_S3_lS4_T11_S3_li.has_recursion, 0
	.set _ZL29rocblas_internal_gemmt_kernelIlLi16ELi32ELi8ELc78ELc84ELc76ELb0ELb0EdPKdS1_PdEviT_T9_T10_S3_lS5_S3_lS4_T11_S3_li.has_indirect_call, 0
	.section	.AMDGPU.csdata,"",@progbits
; Kernel info:
; codeLenInByte = 1608
; TotalNumSgprs: 38
; NumVgprs: 52
; ScratchSize: 0
; MemoryBound: 0
; FloatMode: 240
; IeeeMode: 1
; LDSByteSize: 4096 bytes/workgroup (compile time only)
; SGPRBlocks: 0
; VGPRBlocks: 3
; NumSGPRsForWavesPerEU: 38
; NumVGPRsForWavesPerEU: 52
; NamedBarCnt: 0
; Occupancy: 16
; WaveLimiterHint : 0
; COMPUTE_PGM_RSRC2:SCRATCH_EN: 0
; COMPUTE_PGM_RSRC2:USER_SGPR: 2
; COMPUTE_PGM_RSRC2:TRAP_HANDLER: 0
; COMPUTE_PGM_RSRC2:TGID_X_EN: 1
; COMPUTE_PGM_RSRC2:TGID_Y_EN: 1
; COMPUTE_PGM_RSRC2:TGID_Z_EN: 1
; COMPUTE_PGM_RSRC2:TIDIG_COMP_CNT: 1
	.section	.text._ZL29rocblas_internal_gemmt_kernelIlLi16ELi32ELi8ELc78ELc67ELc76ELb0ELb0EdPKdS1_PdEviT_T9_T10_S3_lS5_S3_lS4_T11_S3_li,"axG",@progbits,_ZL29rocblas_internal_gemmt_kernelIlLi16ELi32ELi8ELc78ELc67ELc76ELb0ELb0EdPKdS1_PdEviT_T9_T10_S3_lS5_S3_lS4_T11_S3_li,comdat
	.globl	_ZL29rocblas_internal_gemmt_kernelIlLi16ELi32ELi8ELc78ELc67ELc76ELb0ELb0EdPKdS1_PdEviT_T9_T10_S3_lS5_S3_lS4_T11_S3_li ; -- Begin function _ZL29rocblas_internal_gemmt_kernelIlLi16ELi32ELi8ELc78ELc67ELc76ELb0ELb0EdPKdS1_PdEviT_T9_T10_S3_lS5_S3_lS4_T11_S3_li
	.p2align	8
	.type	_ZL29rocblas_internal_gemmt_kernelIlLi16ELi32ELi8ELc78ELc67ELc76ELb0ELb0EdPKdS1_PdEviT_T9_T10_S3_lS5_S3_lS4_T11_S3_li,@function
_ZL29rocblas_internal_gemmt_kernelIlLi16ELi32ELi8ELc78ELc67ELc76ELb0ELb0EdPKdS1_PdEviT_T9_T10_S3_lS5_S3_lS4_T11_S3_li: ; @_ZL29rocblas_internal_gemmt_kernelIlLi16ELi32ELi8ELc78ELc67ELc76ELb0ELb0EdPKdS1_PdEviT_T9_T10_S3_lS5_S3_lS4_T11_S3_li
; %bb.0:
	s_load_b256 s[24:31], s[0:1], 0x48
	s_wait_kmcnt 0x0
	s_load_b64 s[6:7], s[24:25], 0x0
	s_load_b512 s[8:23], s[0:1], 0x8
	s_wait_kmcnt 0x0
	v_cmp_neq_f64_e64 s2, s[6:7], 1.0
	s_load_b64 s[10:11], s[10:11], 0x0
	s_and_b32 vcc_lo, exec_lo, s2
	s_cbranch_vccnz .LBB191_2
; %bb.1:
	s_wait_kmcnt 0x0
	v_cmp_neq_f64_e64 s2, s[10:11], 0
	s_cmp_lg_u64 s[8:9], 0
	s_cselect_b32 s3, -1, 0
	s_delay_alu instid0(SALU_CYCLE_1)
	s_and_b32 s2, s3, s2
.LBB191_2:
	s_delay_alu instid0(SALU_CYCLE_1)
	s_and_not1_b32 vcc_lo, exec_lo, s2
	s_cbranch_vccnz .LBB191_35
; %bb.3:
	s_load_b32 s33, s[0:1], 0x68
	s_bfe_u32 s2, ttmp6, 0x40014
	s_lshr_b32 s3, ttmp7, 16
	s_add_co_i32 s2, s2, 1
	s_bfe_u32 s5, ttmp6, 0x40008
	s_mul_i32 s4, s3, s2
	s_getreg_b32 s2, hwreg(HW_REG_IB_STS2, 6, 4)
	s_add_co_i32 s5, s5, s4
	s_cmp_eq_u32 s2, 0
	s_mov_b32 s25, 0
	s_cselect_b32 s24, s3, s5
	s_wait_kmcnt 0x0
	s_cmp_ge_u32 s24, s33
	s_cbranch_scc1 .LBB191_35
; %bb.4:
	s_bfe_u32 s3, ttmp6, 0x4000c
	s_bfe_u32 s5, ttmp6, 0x40010
	s_add_co_i32 s3, s3, 1
	s_and_b32 s34, ttmp7, 0xffff
	s_add_co_i32 s5, s5, 1
	s_and_b32 s4, ttmp6, 15
	s_mul_i32 s3, ttmp9, s3
	s_mul_i32 s5, s34, s5
	s_bfe_u32 s35, ttmp6, 0x40004
	s_add_co_i32 s4, s4, s3
	s_add_co_i32 s35, s35, s5
	s_cmp_eq_u32 s2, 0
	v_and_b32_e32 v9, 0x3ff, v0
	v_bfe_u32 v15, v0, 10, 10
	s_cselect_b32 s2, s34, s35
	s_cselect_b32 s3, ttmp9, s4
	s_lshl_b32 s2, s2, 5
	s_load_b32 s4, s[0:1], 0x0
	v_lshl_add_u32 v1, v15, 4, v9
	v_add_nc_u32_e32 v16, s2, v15
	s_wait_xcnt 0x0
	s_lshl_b32 s1, s3, 5
	v_and_b32_e32 v0, 7, v0
	v_cmp_neq_f64_e64 s35, s[10:11], 0
	v_dual_lshrrev_b32 v2, 5, v1 :: v_dual_bitop2_b32 v3, 31, v1 bitop3:0x40
	v_dual_add_nc_u32 v18, 16, v16 :: v_dual_lshrrev_b32 v8, 3, v1
	v_ashrrev_i32_e32 v17, 31, v16
	v_cmp_neq_f64_e64 s34, s[6:7], 0
	s_delay_alu instid0(VALU_DEP_3) | instskip(NEXT) | instid1(VALU_DEP_4)
	v_dual_ashrrev_i32 v19, 31, v18 :: v_dual_bitop2_b32 v10, s1, v3 bitop3:0x54
	v_add_nc_u32_e32 v12, s2, v8
	s_delay_alu instid0(VALU_DEP_4) | instskip(SKIP_1) | instid1(VALU_DEP_4)
	v_mul_u64_e32 v[4:5], s[28:29], v[16:17]
	v_dual_lshlrev_b32 v1, 3, v3 :: v_dual_lshlrev_b32 v3, 3, v0
	v_mul_u64_e32 v[6:7], s[28:29], v[18:19]
	s_delay_alu instid0(VALU_DEP_4) | instskip(SKIP_1) | instid1(VALU_DEP_4)
	v_dual_ashrrev_i32 v11, 31, v10 :: v_dual_ashrrev_i32 v13, 31, v12
	v_lshlrev_b32_e32 v34, 3, v9
	v_lshl_or_b32 v3, v8, 6, v3
	v_add_nc_u32_e32 v8, s1, v9
	v_cmp_gt_i64_e64 s28, s[8:9], 0
	s_wait_kmcnt 0x0
	v_cmp_gt_i32_e64 s0, s4, v10
	v_lshl_add_u64 v[10:11], v[10:11], 3, s[12:13]
	v_cmp_gt_i32_e64 s1, s4, v12
	v_cmp_le_i32_e32 vcc_lo, v16, v8
	v_cmp_gt_i32_e64 s2, s4, v8
	v_dual_add_nc_u32 v14, 16, v8 :: v_dual_ashrrev_i32 v9, 31, v8
	v_lshl_or_b32 v1, v2, 8, v1
	v_add_nc_u32_e32 v3, 0x800, v3
	s_and_b32 s12, vcc_lo, s2
	s_delay_alu instid0(VALU_DEP_3)
	v_cmp_le_i32_e32 vcc_lo, v16, v14
	v_cmp_gt_i32_e64 s3, s4, v14
	v_cmp_le_i32_e64 s4, v18, v8
	v_cmp_le_i32_e64 s5, v18, v14
	v_lshl_add_u64 v[12:13], v[12:13], 3, s[18:19]
	v_lshl_add_u32 v35, v15, 6, 0x800
	v_dual_ashrrev_i32 v15, 31, v14 :: v_dual_mov_b32 v17, 0
	s_and_b32 s13, s35, s28
	s_and_b32 s18, vcc_lo, s3
	s_and_b32 s4, s4, s2
	s_and_b32 s5, s5, s3
	s_branch .LBB191_6
.LBB191_5:                              ;   in Loop: Header=BB191_6 Depth=1
	s_wait_xcnt 0x0
	s_or_b32 exec_lo, exec_lo, s2
	s_add_co_i32 s24, s24, 0x10000
	s_delay_alu instid0(SALU_CYCLE_1)
	s_cmp_lt_u32 s24, s33
	s_cbranch_scc0 .LBB191_35
.LBB191_6:                              ; =>This Loop Header: Depth=1
                                        ;     Child Loop BB191_9 Depth 2
	v_mov_b64_e32 v[24:25], 0
	v_mov_b64_e32 v[22:23], 0
	v_mov_b64_e32 v[20:21], 0
	v_mov_b64_e32 v[18:19], 0
	s_and_not1_b32 vcc_lo, exec_lo, s13
	s_cbranch_vccnz .LBB191_15
; %bb.7:                                ;   in Loop: Header=BB191_6 Depth=1
	s_mul_u64 s[2:3], s[22:23], s[24:25]
	s_mul_u64 s[28:29], s[16:17], s[24:25]
	v_mov_b64_e32 v[18:19], 0
	v_mov_b64_e32 v[20:21], 0
	;; [unrolled: 1-line block ×4, first 2 shown]
	v_lshl_add_u64 v[26:27], s[28:29], 3, v[10:11]
	v_lshl_add_u64 v[28:29], s[2:3], 3, v[12:13]
	s_mov_b64 s[2:3], 0
	s_branch .LBB191_9
.LBB191_8:                              ;   in Loop: Header=BB191_9 Depth=2
	s_wait_xcnt 0x0
	s_or_b32 exec_lo, exec_lo, s19
	s_wait_loadcnt 0x0
	ds_store_b64 v3, v[32:33]
	s_wait_dscnt 0x0
	s_barrier_signal -1
	s_barrier_wait -1
	ds_load_b128 v[30:33], v35
	ds_load_2addr_b64 v[36:39], v34 offset1:16
	ds_load_b128 v[40:43], v35 offset:1024
	ds_load_b128 v[44:47], v35 offset:16
	;; [unrolled: 1-line block ×3, first 2 shown]
	s_add_nc_u64 s[2:3], s[2:3], 8
	s_delay_alu instid0(SALU_CYCLE_1)
	v_cmp_gt_i64_e64 s19, s[8:9], s[2:3]
	s_and_b32 vcc_lo, exec_lo, s19
	s_wait_dscnt 0x3
	v_fmac_f64_e32 v[24:25], v[36:37], v[30:31]
	v_fmac_f64_e32 v[22:23], v[38:39], v[30:31]
	s_wait_dscnt 0x2
	v_fmac_f64_e32 v[20:21], v[36:37], v[40:41]
	v_fmac_f64_e32 v[18:19], v[38:39], v[40:41]
	ds_load_2addr_b64 v[36:39], v34 offset0:32 offset1:48
	s_wait_dscnt 0x0
	v_fmac_f64_e32 v[24:25], v[36:37], v[32:33]
	v_fmac_f64_e32 v[22:23], v[38:39], v[32:33]
	v_fmac_f64_e32 v[20:21], v[36:37], v[42:43]
	v_fmac_f64_e32 v[18:19], v[38:39], v[42:43]
	ds_load_2addr_b64 v[30:33], v34 offset0:64 offset1:80
	s_wait_dscnt 0x0
	v_fmac_f64_e32 v[24:25], v[30:31], v[44:45]
	v_fmac_f64_e32 v[22:23], v[32:33], v[44:45]
	;; [unrolled: 6-line block ×3, first 2 shown]
	v_fmac_f64_e32 v[20:21], v[30:31], v[50:51]
	v_fmac_f64_e32 v[18:19], v[32:33], v[50:51]
	ds_load_b128 v[30:33], v35 offset:32
	ds_load_2addr_b64 v[36:39], v34 offset0:128 offset1:144
	ds_load_b128 v[40:43], v35 offset:1056
	ds_load_b128 v[44:47], v35 offset:48
	;; [unrolled: 1-line block ×3, first 2 shown]
	s_wait_dscnt 0x3
	v_fmac_f64_e32 v[24:25], v[36:37], v[30:31]
	v_fmac_f64_e32 v[22:23], v[38:39], v[30:31]
	s_wait_dscnt 0x2
	v_fmac_f64_e32 v[20:21], v[36:37], v[40:41]
	v_fmac_f64_e32 v[18:19], v[38:39], v[40:41]
	ds_load_2addr_b64 v[36:39], v34 offset0:160 offset1:176
	s_wait_dscnt 0x0
	v_fmac_f64_e32 v[24:25], v[36:37], v[32:33]
	v_fmac_f64_e32 v[22:23], v[38:39], v[32:33]
	;; [unrolled: 1-line block ×4, first 2 shown]
	ds_load_2addr_b64 v[30:33], v34 offset0:192 offset1:208
	s_wait_dscnt 0x0
	v_fmac_f64_e32 v[24:25], v[30:31], v[44:45]
	v_fmac_f64_e32 v[22:23], v[32:33], v[44:45]
	;; [unrolled: 1-line block ×4, first 2 shown]
	ds_load_2addr_b64 v[30:33], v34 offset0:224 offset1:240
	s_wait_dscnt 0x0
	s_barrier_signal -1
	s_barrier_wait -1
	v_fmac_f64_e32 v[24:25], v[30:31], v[46:47]
	v_fmac_f64_e32 v[22:23], v[32:33], v[46:47]
	;; [unrolled: 1-line block ×4, first 2 shown]
	s_cbranch_vccz .LBB191_15
.LBB191_9:                              ;   Parent Loop BB191_6 Depth=1
                                        ; =>  This Inner Loop Header: Depth=2
	v_mov_b64_e32 v[30:31], 0
	s_and_saveexec_b32 s19, s0
	s_cbranch_execz .LBB191_13
; %bb.10:                               ;   in Loop: Header=BB191_9 Depth=2
	v_mov_b64_e32 v[30:31], 0
	v_add_nc_u32_e32 v16, s2, v2
	s_mov_b32 s28, exec_lo
	s_delay_alu instid0(VALU_DEP_1)
	v_cmpx_gt_u64_e64 s[8:9], v[16:17]
	s_cbranch_execz .LBB191_12
; %bb.11:                               ;   in Loop: Header=BB191_9 Depth=2
	v_mul_u64_e32 v[30:31], s[14:15], v[16:17]
	s_delay_alu instid0(VALU_DEP_1)
	v_lshl_add_u64 v[30:31], v[30:31], 3, v[26:27]
	global_load_b64 v[30:31], v[30:31], off
.LBB191_12:                             ;   in Loop: Header=BB191_9 Depth=2
	s_wait_xcnt 0x0
	s_or_b32 exec_lo, exec_lo, s28
.LBB191_13:                             ;   in Loop: Header=BB191_9 Depth=2
	s_delay_alu instid0(SALU_CYCLE_1)
	s_or_b32 exec_lo, exec_lo, s19
	v_add_nc_u32_e32 v16, s2, v0
	v_mov_b64_e32 v[32:33], 0
	s_wait_loadcnt 0x0
	ds_store_b64 v1, v[30:31]
	v_cmp_gt_u64_e32 vcc_lo, s[8:9], v[16:17]
	s_and_b32 s28, vcc_lo, s1
	s_delay_alu instid0(SALU_CYCLE_1)
	s_and_saveexec_b32 s19, s28
	s_cbranch_execz .LBB191_8
; %bb.14:                               ;   in Loop: Header=BB191_9 Depth=2
	v_mul_u64_e32 v[30:31], s[20:21], v[16:17]
	s_delay_alu instid0(VALU_DEP_1)
	v_lshl_add_u64 v[30:31], v[30:31], 3, v[28:29]
	global_load_b64 v[32:33], v[30:31], off
	s_branch .LBB191_8
.LBB191_15:                             ;   in Loop: Header=BB191_6 Depth=1
	s_mul_u64 s[2:3], s[30:31], s[24:25]
	s_delay_alu instid0(SALU_CYCLE_1) | instskip(NEXT) | instid1(SALU_CYCLE_1)
	s_lshl_b64 s[2:3], s[2:3], 3
	s_add_nc_u64 s[2:3], s[26:27], s[2:3]
	s_delay_alu instid0(SALU_CYCLE_1)
	v_lshl_add_u64 v[26:27], v[4:5], 3, s[2:3]
	s_and_saveexec_b32 s19, s12
	s_cbranch_execz .LBB191_19
; %bb.16:                               ;   in Loop: Header=BB191_6 Depth=1
	v_mul_f64_e32 v[24:25], s[10:11], v[24:25]
	s_delay_alu instid0(VALU_DEP_2)
	v_lshl_add_u64 v[28:29], v[8:9], 3, v[26:27]
	s_and_b32 vcc_lo, exec_lo, s34
	s_cbranch_vccz .LBB191_30
; %bb.17:                               ;   in Loop: Header=BB191_6 Depth=1
	global_load_b64 v[30:31], v[28:29], off
	s_wait_loadcnt 0x0
	v_fma_f64 v[30:31], s[6:7], v[30:31], v[24:25]
	global_store_b64 v[28:29], v[30:31], off
	s_cbranch_execnz .LBB191_19
.LBB191_18:                             ;   in Loop: Header=BB191_6 Depth=1
	global_store_b64 v[28:29], v[24:25], off
.LBB191_19:                             ;   in Loop: Header=BB191_6 Depth=1
	s_wait_xcnt 0x0
	s_or_b32 exec_lo, exec_lo, s19
	s_and_saveexec_b32 s19, s18
	s_cbranch_execz .LBB191_23
; %bb.20:                               ;   in Loop: Header=BB191_6 Depth=1
	s_delay_alu instid0(VALU_DEP_4)
	v_mul_f64_e32 v[22:23], s[10:11], v[22:23]
	v_lshl_add_u64 v[24:25], v[14:15], 3, v[26:27]
	s_and_not1_b32 vcc_lo, exec_lo, s34
	s_cbranch_vccnz .LBB191_31
; %bb.21:                               ;   in Loop: Header=BB191_6 Depth=1
	global_load_b64 v[26:27], v[24:25], off
	s_wait_loadcnt 0x0
	v_fma_f64 v[26:27], s[6:7], v[26:27], v[22:23]
	global_store_b64 v[24:25], v[26:27], off
	s_cbranch_execnz .LBB191_23
.LBB191_22:                             ;   in Loop: Header=BB191_6 Depth=1
	global_store_b64 v[24:25], v[22:23], off
.LBB191_23:                             ;   in Loop: Header=BB191_6 Depth=1
	s_wait_xcnt 0x0
	s_or_b32 exec_lo, exec_lo, s19
	v_lshl_add_u64 v[22:23], v[6:7], 3, s[2:3]
	s_and_saveexec_b32 s2, s4
	s_cbranch_execz .LBB191_27
; %bb.24:                               ;   in Loop: Header=BB191_6 Depth=1
	s_delay_alu instid0(VALU_DEP_4) | instskip(NEXT) | instid1(VALU_DEP_2)
	v_mul_f64_e32 v[20:21], s[10:11], v[20:21]
	v_lshl_add_u64 v[24:25], v[8:9], 3, v[22:23]
	s_and_not1_b32 vcc_lo, exec_lo, s34
	s_cbranch_vccnz .LBB191_32
; %bb.25:                               ;   in Loop: Header=BB191_6 Depth=1
	global_load_b64 v[26:27], v[24:25], off
	s_wait_loadcnt 0x0
	v_fma_f64 v[26:27], s[6:7], v[26:27], v[20:21]
	global_store_b64 v[24:25], v[26:27], off
	s_cbranch_execnz .LBB191_27
.LBB191_26:                             ;   in Loop: Header=BB191_6 Depth=1
	global_store_b64 v[24:25], v[20:21], off
.LBB191_27:                             ;   in Loop: Header=BB191_6 Depth=1
	s_wait_xcnt 0x0
	s_or_b32 exec_lo, exec_lo, s2
	s_and_saveexec_b32 s2, s5
	s_cbranch_execz .LBB191_5
; %bb.28:                               ;   in Loop: Header=BB191_6 Depth=1
	s_delay_alu instid0(VALU_DEP_3)
	v_mul_f64_e32 v[18:19], s[10:11], v[18:19]
	v_lshl_add_u64 v[20:21], v[14:15], 3, v[22:23]
	s_and_not1_b32 vcc_lo, exec_lo, s34
	s_cbranch_vccnz .LBB191_33
; %bb.29:                               ;   in Loop: Header=BB191_6 Depth=1
	global_load_b64 v[22:23], v[20:21], off
	s_wait_loadcnt 0x0
	v_fma_f64 v[22:23], s[6:7], v[22:23], v[18:19]
	global_store_b64 v[20:21], v[22:23], off
	s_cbranch_execnz .LBB191_5
	s_branch .LBB191_34
.LBB191_30:                             ;   in Loop: Header=BB191_6 Depth=1
	s_branch .LBB191_18
.LBB191_31:                             ;   in Loop: Header=BB191_6 Depth=1
	s_branch .LBB191_22
.LBB191_32:                             ;   in Loop: Header=BB191_6 Depth=1
	s_branch .LBB191_26
.LBB191_33:                             ;   in Loop: Header=BB191_6 Depth=1
.LBB191_34:                             ;   in Loop: Header=BB191_6 Depth=1
	global_store_b64 v[20:21], v[18:19], off
	s_branch .LBB191_5
.LBB191_35:
	s_endpgm
	.section	.rodata,"a",@progbits
	.p2align	6, 0x0
	.amdhsa_kernel _ZL29rocblas_internal_gemmt_kernelIlLi16ELi32ELi8ELc78ELc67ELc76ELb0ELb0EdPKdS1_PdEviT_T9_T10_S3_lS5_S3_lS4_T11_S3_li
		.amdhsa_group_segment_fixed_size 4096
		.amdhsa_private_segment_fixed_size 0
		.amdhsa_kernarg_size 108
		.amdhsa_user_sgpr_count 2
		.amdhsa_user_sgpr_dispatch_ptr 0
		.amdhsa_user_sgpr_queue_ptr 0
		.amdhsa_user_sgpr_kernarg_segment_ptr 1
		.amdhsa_user_sgpr_dispatch_id 0
		.amdhsa_user_sgpr_kernarg_preload_length 0
		.amdhsa_user_sgpr_kernarg_preload_offset 0
		.amdhsa_user_sgpr_private_segment_size 0
		.amdhsa_wavefront_size32 1
		.amdhsa_uses_dynamic_stack 0
		.amdhsa_enable_private_segment 0
		.amdhsa_system_sgpr_workgroup_id_x 1
		.amdhsa_system_sgpr_workgroup_id_y 1
		.amdhsa_system_sgpr_workgroup_id_z 1
		.amdhsa_system_sgpr_workgroup_info 0
		.amdhsa_system_vgpr_workitem_id 1
		.amdhsa_next_free_vgpr 52
		.amdhsa_next_free_sgpr 36
		.amdhsa_named_barrier_count 0
		.amdhsa_reserve_vcc 1
		.amdhsa_float_round_mode_32 0
		.amdhsa_float_round_mode_16_64 0
		.amdhsa_float_denorm_mode_32 3
		.amdhsa_float_denorm_mode_16_64 3
		.amdhsa_fp16_overflow 0
		.amdhsa_memory_ordered 1
		.amdhsa_forward_progress 1
		.amdhsa_inst_pref_size 13
		.amdhsa_round_robin_scheduling 0
		.amdhsa_exception_fp_ieee_invalid_op 0
		.amdhsa_exception_fp_denorm_src 0
		.amdhsa_exception_fp_ieee_div_zero 0
		.amdhsa_exception_fp_ieee_overflow 0
		.amdhsa_exception_fp_ieee_underflow 0
		.amdhsa_exception_fp_ieee_inexact 0
		.amdhsa_exception_int_div_zero 0
	.end_amdhsa_kernel
	.section	.text._ZL29rocblas_internal_gemmt_kernelIlLi16ELi32ELi8ELc78ELc67ELc76ELb0ELb0EdPKdS1_PdEviT_T9_T10_S3_lS5_S3_lS4_T11_S3_li,"axG",@progbits,_ZL29rocblas_internal_gemmt_kernelIlLi16ELi32ELi8ELc78ELc67ELc76ELb0ELb0EdPKdS1_PdEviT_T9_T10_S3_lS5_S3_lS4_T11_S3_li,comdat
.Lfunc_end191:
	.size	_ZL29rocblas_internal_gemmt_kernelIlLi16ELi32ELi8ELc78ELc67ELc76ELb0ELb0EdPKdS1_PdEviT_T9_T10_S3_lS5_S3_lS4_T11_S3_li, .Lfunc_end191-_ZL29rocblas_internal_gemmt_kernelIlLi16ELi32ELi8ELc78ELc67ELc76ELb0ELb0EdPKdS1_PdEviT_T9_T10_S3_lS5_S3_lS4_T11_S3_li
                                        ; -- End function
	.set _ZL29rocblas_internal_gemmt_kernelIlLi16ELi32ELi8ELc78ELc67ELc76ELb0ELb0EdPKdS1_PdEviT_T9_T10_S3_lS5_S3_lS4_T11_S3_li.num_vgpr, 52
	.set _ZL29rocblas_internal_gemmt_kernelIlLi16ELi32ELi8ELc78ELc67ELc76ELb0ELb0EdPKdS1_PdEviT_T9_T10_S3_lS5_S3_lS4_T11_S3_li.num_agpr, 0
	.set _ZL29rocblas_internal_gemmt_kernelIlLi16ELi32ELi8ELc78ELc67ELc76ELb0ELb0EdPKdS1_PdEviT_T9_T10_S3_lS5_S3_lS4_T11_S3_li.numbered_sgpr, 36
	.set _ZL29rocblas_internal_gemmt_kernelIlLi16ELi32ELi8ELc78ELc67ELc76ELb0ELb0EdPKdS1_PdEviT_T9_T10_S3_lS5_S3_lS4_T11_S3_li.num_named_barrier, 0
	.set _ZL29rocblas_internal_gemmt_kernelIlLi16ELi32ELi8ELc78ELc67ELc76ELb0ELb0EdPKdS1_PdEviT_T9_T10_S3_lS5_S3_lS4_T11_S3_li.private_seg_size, 0
	.set _ZL29rocblas_internal_gemmt_kernelIlLi16ELi32ELi8ELc78ELc67ELc76ELb0ELb0EdPKdS1_PdEviT_T9_T10_S3_lS5_S3_lS4_T11_S3_li.uses_vcc, 1
	.set _ZL29rocblas_internal_gemmt_kernelIlLi16ELi32ELi8ELc78ELc67ELc76ELb0ELb0EdPKdS1_PdEviT_T9_T10_S3_lS5_S3_lS4_T11_S3_li.uses_flat_scratch, 0
	.set _ZL29rocblas_internal_gemmt_kernelIlLi16ELi32ELi8ELc78ELc67ELc76ELb0ELb0EdPKdS1_PdEviT_T9_T10_S3_lS5_S3_lS4_T11_S3_li.has_dyn_sized_stack, 0
	.set _ZL29rocblas_internal_gemmt_kernelIlLi16ELi32ELi8ELc78ELc67ELc76ELb0ELb0EdPKdS1_PdEviT_T9_T10_S3_lS5_S3_lS4_T11_S3_li.has_recursion, 0
	.set _ZL29rocblas_internal_gemmt_kernelIlLi16ELi32ELi8ELc78ELc67ELc76ELb0ELb0EdPKdS1_PdEviT_T9_T10_S3_lS5_S3_lS4_T11_S3_li.has_indirect_call, 0
	.section	.AMDGPU.csdata,"",@progbits
; Kernel info:
; codeLenInByte = 1608
; TotalNumSgprs: 38
; NumVgprs: 52
; ScratchSize: 0
; MemoryBound: 0
; FloatMode: 240
; IeeeMode: 1
; LDSByteSize: 4096 bytes/workgroup (compile time only)
; SGPRBlocks: 0
; VGPRBlocks: 3
; NumSGPRsForWavesPerEU: 38
; NumVGPRsForWavesPerEU: 52
; NamedBarCnt: 0
; Occupancy: 16
; WaveLimiterHint : 0
; COMPUTE_PGM_RSRC2:SCRATCH_EN: 0
; COMPUTE_PGM_RSRC2:USER_SGPR: 2
; COMPUTE_PGM_RSRC2:TRAP_HANDLER: 0
; COMPUTE_PGM_RSRC2:TGID_X_EN: 1
; COMPUTE_PGM_RSRC2:TGID_Y_EN: 1
; COMPUTE_PGM_RSRC2:TGID_Z_EN: 1
; COMPUTE_PGM_RSRC2:TIDIG_COMP_CNT: 1
	.section	.text._ZL29rocblas_internal_gemmt_kernelIlLi16ELi32ELi8ELc84ELc78ELc76ELb0ELb0EdPKdS1_PdEviT_T9_T10_S3_lS5_S3_lS4_T11_S3_li,"axG",@progbits,_ZL29rocblas_internal_gemmt_kernelIlLi16ELi32ELi8ELc84ELc78ELc76ELb0ELb0EdPKdS1_PdEviT_T9_T10_S3_lS5_S3_lS4_T11_S3_li,comdat
	.globl	_ZL29rocblas_internal_gemmt_kernelIlLi16ELi32ELi8ELc84ELc78ELc76ELb0ELb0EdPKdS1_PdEviT_T9_T10_S3_lS5_S3_lS4_T11_S3_li ; -- Begin function _ZL29rocblas_internal_gemmt_kernelIlLi16ELi32ELi8ELc84ELc78ELc76ELb0ELb0EdPKdS1_PdEviT_T9_T10_S3_lS5_S3_lS4_T11_S3_li
	.p2align	8
	.type	_ZL29rocblas_internal_gemmt_kernelIlLi16ELi32ELi8ELc84ELc78ELc76ELb0ELb0EdPKdS1_PdEviT_T9_T10_S3_lS5_S3_lS4_T11_S3_li,@function
_ZL29rocblas_internal_gemmt_kernelIlLi16ELi32ELi8ELc84ELc78ELc76ELb0ELb0EdPKdS1_PdEviT_T9_T10_S3_lS5_S3_lS4_T11_S3_li: ; @_ZL29rocblas_internal_gemmt_kernelIlLi16ELi32ELi8ELc84ELc78ELc76ELb0ELb0EdPKdS1_PdEviT_T9_T10_S3_lS5_S3_lS4_T11_S3_li
; %bb.0:
	s_load_b256 s[24:31], s[0:1], 0x48
	s_wait_kmcnt 0x0
	s_load_b64 s[6:7], s[24:25], 0x0
	s_load_b512 s[8:23], s[0:1], 0x8
	s_wait_kmcnt 0x0
	v_cmp_neq_f64_e64 s2, s[6:7], 1.0
	s_load_b64 s[10:11], s[10:11], 0x0
	s_and_b32 vcc_lo, exec_lo, s2
	s_cbranch_vccnz .LBB192_2
; %bb.1:
	s_wait_kmcnt 0x0
	v_cmp_neq_f64_e64 s2, s[10:11], 0
	s_cmp_lg_u64 s[8:9], 0
	s_cselect_b32 s3, -1, 0
	s_delay_alu instid0(SALU_CYCLE_1)
	s_and_b32 s2, s3, s2
.LBB192_2:
	s_delay_alu instid0(SALU_CYCLE_1)
	s_and_not1_b32 vcc_lo, exec_lo, s2
	s_cbranch_vccnz .LBB192_35
; %bb.3:
	s_load_b32 s33, s[0:1], 0x68
	s_bfe_u32 s2, ttmp6, 0x40014
	s_lshr_b32 s3, ttmp7, 16
	s_add_co_i32 s2, s2, 1
	s_bfe_u32 s5, ttmp6, 0x40008
	s_mul_i32 s4, s3, s2
	s_getreg_b32 s2, hwreg(HW_REG_IB_STS2, 6, 4)
	s_add_co_i32 s5, s5, s4
	s_cmp_eq_u32 s2, 0
	s_mov_b32 s25, 0
	s_cselect_b32 s24, s3, s5
	s_wait_kmcnt 0x0
	s_cmp_ge_u32 s24, s33
	s_cbranch_scc1 .LBB192_35
; %bb.4:
	v_and_b32_e32 v6, 0x3ff, v0
	v_bfe_u32 v7, v0, 10, 10
	s_bfe_u32 s4, ttmp6, 0x4000c
	s_bfe_u32 s34, ttmp6, 0x40010
	s_and_b32 s5, ttmp7, 0xffff
	s_add_co_i32 s4, s4, 1
	s_add_co_i32 s34, s34, 1
	v_lshl_add_u32 v8, v7, 4, v6
	s_and_b32 s3, ttmp6, 15
	s_mul_i32 s4, ttmp9, s4
	s_mul_i32 s34, s5, s34
	s_bfe_u32 s35, ttmp6, 0x40004
	s_add_co_i32 s3, s3, s4
	s_add_co_i32 s35, s35, s34
	s_cmp_eq_u32 s2, 0
	v_dual_lshrrev_b32 v10, 3, v8 :: v_dual_bitop2_b32 v11, 31, v8 bitop3:0x40
	s_cselect_b32 s2, ttmp9, s3
	s_cselect_b32 s3, s5, s35
	s_lshl_b32 s2, s2, 5
	s_lshl_b32 s3, s3, 5
	s_delay_alu instid0(SALU_CYCLE_1) | instskip(SKIP_3) | instid1(VALU_DEP_3)
	v_dual_add_nc_u32 v14, s3, v10 :: v_dual_bitop2_b32 v12, s2, v11 bitop3:0x54
	v_add_nc_u32_e32 v16, s3, v7
	s_load_b32 s4, s[0:1], 0x0
	v_dual_lshlrev_b32 v1, 3, v6 :: v_dual_bitop2_b32 v0, 7, v0 bitop3:0x40
	v_dual_ashrrev_i32 v13, 31, v12 :: v_dual_ashrrev_i32 v15, 31, v14
	s_delay_alu instid0(VALU_DEP_3) | instskip(SKIP_1) | instid1(VALU_DEP_3)
	v_dual_add_nc_u32 v22, 16, v16 :: v_dual_add_nc_u32 v6, s2, v6
	v_lshl_add_u32 v9, v7, 6, 0x800
	v_mul_u64_e32 v[18:19], s[14:15], v[12:13]
	s_delay_alu instid0(VALU_DEP_4) | instskip(NEXT) | instid1(VALU_DEP_4)
	v_mul_u64_e32 v[20:21], s[20:21], v[14:15]
	v_dual_ashrrev_i32 v23, 31, v22 :: v_dual_ashrrev_i32 v17, 31, v16
	v_cmp_neq_f64_e64 s20, s[10:11], 0
	v_cmp_neq_f64_e64 s14, s[6:7], 0
	v_lshlrev_b32_e32 v13, 3, v0
	s_delay_alu instid0(VALU_DEP_4)
	v_mul_u64_e32 v[4:5], s[28:29], v[22:23]
	v_mul_u64_e32 v[2:3], s[28:29], v[16:17]
	v_cmp_le_i32_e32 vcc_lo, v16, v6
	v_ashrrev_i32_e32 v7, 31, v6
	v_lshl_or_b32 v13, v10, 6, v13
	v_add_nc_u32_e32 v10, 16, v6
	s_wait_kmcnt 0x0
	v_cmp_gt_i32_e64 s2, s4, v6
	v_dual_lshrrev_b32 v8, 5, v8 :: v_dual_lshlrev_b32 v11, 3, v11
	v_cmp_gt_i64_e64 s21, s[8:9], 0
	v_cmp_gt_i32_e64 s0, s4, v12
	v_cmp_gt_i32_e64 s1, s4, v14
	v_cmp_le_i32_e64 s3, v16, v10
	v_cmp_gt_i32_e64 s4, s4, v10
	s_and_b32 s15, vcc_lo, s2
	v_cmp_le_i32_e32 vcc_lo, v22, v6
	v_cmp_le_i32_e64 s5, v22, v10
	v_lshl_or_b32 v34, v8, 8, v11
	v_add_nc_u32_e32 v35, 0x800, v13
	v_dual_ashrrev_i32 v11, 31, v10 :: v_dual_mov_b32 v17, 0
	v_lshl_add_u64 v[12:13], v[18:19], 3, s[12:13]
	v_lshl_add_u64 v[14:15], v[20:21], 3, s[18:19]
	s_and_b32 s13, s3, s4
	s_and_b32 s18, vcc_lo, s2
	s_and_b32 s12, s20, s21
	s_and_b32 s4, s5, s4
	s_branch .LBB192_6
.LBB192_5:                              ;   in Loop: Header=BB192_6 Depth=1
	s_wait_xcnt 0x0
	s_or_b32 exec_lo, exec_lo, s2
	s_add_co_i32 s24, s24, 0x10000
	s_delay_alu instid0(SALU_CYCLE_1)
	s_cmp_lt_u32 s24, s33
	s_cbranch_scc0 .LBB192_35
.LBB192_6:                              ; =>This Loop Header: Depth=1
                                        ;     Child Loop BB192_9 Depth 2
	v_mov_b64_e32 v[24:25], 0
	v_mov_b64_e32 v[22:23], 0
	;; [unrolled: 1-line block ×4, first 2 shown]
	s_and_not1_b32 vcc_lo, exec_lo, s12
	s_cbranch_vccnz .LBB192_15
; %bb.7:                                ;   in Loop: Header=BB192_6 Depth=1
	s_mul_u64 s[2:3], s[22:23], s[24:25]
	s_mul_u64 s[20:21], s[16:17], s[24:25]
	v_mov_b64_e32 v[18:19], 0
	v_mov_b64_e32 v[20:21], 0
	;; [unrolled: 1-line block ×4, first 2 shown]
	v_lshl_add_u64 v[26:27], s[20:21], 3, v[12:13]
	v_lshl_add_u64 v[28:29], s[2:3], 3, v[14:15]
	s_mov_b64 s[2:3], 0
	s_branch .LBB192_9
.LBB192_8:                              ;   in Loop: Header=BB192_9 Depth=2
	s_wait_xcnt 0x0
	s_or_b32 exec_lo, exec_lo, s5
	s_wait_loadcnt 0x0
	ds_store_b64 v35, v[32:33]
	s_wait_dscnt 0x0
	s_barrier_signal -1
	s_barrier_wait -1
	ds_load_b128 v[30:33], v9
	ds_load_2addr_b64 v[36:39], v1 offset1:16
	ds_load_b128 v[40:43], v9 offset:1024
	ds_load_b128 v[44:47], v9 offset:16
	;; [unrolled: 1-line block ×3, first 2 shown]
	s_add_nc_u64 s[2:3], s[2:3], 8
	s_delay_alu instid0(SALU_CYCLE_1)
	v_cmp_gt_i64_e64 s5, s[8:9], s[2:3]
	s_and_b32 vcc_lo, exec_lo, s5
	s_wait_dscnt 0x3
	v_fmac_f64_e32 v[24:25], v[36:37], v[30:31]
	v_fmac_f64_e32 v[22:23], v[38:39], v[30:31]
	s_wait_dscnt 0x2
	v_fmac_f64_e32 v[20:21], v[36:37], v[40:41]
	v_fmac_f64_e32 v[18:19], v[38:39], v[40:41]
	ds_load_2addr_b64 v[36:39], v1 offset0:32 offset1:48
	s_wait_dscnt 0x0
	v_fmac_f64_e32 v[24:25], v[36:37], v[32:33]
	v_fmac_f64_e32 v[22:23], v[38:39], v[32:33]
	v_fmac_f64_e32 v[20:21], v[36:37], v[42:43]
	v_fmac_f64_e32 v[18:19], v[38:39], v[42:43]
	ds_load_2addr_b64 v[30:33], v1 offset0:64 offset1:80
	s_wait_dscnt 0x0
	v_fmac_f64_e32 v[24:25], v[30:31], v[44:45]
	v_fmac_f64_e32 v[22:23], v[32:33], v[44:45]
	;; [unrolled: 6-line block ×3, first 2 shown]
	v_fmac_f64_e32 v[20:21], v[30:31], v[50:51]
	v_fmac_f64_e32 v[18:19], v[32:33], v[50:51]
	ds_load_b128 v[30:33], v9 offset:32
	ds_load_2addr_b64 v[36:39], v1 offset0:128 offset1:144
	ds_load_b128 v[40:43], v9 offset:1056
	ds_load_b128 v[44:47], v9 offset:48
	ds_load_b128 v[48:51], v9 offset:1072
	s_wait_dscnt 0x3
	v_fmac_f64_e32 v[24:25], v[36:37], v[30:31]
	v_fmac_f64_e32 v[22:23], v[38:39], v[30:31]
	s_wait_dscnt 0x2
	v_fmac_f64_e32 v[20:21], v[36:37], v[40:41]
	v_fmac_f64_e32 v[18:19], v[38:39], v[40:41]
	ds_load_2addr_b64 v[36:39], v1 offset0:160 offset1:176
	s_wait_dscnt 0x0
	v_fmac_f64_e32 v[24:25], v[36:37], v[32:33]
	v_fmac_f64_e32 v[22:23], v[38:39], v[32:33]
	;; [unrolled: 1-line block ×4, first 2 shown]
	ds_load_2addr_b64 v[30:33], v1 offset0:192 offset1:208
	s_wait_dscnt 0x0
	v_fmac_f64_e32 v[24:25], v[30:31], v[44:45]
	v_fmac_f64_e32 v[22:23], v[32:33], v[44:45]
	;; [unrolled: 1-line block ×4, first 2 shown]
	ds_load_2addr_b64 v[30:33], v1 offset0:224 offset1:240
	s_wait_dscnt 0x0
	s_barrier_signal -1
	s_barrier_wait -1
	v_fmac_f64_e32 v[24:25], v[30:31], v[46:47]
	v_fmac_f64_e32 v[22:23], v[32:33], v[46:47]
	;; [unrolled: 1-line block ×4, first 2 shown]
	s_cbranch_vccz .LBB192_15
.LBB192_9:                              ;   Parent Loop BB192_6 Depth=1
                                        ; =>  This Inner Loop Header: Depth=2
	v_mov_b64_e32 v[30:31], 0
	s_and_saveexec_b32 s5, s0
	s_cbranch_execz .LBB192_13
; %bb.10:                               ;   in Loop: Header=BB192_9 Depth=2
	v_mov_b64_e32 v[30:31], 0
	v_add_nc_u32_e32 v16, s2, v8
	s_mov_b32 s19, exec_lo
	s_delay_alu instid0(VALU_DEP_1)
	v_cmpx_gt_u64_e64 s[8:9], v[16:17]
	s_cbranch_execz .LBB192_12
; %bb.11:                               ;   in Loop: Header=BB192_9 Depth=2
	v_lshl_add_u64 v[30:31], v[16:17], 3, v[26:27]
	global_load_b64 v[30:31], v[30:31], off
.LBB192_12:                             ;   in Loop: Header=BB192_9 Depth=2
	s_wait_xcnt 0x0
	s_or_b32 exec_lo, exec_lo, s19
.LBB192_13:                             ;   in Loop: Header=BB192_9 Depth=2
	s_delay_alu instid0(SALU_CYCLE_1)
	s_or_b32 exec_lo, exec_lo, s5
	v_add_nc_u32_e32 v16, s2, v0
	v_mov_b64_e32 v[32:33], 0
	s_wait_loadcnt 0x0
	ds_store_b64 v34, v[30:31]
	v_cmp_gt_u64_e32 vcc_lo, s[8:9], v[16:17]
	s_and_b32 s19, vcc_lo, s1
	s_delay_alu instid0(SALU_CYCLE_1)
	s_and_saveexec_b32 s5, s19
	s_cbranch_execz .LBB192_8
; %bb.14:                               ;   in Loop: Header=BB192_9 Depth=2
	v_lshl_add_u64 v[30:31], v[16:17], 3, v[28:29]
	global_load_b64 v[32:33], v[30:31], off
	s_branch .LBB192_8
.LBB192_15:                             ;   in Loop: Header=BB192_6 Depth=1
	s_mul_u64 s[2:3], s[30:31], s[24:25]
	s_delay_alu instid0(SALU_CYCLE_1) | instskip(NEXT) | instid1(SALU_CYCLE_1)
	s_lshl_b64 s[2:3], s[2:3], 3
	s_add_nc_u64 s[2:3], s[26:27], s[2:3]
	s_delay_alu instid0(SALU_CYCLE_1)
	v_lshl_add_u64 v[26:27], v[2:3], 3, s[2:3]
	s_and_saveexec_b32 s5, s15
	s_cbranch_execz .LBB192_19
; %bb.16:                               ;   in Loop: Header=BB192_6 Depth=1
	v_mul_f64_e32 v[24:25], s[10:11], v[24:25]
	s_delay_alu instid0(VALU_DEP_2)
	v_lshl_add_u64 v[28:29], v[6:7], 3, v[26:27]
	s_and_b32 vcc_lo, exec_lo, s14
	s_cbranch_vccz .LBB192_30
; %bb.17:                               ;   in Loop: Header=BB192_6 Depth=1
	global_load_b64 v[30:31], v[28:29], off
	s_wait_loadcnt 0x0
	v_fma_f64 v[30:31], s[6:7], v[30:31], v[24:25]
	global_store_b64 v[28:29], v[30:31], off
	s_cbranch_execnz .LBB192_19
.LBB192_18:                             ;   in Loop: Header=BB192_6 Depth=1
	global_store_b64 v[28:29], v[24:25], off
.LBB192_19:                             ;   in Loop: Header=BB192_6 Depth=1
	s_wait_xcnt 0x0
	s_or_b32 exec_lo, exec_lo, s5
	s_and_saveexec_b32 s5, s13
	s_cbranch_execz .LBB192_23
; %bb.20:                               ;   in Loop: Header=BB192_6 Depth=1
	s_delay_alu instid0(VALU_DEP_4)
	v_mul_f64_e32 v[22:23], s[10:11], v[22:23]
	v_lshl_add_u64 v[24:25], v[10:11], 3, v[26:27]
	s_and_not1_b32 vcc_lo, exec_lo, s14
	s_cbranch_vccnz .LBB192_31
; %bb.21:                               ;   in Loop: Header=BB192_6 Depth=1
	global_load_b64 v[26:27], v[24:25], off
	s_wait_loadcnt 0x0
	v_fma_f64 v[26:27], s[6:7], v[26:27], v[22:23]
	global_store_b64 v[24:25], v[26:27], off
	s_cbranch_execnz .LBB192_23
.LBB192_22:                             ;   in Loop: Header=BB192_6 Depth=1
	global_store_b64 v[24:25], v[22:23], off
.LBB192_23:                             ;   in Loop: Header=BB192_6 Depth=1
	s_wait_xcnt 0x0
	s_or_b32 exec_lo, exec_lo, s5
	v_lshl_add_u64 v[22:23], v[4:5], 3, s[2:3]
	s_and_saveexec_b32 s2, s18
	s_cbranch_execz .LBB192_27
; %bb.24:                               ;   in Loop: Header=BB192_6 Depth=1
	s_delay_alu instid0(VALU_DEP_4) | instskip(NEXT) | instid1(VALU_DEP_2)
	v_mul_f64_e32 v[20:21], s[10:11], v[20:21]
	v_lshl_add_u64 v[24:25], v[6:7], 3, v[22:23]
	s_and_not1_b32 vcc_lo, exec_lo, s14
	s_cbranch_vccnz .LBB192_32
; %bb.25:                               ;   in Loop: Header=BB192_6 Depth=1
	global_load_b64 v[26:27], v[24:25], off
	s_wait_loadcnt 0x0
	v_fma_f64 v[26:27], s[6:7], v[26:27], v[20:21]
	global_store_b64 v[24:25], v[26:27], off
	s_cbranch_execnz .LBB192_27
.LBB192_26:                             ;   in Loop: Header=BB192_6 Depth=1
	global_store_b64 v[24:25], v[20:21], off
.LBB192_27:                             ;   in Loop: Header=BB192_6 Depth=1
	s_wait_xcnt 0x0
	s_or_b32 exec_lo, exec_lo, s2
	s_and_saveexec_b32 s2, s4
	s_cbranch_execz .LBB192_5
; %bb.28:                               ;   in Loop: Header=BB192_6 Depth=1
	s_delay_alu instid0(VALU_DEP_3)
	v_mul_f64_e32 v[18:19], s[10:11], v[18:19]
	v_lshl_add_u64 v[20:21], v[10:11], 3, v[22:23]
	s_and_not1_b32 vcc_lo, exec_lo, s14
	s_cbranch_vccnz .LBB192_33
; %bb.29:                               ;   in Loop: Header=BB192_6 Depth=1
	global_load_b64 v[22:23], v[20:21], off
	s_wait_loadcnt 0x0
	v_fma_f64 v[22:23], s[6:7], v[22:23], v[18:19]
	global_store_b64 v[20:21], v[22:23], off
	s_cbranch_execnz .LBB192_5
	s_branch .LBB192_34
.LBB192_30:                             ;   in Loop: Header=BB192_6 Depth=1
	s_branch .LBB192_18
.LBB192_31:                             ;   in Loop: Header=BB192_6 Depth=1
	s_branch .LBB192_22
.LBB192_32:                             ;   in Loop: Header=BB192_6 Depth=1
	s_branch .LBB192_26
.LBB192_33:                             ;   in Loop: Header=BB192_6 Depth=1
.LBB192_34:                             ;   in Loop: Header=BB192_6 Depth=1
	global_store_b64 v[20:21], v[18:19], off
	s_branch .LBB192_5
.LBB192_35:
	s_endpgm
	.section	.rodata,"a",@progbits
	.p2align	6, 0x0
	.amdhsa_kernel _ZL29rocblas_internal_gemmt_kernelIlLi16ELi32ELi8ELc84ELc78ELc76ELb0ELb0EdPKdS1_PdEviT_T9_T10_S3_lS5_S3_lS4_T11_S3_li
		.amdhsa_group_segment_fixed_size 4096
		.amdhsa_private_segment_fixed_size 0
		.amdhsa_kernarg_size 108
		.amdhsa_user_sgpr_count 2
		.amdhsa_user_sgpr_dispatch_ptr 0
		.amdhsa_user_sgpr_queue_ptr 0
		.amdhsa_user_sgpr_kernarg_segment_ptr 1
		.amdhsa_user_sgpr_dispatch_id 0
		.amdhsa_user_sgpr_kernarg_preload_length 0
		.amdhsa_user_sgpr_kernarg_preload_offset 0
		.amdhsa_user_sgpr_private_segment_size 0
		.amdhsa_wavefront_size32 1
		.amdhsa_uses_dynamic_stack 0
		.amdhsa_enable_private_segment 0
		.amdhsa_system_sgpr_workgroup_id_x 1
		.amdhsa_system_sgpr_workgroup_id_y 1
		.amdhsa_system_sgpr_workgroup_id_z 1
		.amdhsa_system_sgpr_workgroup_info 0
		.amdhsa_system_vgpr_workitem_id 1
		.amdhsa_next_free_vgpr 52
		.amdhsa_next_free_sgpr 36
		.amdhsa_named_barrier_count 0
		.amdhsa_reserve_vcc 1
		.amdhsa_float_round_mode_32 0
		.amdhsa_float_round_mode_16_64 0
		.amdhsa_float_denorm_mode_32 3
		.amdhsa_float_denorm_mode_16_64 3
		.amdhsa_fp16_overflow 0
		.amdhsa_memory_ordered 1
		.amdhsa_forward_progress 1
		.amdhsa_inst_pref_size 13
		.amdhsa_round_robin_scheduling 0
		.amdhsa_exception_fp_ieee_invalid_op 0
		.amdhsa_exception_fp_denorm_src 0
		.amdhsa_exception_fp_ieee_div_zero 0
		.amdhsa_exception_fp_ieee_overflow 0
		.amdhsa_exception_fp_ieee_underflow 0
		.amdhsa_exception_fp_ieee_inexact 0
		.amdhsa_exception_int_div_zero 0
	.end_amdhsa_kernel
	.section	.text._ZL29rocblas_internal_gemmt_kernelIlLi16ELi32ELi8ELc84ELc78ELc76ELb0ELb0EdPKdS1_PdEviT_T9_T10_S3_lS5_S3_lS4_T11_S3_li,"axG",@progbits,_ZL29rocblas_internal_gemmt_kernelIlLi16ELi32ELi8ELc84ELc78ELc76ELb0ELb0EdPKdS1_PdEviT_T9_T10_S3_lS5_S3_lS4_T11_S3_li,comdat
.Lfunc_end192:
	.size	_ZL29rocblas_internal_gemmt_kernelIlLi16ELi32ELi8ELc84ELc78ELc76ELb0ELb0EdPKdS1_PdEviT_T9_T10_S3_lS5_S3_lS4_T11_S3_li, .Lfunc_end192-_ZL29rocblas_internal_gemmt_kernelIlLi16ELi32ELi8ELc84ELc78ELc76ELb0ELb0EdPKdS1_PdEviT_T9_T10_S3_lS5_S3_lS4_T11_S3_li
                                        ; -- End function
	.set _ZL29rocblas_internal_gemmt_kernelIlLi16ELi32ELi8ELc84ELc78ELc76ELb0ELb0EdPKdS1_PdEviT_T9_T10_S3_lS5_S3_lS4_T11_S3_li.num_vgpr, 52
	.set _ZL29rocblas_internal_gemmt_kernelIlLi16ELi32ELi8ELc84ELc78ELc76ELb0ELb0EdPKdS1_PdEviT_T9_T10_S3_lS5_S3_lS4_T11_S3_li.num_agpr, 0
	.set _ZL29rocblas_internal_gemmt_kernelIlLi16ELi32ELi8ELc84ELc78ELc76ELb0ELb0EdPKdS1_PdEviT_T9_T10_S3_lS5_S3_lS4_T11_S3_li.numbered_sgpr, 36
	.set _ZL29rocblas_internal_gemmt_kernelIlLi16ELi32ELi8ELc84ELc78ELc76ELb0ELb0EdPKdS1_PdEviT_T9_T10_S3_lS5_S3_lS4_T11_S3_li.num_named_barrier, 0
	.set _ZL29rocblas_internal_gemmt_kernelIlLi16ELi32ELi8ELc84ELc78ELc76ELb0ELb0EdPKdS1_PdEviT_T9_T10_S3_lS5_S3_lS4_T11_S3_li.private_seg_size, 0
	.set _ZL29rocblas_internal_gemmt_kernelIlLi16ELi32ELi8ELc84ELc78ELc76ELb0ELb0EdPKdS1_PdEviT_T9_T10_S3_lS5_S3_lS4_T11_S3_li.uses_vcc, 1
	.set _ZL29rocblas_internal_gemmt_kernelIlLi16ELi32ELi8ELc84ELc78ELc76ELb0ELb0EdPKdS1_PdEviT_T9_T10_S3_lS5_S3_lS4_T11_S3_li.uses_flat_scratch, 0
	.set _ZL29rocblas_internal_gemmt_kernelIlLi16ELi32ELi8ELc84ELc78ELc76ELb0ELb0EdPKdS1_PdEviT_T9_T10_S3_lS5_S3_lS4_T11_S3_li.has_dyn_sized_stack, 0
	.set _ZL29rocblas_internal_gemmt_kernelIlLi16ELi32ELi8ELc84ELc78ELc76ELb0ELb0EdPKdS1_PdEviT_T9_T10_S3_lS5_S3_lS4_T11_S3_li.has_recursion, 0
	.set _ZL29rocblas_internal_gemmt_kernelIlLi16ELi32ELi8ELc84ELc78ELc76ELb0ELb0EdPKdS1_PdEviT_T9_T10_S3_lS5_S3_lS4_T11_S3_li.has_indirect_call, 0
	.section	.AMDGPU.csdata,"",@progbits
; Kernel info:
; codeLenInByte = 1600
; TotalNumSgprs: 38
; NumVgprs: 52
; ScratchSize: 0
; MemoryBound: 0
; FloatMode: 240
; IeeeMode: 1
; LDSByteSize: 4096 bytes/workgroup (compile time only)
; SGPRBlocks: 0
; VGPRBlocks: 3
; NumSGPRsForWavesPerEU: 38
; NumVGPRsForWavesPerEU: 52
; NamedBarCnt: 0
; Occupancy: 16
; WaveLimiterHint : 0
; COMPUTE_PGM_RSRC2:SCRATCH_EN: 0
; COMPUTE_PGM_RSRC2:USER_SGPR: 2
; COMPUTE_PGM_RSRC2:TRAP_HANDLER: 0
; COMPUTE_PGM_RSRC2:TGID_X_EN: 1
; COMPUTE_PGM_RSRC2:TGID_Y_EN: 1
; COMPUTE_PGM_RSRC2:TGID_Z_EN: 1
; COMPUTE_PGM_RSRC2:TIDIG_COMP_CNT: 1
	.section	.text._ZL29rocblas_internal_gemmt_kernelIlLi16ELi32ELi8ELc84ELc84ELc76ELb0ELb0EdPKdS1_PdEviT_T9_T10_S3_lS5_S3_lS4_T11_S3_li,"axG",@progbits,_ZL29rocblas_internal_gemmt_kernelIlLi16ELi32ELi8ELc84ELc84ELc76ELb0ELb0EdPKdS1_PdEviT_T9_T10_S3_lS5_S3_lS4_T11_S3_li,comdat
	.globl	_ZL29rocblas_internal_gemmt_kernelIlLi16ELi32ELi8ELc84ELc84ELc76ELb0ELb0EdPKdS1_PdEviT_T9_T10_S3_lS5_S3_lS4_T11_S3_li ; -- Begin function _ZL29rocblas_internal_gemmt_kernelIlLi16ELi32ELi8ELc84ELc84ELc76ELb0ELb0EdPKdS1_PdEviT_T9_T10_S3_lS5_S3_lS4_T11_S3_li
	.p2align	8
	.type	_ZL29rocblas_internal_gemmt_kernelIlLi16ELi32ELi8ELc84ELc84ELc76ELb0ELb0EdPKdS1_PdEviT_T9_T10_S3_lS5_S3_lS4_T11_S3_li,@function
_ZL29rocblas_internal_gemmt_kernelIlLi16ELi32ELi8ELc84ELc84ELc76ELb0ELb0EdPKdS1_PdEviT_T9_T10_S3_lS5_S3_lS4_T11_S3_li: ; @_ZL29rocblas_internal_gemmt_kernelIlLi16ELi32ELi8ELc84ELc84ELc76ELb0ELb0EdPKdS1_PdEviT_T9_T10_S3_lS5_S3_lS4_T11_S3_li
; %bb.0:
	s_load_b256 s[24:31], s[0:1], 0x48
	s_wait_kmcnt 0x0
	s_load_b64 s[6:7], s[24:25], 0x0
	s_load_b512 s[8:23], s[0:1], 0x8
	s_wait_kmcnt 0x0
	v_cmp_neq_f64_e64 s2, s[6:7], 1.0
	s_load_b64 s[10:11], s[10:11], 0x0
	s_and_b32 vcc_lo, exec_lo, s2
	s_cbranch_vccnz .LBB193_2
; %bb.1:
	s_wait_kmcnt 0x0
	v_cmp_neq_f64_e64 s2, s[10:11], 0
	s_cmp_lg_u64 s[8:9], 0
	s_cselect_b32 s3, -1, 0
	s_delay_alu instid0(SALU_CYCLE_1)
	s_and_b32 s2, s3, s2
.LBB193_2:
	s_delay_alu instid0(SALU_CYCLE_1)
	s_and_not1_b32 vcc_lo, exec_lo, s2
	s_cbranch_vccnz .LBB193_35
; %bb.3:
	s_load_b32 s33, s[0:1], 0x68
	s_bfe_u32 s2, ttmp6, 0x40014
	s_lshr_b32 s3, ttmp7, 16
	s_add_co_i32 s2, s2, 1
	s_bfe_u32 s5, ttmp6, 0x40008
	s_mul_i32 s4, s3, s2
	s_getreg_b32 s2, hwreg(HW_REG_IB_STS2, 6, 4)
	s_add_co_i32 s5, s5, s4
	s_cmp_eq_u32 s2, 0
	s_mov_b32 s25, 0
	s_cselect_b32 s24, s3, s5
	s_wait_kmcnt 0x0
	s_cmp_ge_u32 s24, s33
	s_cbranch_scc1 .LBB193_35
; %bb.4:
	s_bfe_u32 s3, ttmp6, 0x4000c
	s_bfe_u32 s5, ttmp6, 0x40010
	s_add_co_i32 s3, s3, 1
	s_and_b32 s34, ttmp7, 0xffff
	s_add_co_i32 s5, s5, 1
	v_and_b32_e32 v6, 0x3ff, v0
	v_bfe_u32 v7, v0, 10, 10
	s_and_b32 s4, ttmp6, 15
	s_mul_i32 s3, ttmp9, s3
	s_mul_i32 s5, s34, s5
	s_bfe_u32 s35, ttmp6, 0x40004
	s_add_co_i32 s4, s4, s3
	s_add_co_i32 s35, s35, s5
	s_cmp_eq_u32 s2, 0
	v_lshl_add_u32 v8, v7, 4, v6
	s_cselect_b32 s3, s34, s35
	s_cselect_b32 s2, ttmp9, s4
	s_lshl_b32 s3, s3, 5
	s_lshl_b32 s2, s2, 5
	v_dual_add_nc_u32 v14, s3, v7 :: v_dual_bitop2_b32 v10, 31, v8 bitop3:0x40
	v_and_b32_e32 v0, 7, v0
	v_cmp_neq_f64_e64 s34, s[10:11], 0
	s_load_b32 s4, s[0:1], 0x0
	v_lshlrev_b32_e32 v1, 3, v6
	v_add_nc_u32_e32 v16, 16, v14
	v_or_b32_e32 v12, s2, v10
	v_dual_ashrrev_i32 v15, 31, v14 :: v_dual_lshlrev_b32 v11, 3, v0
	s_delay_alu instid0(VALU_DEP_3) | instskip(NEXT) | instid1(VALU_DEP_3)
	v_dual_add_nc_u32 v6, s2, v6 :: v_dual_ashrrev_i32 v17, 31, v16
	v_ashrrev_i32_e32 v13, 31, v12
	s_delay_alu instid0(VALU_DEP_3) | instskip(SKIP_1) | instid1(VALU_DEP_4)
	v_mul_u64_e32 v[2:3], s[28:29], v[14:15]
	v_lshl_add_u32 v9, v7, 6, 0x800
	v_cmp_le_i32_e32 vcc_lo, v14, v6
	v_mul_u64_e32 v[4:5], s[28:29], v[16:17]
	v_mul_u64_e32 v[18:19], s[14:15], v[12:13]
	v_cmp_neq_f64_e64 s14, s[6:7], 0
	v_dual_lshrrev_b32 v13, 3, v8 :: v_dual_lshrrev_b32 v8, 5, v8
	v_ashrrev_i32_e32 v7, 31, v6
	v_cmp_gt_i64_e64 s35, s[8:9], 0
	s_delay_alu instid0(VALU_DEP_3)
	v_dual_mov_b32 v17, 0 :: v_dual_add_nc_u32 v20, s3, v13
	v_lshlrev_b32_e32 v15, 3, v10
	v_add_nc_u32_e32 v10, 16, v6
	s_wait_kmcnt 0x0
	v_cmp_gt_i32_e64 s2, s4, v6
	v_lshl_or_b32 v11, v13, 6, v11
	v_ashrrev_i32_e32 v21, 31, v20
	v_cmp_gt_i32_e64 s0, s4, v12
	v_cmp_gt_i32_e64 s1, s4, v20
	v_cmp_le_i32_e64 s3, v14, v10
	v_cmp_gt_i32_e64 s4, s4, v10
	s_and_b32 s15, vcc_lo, s2
	v_cmp_le_i32_e32 vcc_lo, v16, v6
	v_cmp_le_i32_e64 s5, v16, v10
	v_lshl_or_b32 v34, v8, 8, v15
	v_add_nc_u32_e32 v35, 0x800, v11
	v_ashrrev_i32_e32 v11, 31, v10
	v_lshl_add_u64 v[12:13], v[20:21], 3, s[18:19]
	s_and_b32 s18, vcc_lo, s2
	v_lshl_add_u64 v[14:15], v[18:19], 3, s[12:13]
	s_and_b32 s12, s34, s35
	s_and_b32 s13, s3, s4
	;; [unrolled: 1-line block ×3, first 2 shown]
	s_branch .LBB193_6
.LBB193_5:                              ;   in Loop: Header=BB193_6 Depth=1
	s_wait_xcnt 0x0
	s_or_b32 exec_lo, exec_lo, s2
	s_add_co_i32 s24, s24, 0x10000
	s_delay_alu instid0(SALU_CYCLE_1)
	s_cmp_lt_u32 s24, s33
	s_cbranch_scc0 .LBB193_35
.LBB193_6:                              ; =>This Loop Header: Depth=1
                                        ;     Child Loop BB193_9 Depth 2
	v_mov_b64_e32 v[24:25], 0
	v_mov_b64_e32 v[22:23], 0
	;; [unrolled: 1-line block ×4, first 2 shown]
	s_and_not1_b32 vcc_lo, exec_lo, s12
	s_cbranch_vccnz .LBB193_15
; %bb.7:                                ;   in Loop: Header=BB193_6 Depth=1
	s_mul_u64 s[2:3], s[22:23], s[24:25]
	s_mul_u64 s[28:29], s[16:17], s[24:25]
	v_mov_b64_e32 v[18:19], 0
	v_mov_b64_e32 v[20:21], 0
	;; [unrolled: 1-line block ×4, first 2 shown]
	v_lshl_add_u64 v[26:27], s[28:29], 3, v[14:15]
	v_lshl_add_u64 v[28:29], s[2:3], 3, v[12:13]
	s_mov_b64 s[2:3], 0
	s_branch .LBB193_9
.LBB193_8:                              ;   in Loop: Header=BB193_9 Depth=2
	s_wait_xcnt 0x0
	s_or_b32 exec_lo, exec_lo, s5
	s_wait_loadcnt 0x0
	ds_store_b64 v35, v[32:33]
	s_wait_dscnt 0x0
	s_barrier_signal -1
	s_barrier_wait -1
	ds_load_b128 v[30:33], v9
	ds_load_2addr_b64 v[36:39], v1 offset1:16
	ds_load_b128 v[40:43], v9 offset:1024
	ds_load_b128 v[44:47], v9 offset:16
	;; [unrolled: 1-line block ×3, first 2 shown]
	s_add_nc_u64 s[2:3], s[2:3], 8
	s_delay_alu instid0(SALU_CYCLE_1)
	v_cmp_gt_i64_e64 s5, s[8:9], s[2:3]
	s_and_b32 vcc_lo, exec_lo, s5
	s_wait_dscnt 0x3
	v_fmac_f64_e32 v[24:25], v[36:37], v[30:31]
	v_fmac_f64_e32 v[22:23], v[38:39], v[30:31]
	s_wait_dscnt 0x2
	v_fmac_f64_e32 v[20:21], v[36:37], v[40:41]
	v_fmac_f64_e32 v[18:19], v[38:39], v[40:41]
	ds_load_2addr_b64 v[36:39], v1 offset0:32 offset1:48
	s_wait_dscnt 0x0
	v_fmac_f64_e32 v[24:25], v[36:37], v[32:33]
	v_fmac_f64_e32 v[22:23], v[38:39], v[32:33]
	v_fmac_f64_e32 v[20:21], v[36:37], v[42:43]
	v_fmac_f64_e32 v[18:19], v[38:39], v[42:43]
	ds_load_2addr_b64 v[30:33], v1 offset0:64 offset1:80
	s_wait_dscnt 0x0
	v_fmac_f64_e32 v[24:25], v[30:31], v[44:45]
	v_fmac_f64_e32 v[22:23], v[32:33], v[44:45]
	;; [unrolled: 6-line block ×3, first 2 shown]
	v_fmac_f64_e32 v[20:21], v[30:31], v[50:51]
	v_fmac_f64_e32 v[18:19], v[32:33], v[50:51]
	ds_load_b128 v[30:33], v9 offset:32
	ds_load_2addr_b64 v[36:39], v1 offset0:128 offset1:144
	ds_load_b128 v[40:43], v9 offset:1056
	ds_load_b128 v[44:47], v9 offset:48
	;; [unrolled: 1-line block ×3, first 2 shown]
	s_wait_dscnt 0x3
	v_fmac_f64_e32 v[24:25], v[36:37], v[30:31]
	v_fmac_f64_e32 v[22:23], v[38:39], v[30:31]
	s_wait_dscnt 0x2
	v_fmac_f64_e32 v[20:21], v[36:37], v[40:41]
	v_fmac_f64_e32 v[18:19], v[38:39], v[40:41]
	ds_load_2addr_b64 v[36:39], v1 offset0:160 offset1:176
	s_wait_dscnt 0x0
	v_fmac_f64_e32 v[24:25], v[36:37], v[32:33]
	v_fmac_f64_e32 v[22:23], v[38:39], v[32:33]
	;; [unrolled: 1-line block ×4, first 2 shown]
	ds_load_2addr_b64 v[30:33], v1 offset0:192 offset1:208
	s_wait_dscnt 0x0
	v_fmac_f64_e32 v[24:25], v[30:31], v[44:45]
	v_fmac_f64_e32 v[22:23], v[32:33], v[44:45]
	;; [unrolled: 1-line block ×4, first 2 shown]
	ds_load_2addr_b64 v[30:33], v1 offset0:224 offset1:240
	s_wait_dscnt 0x0
	s_barrier_signal -1
	s_barrier_wait -1
	v_fmac_f64_e32 v[24:25], v[30:31], v[46:47]
	v_fmac_f64_e32 v[22:23], v[32:33], v[46:47]
	v_fmac_f64_e32 v[20:21], v[30:31], v[50:51]
	v_fmac_f64_e32 v[18:19], v[32:33], v[50:51]
	s_cbranch_vccz .LBB193_15
.LBB193_9:                              ;   Parent Loop BB193_6 Depth=1
                                        ; =>  This Inner Loop Header: Depth=2
	v_mov_b64_e32 v[30:31], 0
	s_and_saveexec_b32 s5, s0
	s_cbranch_execz .LBB193_13
; %bb.10:                               ;   in Loop: Header=BB193_9 Depth=2
	v_mov_b64_e32 v[30:31], 0
	v_add_nc_u32_e32 v16, s2, v8
	s_mov_b32 s19, exec_lo
	s_delay_alu instid0(VALU_DEP_1)
	v_cmpx_gt_u64_e64 s[8:9], v[16:17]
	s_cbranch_execz .LBB193_12
; %bb.11:                               ;   in Loop: Header=BB193_9 Depth=2
	v_lshl_add_u64 v[30:31], v[16:17], 3, v[26:27]
	global_load_b64 v[30:31], v[30:31], off
.LBB193_12:                             ;   in Loop: Header=BB193_9 Depth=2
	s_wait_xcnt 0x0
	s_or_b32 exec_lo, exec_lo, s19
.LBB193_13:                             ;   in Loop: Header=BB193_9 Depth=2
	s_delay_alu instid0(SALU_CYCLE_1)
	s_or_b32 exec_lo, exec_lo, s5
	v_add_nc_u32_e32 v16, s2, v0
	v_mov_b64_e32 v[32:33], 0
	s_wait_loadcnt 0x0
	ds_store_b64 v34, v[30:31]
	v_cmp_gt_u64_e32 vcc_lo, s[8:9], v[16:17]
	s_and_b32 s19, vcc_lo, s1
	s_delay_alu instid0(SALU_CYCLE_1)
	s_and_saveexec_b32 s5, s19
	s_cbranch_execz .LBB193_8
; %bb.14:                               ;   in Loop: Header=BB193_9 Depth=2
	v_mul_u64_e32 v[30:31], s[20:21], v[16:17]
	s_delay_alu instid0(VALU_DEP_1)
	v_lshl_add_u64 v[30:31], v[30:31], 3, v[28:29]
	global_load_b64 v[32:33], v[30:31], off
	s_branch .LBB193_8
.LBB193_15:                             ;   in Loop: Header=BB193_6 Depth=1
	s_mul_u64 s[2:3], s[30:31], s[24:25]
	s_delay_alu instid0(SALU_CYCLE_1) | instskip(NEXT) | instid1(SALU_CYCLE_1)
	s_lshl_b64 s[2:3], s[2:3], 3
	s_add_nc_u64 s[2:3], s[26:27], s[2:3]
	s_delay_alu instid0(SALU_CYCLE_1)
	v_lshl_add_u64 v[26:27], v[2:3], 3, s[2:3]
	s_and_saveexec_b32 s5, s15
	s_cbranch_execz .LBB193_19
; %bb.16:                               ;   in Loop: Header=BB193_6 Depth=1
	v_mul_f64_e32 v[24:25], s[10:11], v[24:25]
	s_delay_alu instid0(VALU_DEP_2)
	v_lshl_add_u64 v[28:29], v[6:7], 3, v[26:27]
	s_and_b32 vcc_lo, exec_lo, s14
	s_cbranch_vccz .LBB193_30
; %bb.17:                               ;   in Loop: Header=BB193_6 Depth=1
	global_load_b64 v[30:31], v[28:29], off
	s_wait_loadcnt 0x0
	v_fma_f64 v[30:31], s[6:7], v[30:31], v[24:25]
	global_store_b64 v[28:29], v[30:31], off
	s_cbranch_execnz .LBB193_19
.LBB193_18:                             ;   in Loop: Header=BB193_6 Depth=1
	global_store_b64 v[28:29], v[24:25], off
.LBB193_19:                             ;   in Loop: Header=BB193_6 Depth=1
	s_wait_xcnt 0x0
	s_or_b32 exec_lo, exec_lo, s5
	s_and_saveexec_b32 s5, s13
	s_cbranch_execz .LBB193_23
; %bb.20:                               ;   in Loop: Header=BB193_6 Depth=1
	s_delay_alu instid0(VALU_DEP_4)
	v_mul_f64_e32 v[22:23], s[10:11], v[22:23]
	v_lshl_add_u64 v[24:25], v[10:11], 3, v[26:27]
	s_and_not1_b32 vcc_lo, exec_lo, s14
	s_cbranch_vccnz .LBB193_31
; %bb.21:                               ;   in Loop: Header=BB193_6 Depth=1
	global_load_b64 v[26:27], v[24:25], off
	s_wait_loadcnt 0x0
	v_fma_f64 v[26:27], s[6:7], v[26:27], v[22:23]
	global_store_b64 v[24:25], v[26:27], off
	s_cbranch_execnz .LBB193_23
.LBB193_22:                             ;   in Loop: Header=BB193_6 Depth=1
	global_store_b64 v[24:25], v[22:23], off
.LBB193_23:                             ;   in Loop: Header=BB193_6 Depth=1
	s_wait_xcnt 0x0
	s_or_b32 exec_lo, exec_lo, s5
	v_lshl_add_u64 v[22:23], v[4:5], 3, s[2:3]
	s_and_saveexec_b32 s2, s18
	s_cbranch_execz .LBB193_27
; %bb.24:                               ;   in Loop: Header=BB193_6 Depth=1
	s_delay_alu instid0(VALU_DEP_4) | instskip(NEXT) | instid1(VALU_DEP_2)
	v_mul_f64_e32 v[20:21], s[10:11], v[20:21]
	v_lshl_add_u64 v[24:25], v[6:7], 3, v[22:23]
	s_and_not1_b32 vcc_lo, exec_lo, s14
	s_cbranch_vccnz .LBB193_32
; %bb.25:                               ;   in Loop: Header=BB193_6 Depth=1
	global_load_b64 v[26:27], v[24:25], off
	s_wait_loadcnt 0x0
	v_fma_f64 v[26:27], s[6:7], v[26:27], v[20:21]
	global_store_b64 v[24:25], v[26:27], off
	s_cbranch_execnz .LBB193_27
.LBB193_26:                             ;   in Loop: Header=BB193_6 Depth=1
	global_store_b64 v[24:25], v[20:21], off
.LBB193_27:                             ;   in Loop: Header=BB193_6 Depth=1
	s_wait_xcnt 0x0
	s_or_b32 exec_lo, exec_lo, s2
	s_and_saveexec_b32 s2, s4
	s_cbranch_execz .LBB193_5
; %bb.28:                               ;   in Loop: Header=BB193_6 Depth=1
	s_delay_alu instid0(VALU_DEP_3)
	v_mul_f64_e32 v[18:19], s[10:11], v[18:19]
	v_lshl_add_u64 v[20:21], v[10:11], 3, v[22:23]
	s_and_not1_b32 vcc_lo, exec_lo, s14
	s_cbranch_vccnz .LBB193_33
; %bb.29:                               ;   in Loop: Header=BB193_6 Depth=1
	global_load_b64 v[22:23], v[20:21], off
	s_wait_loadcnt 0x0
	v_fma_f64 v[22:23], s[6:7], v[22:23], v[18:19]
	global_store_b64 v[20:21], v[22:23], off
	s_cbranch_execnz .LBB193_5
	s_branch .LBB193_34
.LBB193_30:                             ;   in Loop: Header=BB193_6 Depth=1
	s_branch .LBB193_18
.LBB193_31:                             ;   in Loop: Header=BB193_6 Depth=1
	s_branch .LBB193_22
.LBB193_32:                             ;   in Loop: Header=BB193_6 Depth=1
	s_branch .LBB193_26
.LBB193_33:                             ;   in Loop: Header=BB193_6 Depth=1
.LBB193_34:                             ;   in Loop: Header=BB193_6 Depth=1
	global_store_b64 v[20:21], v[18:19], off
	s_branch .LBB193_5
.LBB193_35:
	s_endpgm
	.section	.rodata,"a",@progbits
	.p2align	6, 0x0
	.amdhsa_kernel _ZL29rocblas_internal_gemmt_kernelIlLi16ELi32ELi8ELc84ELc84ELc76ELb0ELb0EdPKdS1_PdEviT_T9_T10_S3_lS5_S3_lS4_T11_S3_li
		.amdhsa_group_segment_fixed_size 4096
		.amdhsa_private_segment_fixed_size 0
		.amdhsa_kernarg_size 108
		.amdhsa_user_sgpr_count 2
		.amdhsa_user_sgpr_dispatch_ptr 0
		.amdhsa_user_sgpr_queue_ptr 0
		.amdhsa_user_sgpr_kernarg_segment_ptr 1
		.amdhsa_user_sgpr_dispatch_id 0
		.amdhsa_user_sgpr_kernarg_preload_length 0
		.amdhsa_user_sgpr_kernarg_preload_offset 0
		.amdhsa_user_sgpr_private_segment_size 0
		.amdhsa_wavefront_size32 1
		.amdhsa_uses_dynamic_stack 0
		.amdhsa_enable_private_segment 0
		.amdhsa_system_sgpr_workgroup_id_x 1
		.amdhsa_system_sgpr_workgroup_id_y 1
		.amdhsa_system_sgpr_workgroup_id_z 1
		.amdhsa_system_sgpr_workgroup_info 0
		.amdhsa_system_vgpr_workitem_id 1
		.amdhsa_next_free_vgpr 52
		.amdhsa_next_free_sgpr 36
		.amdhsa_named_barrier_count 0
		.amdhsa_reserve_vcc 1
		.amdhsa_float_round_mode_32 0
		.amdhsa_float_round_mode_16_64 0
		.amdhsa_float_denorm_mode_32 3
		.amdhsa_float_denorm_mode_16_64 3
		.amdhsa_fp16_overflow 0
		.amdhsa_memory_ordered 1
		.amdhsa_forward_progress 1
		.amdhsa_inst_pref_size 13
		.amdhsa_round_robin_scheduling 0
		.amdhsa_exception_fp_ieee_invalid_op 0
		.amdhsa_exception_fp_denorm_src 0
		.amdhsa_exception_fp_ieee_div_zero 0
		.amdhsa_exception_fp_ieee_overflow 0
		.amdhsa_exception_fp_ieee_underflow 0
		.amdhsa_exception_fp_ieee_inexact 0
		.amdhsa_exception_int_div_zero 0
	.end_amdhsa_kernel
	.section	.text._ZL29rocblas_internal_gemmt_kernelIlLi16ELi32ELi8ELc84ELc84ELc76ELb0ELb0EdPKdS1_PdEviT_T9_T10_S3_lS5_S3_lS4_T11_S3_li,"axG",@progbits,_ZL29rocblas_internal_gemmt_kernelIlLi16ELi32ELi8ELc84ELc84ELc76ELb0ELb0EdPKdS1_PdEviT_T9_T10_S3_lS5_S3_lS4_T11_S3_li,comdat
.Lfunc_end193:
	.size	_ZL29rocblas_internal_gemmt_kernelIlLi16ELi32ELi8ELc84ELc84ELc76ELb0ELb0EdPKdS1_PdEviT_T9_T10_S3_lS5_S3_lS4_T11_S3_li, .Lfunc_end193-_ZL29rocblas_internal_gemmt_kernelIlLi16ELi32ELi8ELc84ELc84ELc76ELb0ELb0EdPKdS1_PdEviT_T9_T10_S3_lS5_S3_lS4_T11_S3_li
                                        ; -- End function
	.set _ZL29rocblas_internal_gemmt_kernelIlLi16ELi32ELi8ELc84ELc84ELc76ELb0ELb0EdPKdS1_PdEviT_T9_T10_S3_lS5_S3_lS4_T11_S3_li.num_vgpr, 52
	.set _ZL29rocblas_internal_gemmt_kernelIlLi16ELi32ELi8ELc84ELc84ELc76ELb0ELb0EdPKdS1_PdEviT_T9_T10_S3_lS5_S3_lS4_T11_S3_li.num_agpr, 0
	.set _ZL29rocblas_internal_gemmt_kernelIlLi16ELi32ELi8ELc84ELc84ELc76ELb0ELb0EdPKdS1_PdEviT_T9_T10_S3_lS5_S3_lS4_T11_S3_li.numbered_sgpr, 36
	.set _ZL29rocblas_internal_gemmt_kernelIlLi16ELi32ELi8ELc84ELc84ELc76ELb0ELb0EdPKdS1_PdEviT_T9_T10_S3_lS5_S3_lS4_T11_S3_li.num_named_barrier, 0
	.set _ZL29rocblas_internal_gemmt_kernelIlLi16ELi32ELi8ELc84ELc84ELc76ELb0ELb0EdPKdS1_PdEviT_T9_T10_S3_lS5_S3_lS4_T11_S3_li.private_seg_size, 0
	.set _ZL29rocblas_internal_gemmt_kernelIlLi16ELi32ELi8ELc84ELc84ELc76ELb0ELb0EdPKdS1_PdEviT_T9_T10_S3_lS5_S3_lS4_T11_S3_li.uses_vcc, 1
	.set _ZL29rocblas_internal_gemmt_kernelIlLi16ELi32ELi8ELc84ELc84ELc76ELb0ELb0EdPKdS1_PdEviT_T9_T10_S3_lS5_S3_lS4_T11_S3_li.uses_flat_scratch, 0
	.set _ZL29rocblas_internal_gemmt_kernelIlLi16ELi32ELi8ELc84ELc84ELc76ELb0ELb0EdPKdS1_PdEviT_T9_T10_S3_lS5_S3_lS4_T11_S3_li.has_dyn_sized_stack, 0
	.set _ZL29rocblas_internal_gemmt_kernelIlLi16ELi32ELi8ELc84ELc84ELc76ELb0ELb0EdPKdS1_PdEviT_T9_T10_S3_lS5_S3_lS4_T11_S3_li.has_recursion, 0
	.set _ZL29rocblas_internal_gemmt_kernelIlLi16ELi32ELi8ELc84ELc84ELc76ELb0ELb0EdPKdS1_PdEviT_T9_T10_S3_lS5_S3_lS4_T11_S3_li.has_indirect_call, 0
	.section	.AMDGPU.csdata,"",@progbits
; Kernel info:
; codeLenInByte = 1584
; TotalNumSgprs: 38
; NumVgprs: 52
; ScratchSize: 0
; MemoryBound: 0
; FloatMode: 240
; IeeeMode: 1
; LDSByteSize: 4096 bytes/workgroup (compile time only)
; SGPRBlocks: 0
; VGPRBlocks: 3
; NumSGPRsForWavesPerEU: 38
; NumVGPRsForWavesPerEU: 52
; NamedBarCnt: 0
; Occupancy: 16
; WaveLimiterHint : 0
; COMPUTE_PGM_RSRC2:SCRATCH_EN: 0
; COMPUTE_PGM_RSRC2:USER_SGPR: 2
; COMPUTE_PGM_RSRC2:TRAP_HANDLER: 0
; COMPUTE_PGM_RSRC2:TGID_X_EN: 1
; COMPUTE_PGM_RSRC2:TGID_Y_EN: 1
; COMPUTE_PGM_RSRC2:TGID_Z_EN: 1
; COMPUTE_PGM_RSRC2:TIDIG_COMP_CNT: 1
	.section	.text._ZL29rocblas_internal_gemmt_kernelIlLi16ELi32ELi8ELc84ELc67ELc76ELb0ELb0EdPKdS1_PdEviT_T9_T10_S3_lS5_S3_lS4_T11_S3_li,"axG",@progbits,_ZL29rocblas_internal_gemmt_kernelIlLi16ELi32ELi8ELc84ELc67ELc76ELb0ELb0EdPKdS1_PdEviT_T9_T10_S3_lS5_S3_lS4_T11_S3_li,comdat
	.globl	_ZL29rocblas_internal_gemmt_kernelIlLi16ELi32ELi8ELc84ELc67ELc76ELb0ELb0EdPKdS1_PdEviT_T9_T10_S3_lS5_S3_lS4_T11_S3_li ; -- Begin function _ZL29rocblas_internal_gemmt_kernelIlLi16ELi32ELi8ELc84ELc67ELc76ELb0ELb0EdPKdS1_PdEviT_T9_T10_S3_lS5_S3_lS4_T11_S3_li
	.p2align	8
	.type	_ZL29rocblas_internal_gemmt_kernelIlLi16ELi32ELi8ELc84ELc67ELc76ELb0ELb0EdPKdS1_PdEviT_T9_T10_S3_lS5_S3_lS4_T11_S3_li,@function
_ZL29rocblas_internal_gemmt_kernelIlLi16ELi32ELi8ELc84ELc67ELc76ELb0ELb0EdPKdS1_PdEviT_T9_T10_S3_lS5_S3_lS4_T11_S3_li: ; @_ZL29rocblas_internal_gemmt_kernelIlLi16ELi32ELi8ELc84ELc67ELc76ELb0ELb0EdPKdS1_PdEviT_T9_T10_S3_lS5_S3_lS4_T11_S3_li
; %bb.0:
	s_load_b256 s[24:31], s[0:1], 0x48
	s_wait_kmcnt 0x0
	s_load_b64 s[6:7], s[24:25], 0x0
	s_load_b512 s[8:23], s[0:1], 0x8
	s_wait_kmcnt 0x0
	v_cmp_neq_f64_e64 s2, s[6:7], 1.0
	s_load_b64 s[10:11], s[10:11], 0x0
	s_and_b32 vcc_lo, exec_lo, s2
	s_cbranch_vccnz .LBB194_2
; %bb.1:
	s_wait_kmcnt 0x0
	v_cmp_neq_f64_e64 s2, s[10:11], 0
	s_cmp_lg_u64 s[8:9], 0
	s_cselect_b32 s3, -1, 0
	s_delay_alu instid0(SALU_CYCLE_1)
	s_and_b32 s2, s3, s2
.LBB194_2:
	s_delay_alu instid0(SALU_CYCLE_1)
	s_and_not1_b32 vcc_lo, exec_lo, s2
	s_cbranch_vccnz .LBB194_35
; %bb.3:
	s_load_b32 s33, s[0:1], 0x68
	s_bfe_u32 s2, ttmp6, 0x40014
	s_lshr_b32 s3, ttmp7, 16
	s_add_co_i32 s2, s2, 1
	s_bfe_u32 s5, ttmp6, 0x40008
	s_mul_i32 s4, s3, s2
	s_getreg_b32 s2, hwreg(HW_REG_IB_STS2, 6, 4)
	s_add_co_i32 s5, s5, s4
	s_cmp_eq_u32 s2, 0
	s_mov_b32 s25, 0
	s_cselect_b32 s24, s3, s5
	s_wait_kmcnt 0x0
	s_cmp_ge_u32 s24, s33
	s_cbranch_scc1 .LBB194_35
; %bb.4:
	s_bfe_u32 s3, ttmp6, 0x4000c
	s_bfe_u32 s5, ttmp6, 0x40010
	s_add_co_i32 s3, s3, 1
	s_and_b32 s34, ttmp7, 0xffff
	s_add_co_i32 s5, s5, 1
	v_and_b32_e32 v6, 0x3ff, v0
	v_bfe_u32 v7, v0, 10, 10
	s_and_b32 s4, ttmp6, 15
	s_mul_i32 s3, ttmp9, s3
	s_mul_i32 s5, s34, s5
	s_bfe_u32 s35, ttmp6, 0x40004
	s_add_co_i32 s4, s4, s3
	s_add_co_i32 s35, s35, s5
	s_cmp_eq_u32 s2, 0
	v_lshl_add_u32 v8, v7, 4, v6
	s_cselect_b32 s3, s34, s35
	s_cselect_b32 s2, ttmp9, s4
	s_lshl_b32 s3, s3, 5
	s_lshl_b32 s2, s2, 5
	v_dual_add_nc_u32 v14, s3, v7 :: v_dual_bitop2_b32 v10, 31, v8 bitop3:0x40
	v_and_b32_e32 v0, 7, v0
	v_cmp_neq_f64_e64 s34, s[10:11], 0
	s_load_b32 s4, s[0:1], 0x0
	v_lshlrev_b32_e32 v1, 3, v6
	v_add_nc_u32_e32 v16, 16, v14
	v_or_b32_e32 v12, s2, v10
	v_dual_ashrrev_i32 v15, 31, v14 :: v_dual_lshlrev_b32 v11, 3, v0
	s_delay_alu instid0(VALU_DEP_3) | instskip(NEXT) | instid1(VALU_DEP_3)
	v_dual_add_nc_u32 v6, s2, v6 :: v_dual_ashrrev_i32 v17, 31, v16
	v_ashrrev_i32_e32 v13, 31, v12
	s_delay_alu instid0(VALU_DEP_3) | instskip(SKIP_1) | instid1(VALU_DEP_4)
	v_mul_u64_e32 v[2:3], s[28:29], v[14:15]
	v_lshl_add_u32 v9, v7, 6, 0x800
	v_cmp_le_i32_e32 vcc_lo, v14, v6
	v_mul_u64_e32 v[4:5], s[28:29], v[16:17]
	v_mul_u64_e32 v[18:19], s[14:15], v[12:13]
	v_cmp_neq_f64_e64 s14, s[6:7], 0
	v_dual_lshrrev_b32 v13, 3, v8 :: v_dual_lshrrev_b32 v8, 5, v8
	v_ashrrev_i32_e32 v7, 31, v6
	v_cmp_gt_i64_e64 s35, s[8:9], 0
	s_delay_alu instid0(VALU_DEP_3)
	v_dual_mov_b32 v17, 0 :: v_dual_add_nc_u32 v20, s3, v13
	v_lshlrev_b32_e32 v15, 3, v10
	v_add_nc_u32_e32 v10, 16, v6
	s_wait_kmcnt 0x0
	v_cmp_gt_i32_e64 s2, s4, v6
	v_lshl_or_b32 v11, v13, 6, v11
	v_ashrrev_i32_e32 v21, 31, v20
	v_cmp_gt_i32_e64 s0, s4, v12
	v_cmp_gt_i32_e64 s1, s4, v20
	v_cmp_le_i32_e64 s3, v14, v10
	v_cmp_gt_i32_e64 s4, s4, v10
	s_and_b32 s15, vcc_lo, s2
	v_cmp_le_i32_e32 vcc_lo, v16, v6
	v_cmp_le_i32_e64 s5, v16, v10
	v_lshl_or_b32 v34, v8, 8, v15
	v_add_nc_u32_e32 v35, 0x800, v11
	v_ashrrev_i32_e32 v11, 31, v10
	v_lshl_add_u64 v[12:13], v[20:21], 3, s[18:19]
	s_and_b32 s18, vcc_lo, s2
	v_lshl_add_u64 v[14:15], v[18:19], 3, s[12:13]
	s_and_b32 s12, s34, s35
	s_and_b32 s13, s3, s4
	;; [unrolled: 1-line block ×3, first 2 shown]
	s_branch .LBB194_6
.LBB194_5:                              ;   in Loop: Header=BB194_6 Depth=1
	s_wait_xcnt 0x0
	s_or_b32 exec_lo, exec_lo, s2
	s_add_co_i32 s24, s24, 0x10000
	s_delay_alu instid0(SALU_CYCLE_1)
	s_cmp_lt_u32 s24, s33
	s_cbranch_scc0 .LBB194_35
.LBB194_6:                              ; =>This Loop Header: Depth=1
                                        ;     Child Loop BB194_9 Depth 2
	v_mov_b64_e32 v[24:25], 0
	v_mov_b64_e32 v[22:23], 0
	;; [unrolled: 1-line block ×4, first 2 shown]
	s_and_not1_b32 vcc_lo, exec_lo, s12
	s_cbranch_vccnz .LBB194_15
; %bb.7:                                ;   in Loop: Header=BB194_6 Depth=1
	s_mul_u64 s[2:3], s[22:23], s[24:25]
	s_mul_u64 s[28:29], s[16:17], s[24:25]
	v_mov_b64_e32 v[18:19], 0
	v_mov_b64_e32 v[20:21], 0
	;; [unrolled: 1-line block ×4, first 2 shown]
	v_lshl_add_u64 v[26:27], s[28:29], 3, v[14:15]
	v_lshl_add_u64 v[28:29], s[2:3], 3, v[12:13]
	s_mov_b64 s[2:3], 0
	s_branch .LBB194_9
.LBB194_8:                              ;   in Loop: Header=BB194_9 Depth=2
	s_wait_xcnt 0x0
	s_or_b32 exec_lo, exec_lo, s5
	s_wait_loadcnt 0x0
	ds_store_b64 v35, v[32:33]
	s_wait_dscnt 0x0
	s_barrier_signal -1
	s_barrier_wait -1
	ds_load_b128 v[30:33], v9
	ds_load_2addr_b64 v[36:39], v1 offset1:16
	ds_load_b128 v[40:43], v9 offset:1024
	ds_load_b128 v[44:47], v9 offset:16
	;; [unrolled: 1-line block ×3, first 2 shown]
	s_add_nc_u64 s[2:3], s[2:3], 8
	s_delay_alu instid0(SALU_CYCLE_1)
	v_cmp_gt_i64_e64 s5, s[8:9], s[2:3]
	s_and_b32 vcc_lo, exec_lo, s5
	s_wait_dscnt 0x3
	v_fmac_f64_e32 v[24:25], v[36:37], v[30:31]
	v_fmac_f64_e32 v[22:23], v[38:39], v[30:31]
	s_wait_dscnt 0x2
	v_fmac_f64_e32 v[20:21], v[36:37], v[40:41]
	v_fmac_f64_e32 v[18:19], v[38:39], v[40:41]
	ds_load_2addr_b64 v[36:39], v1 offset0:32 offset1:48
	s_wait_dscnt 0x0
	v_fmac_f64_e32 v[24:25], v[36:37], v[32:33]
	v_fmac_f64_e32 v[22:23], v[38:39], v[32:33]
	v_fmac_f64_e32 v[20:21], v[36:37], v[42:43]
	v_fmac_f64_e32 v[18:19], v[38:39], v[42:43]
	ds_load_2addr_b64 v[30:33], v1 offset0:64 offset1:80
	s_wait_dscnt 0x0
	v_fmac_f64_e32 v[24:25], v[30:31], v[44:45]
	v_fmac_f64_e32 v[22:23], v[32:33], v[44:45]
	;; [unrolled: 6-line block ×3, first 2 shown]
	v_fmac_f64_e32 v[20:21], v[30:31], v[50:51]
	v_fmac_f64_e32 v[18:19], v[32:33], v[50:51]
	ds_load_b128 v[30:33], v9 offset:32
	ds_load_2addr_b64 v[36:39], v1 offset0:128 offset1:144
	ds_load_b128 v[40:43], v9 offset:1056
	ds_load_b128 v[44:47], v9 offset:48
	;; [unrolled: 1-line block ×3, first 2 shown]
	s_wait_dscnt 0x3
	v_fmac_f64_e32 v[24:25], v[36:37], v[30:31]
	v_fmac_f64_e32 v[22:23], v[38:39], v[30:31]
	s_wait_dscnt 0x2
	v_fmac_f64_e32 v[20:21], v[36:37], v[40:41]
	v_fmac_f64_e32 v[18:19], v[38:39], v[40:41]
	ds_load_2addr_b64 v[36:39], v1 offset0:160 offset1:176
	s_wait_dscnt 0x0
	v_fmac_f64_e32 v[24:25], v[36:37], v[32:33]
	v_fmac_f64_e32 v[22:23], v[38:39], v[32:33]
	;; [unrolled: 1-line block ×4, first 2 shown]
	ds_load_2addr_b64 v[30:33], v1 offset0:192 offset1:208
	s_wait_dscnt 0x0
	v_fmac_f64_e32 v[24:25], v[30:31], v[44:45]
	v_fmac_f64_e32 v[22:23], v[32:33], v[44:45]
	;; [unrolled: 1-line block ×4, first 2 shown]
	ds_load_2addr_b64 v[30:33], v1 offset0:224 offset1:240
	s_wait_dscnt 0x0
	s_barrier_signal -1
	s_barrier_wait -1
	v_fmac_f64_e32 v[24:25], v[30:31], v[46:47]
	v_fmac_f64_e32 v[22:23], v[32:33], v[46:47]
	v_fmac_f64_e32 v[20:21], v[30:31], v[50:51]
	v_fmac_f64_e32 v[18:19], v[32:33], v[50:51]
	s_cbranch_vccz .LBB194_15
.LBB194_9:                              ;   Parent Loop BB194_6 Depth=1
                                        ; =>  This Inner Loop Header: Depth=2
	v_mov_b64_e32 v[30:31], 0
	s_and_saveexec_b32 s5, s0
	s_cbranch_execz .LBB194_13
; %bb.10:                               ;   in Loop: Header=BB194_9 Depth=2
	v_mov_b64_e32 v[30:31], 0
	v_add_nc_u32_e32 v16, s2, v8
	s_mov_b32 s19, exec_lo
	s_delay_alu instid0(VALU_DEP_1)
	v_cmpx_gt_u64_e64 s[8:9], v[16:17]
	s_cbranch_execz .LBB194_12
; %bb.11:                               ;   in Loop: Header=BB194_9 Depth=2
	v_lshl_add_u64 v[30:31], v[16:17], 3, v[26:27]
	global_load_b64 v[30:31], v[30:31], off
.LBB194_12:                             ;   in Loop: Header=BB194_9 Depth=2
	s_wait_xcnt 0x0
	s_or_b32 exec_lo, exec_lo, s19
.LBB194_13:                             ;   in Loop: Header=BB194_9 Depth=2
	s_delay_alu instid0(SALU_CYCLE_1)
	s_or_b32 exec_lo, exec_lo, s5
	v_add_nc_u32_e32 v16, s2, v0
	v_mov_b64_e32 v[32:33], 0
	s_wait_loadcnt 0x0
	ds_store_b64 v34, v[30:31]
	v_cmp_gt_u64_e32 vcc_lo, s[8:9], v[16:17]
	s_and_b32 s19, vcc_lo, s1
	s_delay_alu instid0(SALU_CYCLE_1)
	s_and_saveexec_b32 s5, s19
	s_cbranch_execz .LBB194_8
; %bb.14:                               ;   in Loop: Header=BB194_9 Depth=2
	v_mul_u64_e32 v[30:31], s[20:21], v[16:17]
	s_delay_alu instid0(VALU_DEP_1)
	v_lshl_add_u64 v[30:31], v[30:31], 3, v[28:29]
	global_load_b64 v[32:33], v[30:31], off
	s_branch .LBB194_8
.LBB194_15:                             ;   in Loop: Header=BB194_6 Depth=1
	s_mul_u64 s[2:3], s[30:31], s[24:25]
	s_delay_alu instid0(SALU_CYCLE_1) | instskip(NEXT) | instid1(SALU_CYCLE_1)
	s_lshl_b64 s[2:3], s[2:3], 3
	s_add_nc_u64 s[2:3], s[26:27], s[2:3]
	s_delay_alu instid0(SALU_CYCLE_1)
	v_lshl_add_u64 v[26:27], v[2:3], 3, s[2:3]
	s_and_saveexec_b32 s5, s15
	s_cbranch_execz .LBB194_19
; %bb.16:                               ;   in Loop: Header=BB194_6 Depth=1
	v_mul_f64_e32 v[24:25], s[10:11], v[24:25]
	s_delay_alu instid0(VALU_DEP_2)
	v_lshl_add_u64 v[28:29], v[6:7], 3, v[26:27]
	s_and_b32 vcc_lo, exec_lo, s14
	s_cbranch_vccz .LBB194_30
; %bb.17:                               ;   in Loop: Header=BB194_6 Depth=1
	global_load_b64 v[30:31], v[28:29], off
	s_wait_loadcnt 0x0
	v_fma_f64 v[30:31], s[6:7], v[30:31], v[24:25]
	global_store_b64 v[28:29], v[30:31], off
	s_cbranch_execnz .LBB194_19
.LBB194_18:                             ;   in Loop: Header=BB194_6 Depth=1
	global_store_b64 v[28:29], v[24:25], off
.LBB194_19:                             ;   in Loop: Header=BB194_6 Depth=1
	s_wait_xcnt 0x0
	s_or_b32 exec_lo, exec_lo, s5
	s_and_saveexec_b32 s5, s13
	s_cbranch_execz .LBB194_23
; %bb.20:                               ;   in Loop: Header=BB194_6 Depth=1
	s_delay_alu instid0(VALU_DEP_4)
	v_mul_f64_e32 v[22:23], s[10:11], v[22:23]
	v_lshl_add_u64 v[24:25], v[10:11], 3, v[26:27]
	s_and_not1_b32 vcc_lo, exec_lo, s14
	s_cbranch_vccnz .LBB194_31
; %bb.21:                               ;   in Loop: Header=BB194_6 Depth=1
	global_load_b64 v[26:27], v[24:25], off
	s_wait_loadcnt 0x0
	v_fma_f64 v[26:27], s[6:7], v[26:27], v[22:23]
	global_store_b64 v[24:25], v[26:27], off
	s_cbranch_execnz .LBB194_23
.LBB194_22:                             ;   in Loop: Header=BB194_6 Depth=1
	global_store_b64 v[24:25], v[22:23], off
.LBB194_23:                             ;   in Loop: Header=BB194_6 Depth=1
	s_wait_xcnt 0x0
	s_or_b32 exec_lo, exec_lo, s5
	v_lshl_add_u64 v[22:23], v[4:5], 3, s[2:3]
	s_and_saveexec_b32 s2, s18
	s_cbranch_execz .LBB194_27
; %bb.24:                               ;   in Loop: Header=BB194_6 Depth=1
	s_delay_alu instid0(VALU_DEP_4) | instskip(NEXT) | instid1(VALU_DEP_2)
	v_mul_f64_e32 v[20:21], s[10:11], v[20:21]
	v_lshl_add_u64 v[24:25], v[6:7], 3, v[22:23]
	s_and_not1_b32 vcc_lo, exec_lo, s14
	s_cbranch_vccnz .LBB194_32
; %bb.25:                               ;   in Loop: Header=BB194_6 Depth=1
	global_load_b64 v[26:27], v[24:25], off
	s_wait_loadcnt 0x0
	v_fma_f64 v[26:27], s[6:7], v[26:27], v[20:21]
	global_store_b64 v[24:25], v[26:27], off
	s_cbranch_execnz .LBB194_27
.LBB194_26:                             ;   in Loop: Header=BB194_6 Depth=1
	global_store_b64 v[24:25], v[20:21], off
.LBB194_27:                             ;   in Loop: Header=BB194_6 Depth=1
	s_wait_xcnt 0x0
	s_or_b32 exec_lo, exec_lo, s2
	s_and_saveexec_b32 s2, s4
	s_cbranch_execz .LBB194_5
; %bb.28:                               ;   in Loop: Header=BB194_6 Depth=1
	s_delay_alu instid0(VALU_DEP_3)
	v_mul_f64_e32 v[18:19], s[10:11], v[18:19]
	v_lshl_add_u64 v[20:21], v[10:11], 3, v[22:23]
	s_and_not1_b32 vcc_lo, exec_lo, s14
	s_cbranch_vccnz .LBB194_33
; %bb.29:                               ;   in Loop: Header=BB194_6 Depth=1
	global_load_b64 v[22:23], v[20:21], off
	s_wait_loadcnt 0x0
	v_fma_f64 v[22:23], s[6:7], v[22:23], v[18:19]
	global_store_b64 v[20:21], v[22:23], off
	s_cbranch_execnz .LBB194_5
	s_branch .LBB194_34
.LBB194_30:                             ;   in Loop: Header=BB194_6 Depth=1
	s_branch .LBB194_18
.LBB194_31:                             ;   in Loop: Header=BB194_6 Depth=1
	s_branch .LBB194_22
.LBB194_32:                             ;   in Loop: Header=BB194_6 Depth=1
	s_branch .LBB194_26
.LBB194_33:                             ;   in Loop: Header=BB194_6 Depth=1
.LBB194_34:                             ;   in Loop: Header=BB194_6 Depth=1
	global_store_b64 v[20:21], v[18:19], off
	s_branch .LBB194_5
.LBB194_35:
	s_endpgm
	.section	.rodata,"a",@progbits
	.p2align	6, 0x0
	.amdhsa_kernel _ZL29rocblas_internal_gemmt_kernelIlLi16ELi32ELi8ELc84ELc67ELc76ELb0ELb0EdPKdS1_PdEviT_T9_T10_S3_lS5_S3_lS4_T11_S3_li
		.amdhsa_group_segment_fixed_size 4096
		.amdhsa_private_segment_fixed_size 0
		.amdhsa_kernarg_size 108
		.amdhsa_user_sgpr_count 2
		.amdhsa_user_sgpr_dispatch_ptr 0
		.amdhsa_user_sgpr_queue_ptr 0
		.amdhsa_user_sgpr_kernarg_segment_ptr 1
		.amdhsa_user_sgpr_dispatch_id 0
		.amdhsa_user_sgpr_kernarg_preload_length 0
		.amdhsa_user_sgpr_kernarg_preload_offset 0
		.amdhsa_user_sgpr_private_segment_size 0
		.amdhsa_wavefront_size32 1
		.amdhsa_uses_dynamic_stack 0
		.amdhsa_enable_private_segment 0
		.amdhsa_system_sgpr_workgroup_id_x 1
		.amdhsa_system_sgpr_workgroup_id_y 1
		.amdhsa_system_sgpr_workgroup_id_z 1
		.amdhsa_system_sgpr_workgroup_info 0
		.amdhsa_system_vgpr_workitem_id 1
		.amdhsa_next_free_vgpr 52
		.amdhsa_next_free_sgpr 36
		.amdhsa_named_barrier_count 0
		.amdhsa_reserve_vcc 1
		.amdhsa_float_round_mode_32 0
		.amdhsa_float_round_mode_16_64 0
		.amdhsa_float_denorm_mode_32 3
		.amdhsa_float_denorm_mode_16_64 3
		.amdhsa_fp16_overflow 0
		.amdhsa_memory_ordered 1
		.amdhsa_forward_progress 1
		.amdhsa_inst_pref_size 13
		.amdhsa_round_robin_scheduling 0
		.amdhsa_exception_fp_ieee_invalid_op 0
		.amdhsa_exception_fp_denorm_src 0
		.amdhsa_exception_fp_ieee_div_zero 0
		.amdhsa_exception_fp_ieee_overflow 0
		.amdhsa_exception_fp_ieee_underflow 0
		.amdhsa_exception_fp_ieee_inexact 0
		.amdhsa_exception_int_div_zero 0
	.end_amdhsa_kernel
	.section	.text._ZL29rocblas_internal_gemmt_kernelIlLi16ELi32ELi8ELc84ELc67ELc76ELb0ELb0EdPKdS1_PdEviT_T9_T10_S3_lS5_S3_lS4_T11_S3_li,"axG",@progbits,_ZL29rocblas_internal_gemmt_kernelIlLi16ELi32ELi8ELc84ELc67ELc76ELb0ELb0EdPKdS1_PdEviT_T9_T10_S3_lS5_S3_lS4_T11_S3_li,comdat
.Lfunc_end194:
	.size	_ZL29rocblas_internal_gemmt_kernelIlLi16ELi32ELi8ELc84ELc67ELc76ELb0ELb0EdPKdS1_PdEviT_T9_T10_S3_lS5_S3_lS4_T11_S3_li, .Lfunc_end194-_ZL29rocblas_internal_gemmt_kernelIlLi16ELi32ELi8ELc84ELc67ELc76ELb0ELb0EdPKdS1_PdEviT_T9_T10_S3_lS5_S3_lS4_T11_S3_li
                                        ; -- End function
	.set _ZL29rocblas_internal_gemmt_kernelIlLi16ELi32ELi8ELc84ELc67ELc76ELb0ELb0EdPKdS1_PdEviT_T9_T10_S3_lS5_S3_lS4_T11_S3_li.num_vgpr, 52
	.set _ZL29rocblas_internal_gemmt_kernelIlLi16ELi32ELi8ELc84ELc67ELc76ELb0ELb0EdPKdS1_PdEviT_T9_T10_S3_lS5_S3_lS4_T11_S3_li.num_agpr, 0
	.set _ZL29rocblas_internal_gemmt_kernelIlLi16ELi32ELi8ELc84ELc67ELc76ELb0ELb0EdPKdS1_PdEviT_T9_T10_S3_lS5_S3_lS4_T11_S3_li.numbered_sgpr, 36
	.set _ZL29rocblas_internal_gemmt_kernelIlLi16ELi32ELi8ELc84ELc67ELc76ELb0ELb0EdPKdS1_PdEviT_T9_T10_S3_lS5_S3_lS4_T11_S3_li.num_named_barrier, 0
	.set _ZL29rocblas_internal_gemmt_kernelIlLi16ELi32ELi8ELc84ELc67ELc76ELb0ELb0EdPKdS1_PdEviT_T9_T10_S3_lS5_S3_lS4_T11_S3_li.private_seg_size, 0
	.set _ZL29rocblas_internal_gemmt_kernelIlLi16ELi32ELi8ELc84ELc67ELc76ELb0ELb0EdPKdS1_PdEviT_T9_T10_S3_lS5_S3_lS4_T11_S3_li.uses_vcc, 1
	.set _ZL29rocblas_internal_gemmt_kernelIlLi16ELi32ELi8ELc84ELc67ELc76ELb0ELb0EdPKdS1_PdEviT_T9_T10_S3_lS5_S3_lS4_T11_S3_li.uses_flat_scratch, 0
	.set _ZL29rocblas_internal_gemmt_kernelIlLi16ELi32ELi8ELc84ELc67ELc76ELb0ELb0EdPKdS1_PdEviT_T9_T10_S3_lS5_S3_lS4_T11_S3_li.has_dyn_sized_stack, 0
	.set _ZL29rocblas_internal_gemmt_kernelIlLi16ELi32ELi8ELc84ELc67ELc76ELb0ELb0EdPKdS1_PdEviT_T9_T10_S3_lS5_S3_lS4_T11_S3_li.has_recursion, 0
	.set _ZL29rocblas_internal_gemmt_kernelIlLi16ELi32ELi8ELc84ELc67ELc76ELb0ELb0EdPKdS1_PdEviT_T9_T10_S3_lS5_S3_lS4_T11_S3_li.has_indirect_call, 0
	.section	.AMDGPU.csdata,"",@progbits
; Kernel info:
; codeLenInByte = 1584
; TotalNumSgprs: 38
; NumVgprs: 52
; ScratchSize: 0
; MemoryBound: 0
; FloatMode: 240
; IeeeMode: 1
; LDSByteSize: 4096 bytes/workgroup (compile time only)
; SGPRBlocks: 0
; VGPRBlocks: 3
; NumSGPRsForWavesPerEU: 38
; NumVGPRsForWavesPerEU: 52
; NamedBarCnt: 0
; Occupancy: 16
; WaveLimiterHint : 0
; COMPUTE_PGM_RSRC2:SCRATCH_EN: 0
; COMPUTE_PGM_RSRC2:USER_SGPR: 2
; COMPUTE_PGM_RSRC2:TRAP_HANDLER: 0
; COMPUTE_PGM_RSRC2:TGID_X_EN: 1
; COMPUTE_PGM_RSRC2:TGID_Y_EN: 1
; COMPUTE_PGM_RSRC2:TGID_Z_EN: 1
; COMPUTE_PGM_RSRC2:TIDIG_COMP_CNT: 1
	.section	.text._ZL29rocblas_internal_gemmt_kernelIlLi16ELi32ELi8ELc67ELc78ELc76ELb0ELb0EdPKdS1_PdEviT_T9_T10_S3_lS5_S3_lS4_T11_S3_li,"axG",@progbits,_ZL29rocblas_internal_gemmt_kernelIlLi16ELi32ELi8ELc67ELc78ELc76ELb0ELb0EdPKdS1_PdEviT_T9_T10_S3_lS5_S3_lS4_T11_S3_li,comdat
	.globl	_ZL29rocblas_internal_gemmt_kernelIlLi16ELi32ELi8ELc67ELc78ELc76ELb0ELb0EdPKdS1_PdEviT_T9_T10_S3_lS5_S3_lS4_T11_S3_li ; -- Begin function _ZL29rocblas_internal_gemmt_kernelIlLi16ELi32ELi8ELc67ELc78ELc76ELb0ELb0EdPKdS1_PdEviT_T9_T10_S3_lS5_S3_lS4_T11_S3_li
	.p2align	8
	.type	_ZL29rocblas_internal_gemmt_kernelIlLi16ELi32ELi8ELc67ELc78ELc76ELb0ELb0EdPKdS1_PdEviT_T9_T10_S3_lS5_S3_lS4_T11_S3_li,@function
_ZL29rocblas_internal_gemmt_kernelIlLi16ELi32ELi8ELc67ELc78ELc76ELb0ELb0EdPKdS1_PdEviT_T9_T10_S3_lS5_S3_lS4_T11_S3_li: ; @_ZL29rocblas_internal_gemmt_kernelIlLi16ELi32ELi8ELc67ELc78ELc76ELb0ELb0EdPKdS1_PdEviT_T9_T10_S3_lS5_S3_lS4_T11_S3_li
; %bb.0:
	s_load_b256 s[24:31], s[0:1], 0x48
	s_wait_kmcnt 0x0
	s_load_b64 s[6:7], s[24:25], 0x0
	s_load_b512 s[8:23], s[0:1], 0x8
	s_wait_kmcnt 0x0
	v_cmp_neq_f64_e64 s2, s[6:7], 1.0
	s_load_b64 s[10:11], s[10:11], 0x0
	s_and_b32 vcc_lo, exec_lo, s2
	s_cbranch_vccnz .LBB195_2
; %bb.1:
	s_wait_kmcnt 0x0
	v_cmp_neq_f64_e64 s2, s[10:11], 0
	s_cmp_lg_u64 s[8:9], 0
	s_cselect_b32 s3, -1, 0
	s_delay_alu instid0(SALU_CYCLE_1)
	s_and_b32 s2, s3, s2
.LBB195_2:
	s_delay_alu instid0(SALU_CYCLE_1)
	s_and_not1_b32 vcc_lo, exec_lo, s2
	s_cbranch_vccnz .LBB195_35
; %bb.3:
	s_load_b32 s33, s[0:1], 0x68
	s_bfe_u32 s2, ttmp6, 0x40014
	s_lshr_b32 s3, ttmp7, 16
	s_add_co_i32 s2, s2, 1
	s_bfe_u32 s5, ttmp6, 0x40008
	s_mul_i32 s4, s3, s2
	s_getreg_b32 s2, hwreg(HW_REG_IB_STS2, 6, 4)
	s_add_co_i32 s5, s5, s4
	s_cmp_eq_u32 s2, 0
	s_mov_b32 s25, 0
	s_cselect_b32 s24, s3, s5
	s_wait_kmcnt 0x0
	s_cmp_ge_u32 s24, s33
	s_cbranch_scc1 .LBB195_35
; %bb.4:
	v_and_b32_e32 v6, 0x3ff, v0
	v_bfe_u32 v7, v0, 10, 10
	s_bfe_u32 s4, ttmp6, 0x4000c
	s_bfe_u32 s34, ttmp6, 0x40010
	s_and_b32 s5, ttmp7, 0xffff
	s_add_co_i32 s4, s4, 1
	s_add_co_i32 s34, s34, 1
	v_lshl_add_u32 v8, v7, 4, v6
	s_and_b32 s3, ttmp6, 15
	s_mul_i32 s4, ttmp9, s4
	s_mul_i32 s34, s5, s34
	s_bfe_u32 s35, ttmp6, 0x40004
	s_add_co_i32 s3, s3, s4
	s_add_co_i32 s35, s35, s34
	s_cmp_eq_u32 s2, 0
	v_dual_lshrrev_b32 v10, 3, v8 :: v_dual_bitop2_b32 v11, 31, v8 bitop3:0x40
	s_cselect_b32 s2, ttmp9, s3
	s_cselect_b32 s3, s5, s35
	s_lshl_b32 s2, s2, 5
	s_lshl_b32 s3, s3, 5
	s_delay_alu instid0(SALU_CYCLE_1) | instskip(SKIP_3) | instid1(VALU_DEP_3)
	v_dual_add_nc_u32 v14, s3, v10 :: v_dual_bitop2_b32 v12, s2, v11 bitop3:0x54
	v_add_nc_u32_e32 v16, s3, v7
	s_load_b32 s4, s[0:1], 0x0
	v_dual_lshlrev_b32 v1, 3, v6 :: v_dual_bitop2_b32 v0, 7, v0 bitop3:0x40
	v_dual_ashrrev_i32 v13, 31, v12 :: v_dual_ashrrev_i32 v15, 31, v14
	s_delay_alu instid0(VALU_DEP_3) | instskip(SKIP_1) | instid1(VALU_DEP_3)
	v_dual_add_nc_u32 v22, 16, v16 :: v_dual_add_nc_u32 v6, s2, v6
	v_lshl_add_u32 v9, v7, 6, 0x800
	v_mul_u64_e32 v[18:19], s[14:15], v[12:13]
	s_delay_alu instid0(VALU_DEP_4) | instskip(NEXT) | instid1(VALU_DEP_4)
	v_mul_u64_e32 v[20:21], s[20:21], v[14:15]
	v_dual_ashrrev_i32 v23, 31, v22 :: v_dual_ashrrev_i32 v17, 31, v16
	v_cmp_neq_f64_e64 s20, s[10:11], 0
	v_cmp_neq_f64_e64 s14, s[6:7], 0
	v_lshlrev_b32_e32 v13, 3, v0
	s_delay_alu instid0(VALU_DEP_4)
	v_mul_u64_e32 v[4:5], s[28:29], v[22:23]
	v_mul_u64_e32 v[2:3], s[28:29], v[16:17]
	v_cmp_le_i32_e32 vcc_lo, v16, v6
	v_ashrrev_i32_e32 v7, 31, v6
	v_lshl_or_b32 v13, v10, 6, v13
	v_add_nc_u32_e32 v10, 16, v6
	s_wait_kmcnt 0x0
	v_cmp_gt_i32_e64 s2, s4, v6
	v_dual_lshrrev_b32 v8, 5, v8 :: v_dual_lshlrev_b32 v11, 3, v11
	v_cmp_gt_i64_e64 s21, s[8:9], 0
	v_cmp_gt_i32_e64 s0, s4, v12
	v_cmp_gt_i32_e64 s1, s4, v14
	v_cmp_le_i32_e64 s3, v16, v10
	v_cmp_gt_i32_e64 s4, s4, v10
	s_and_b32 s15, vcc_lo, s2
	v_cmp_le_i32_e32 vcc_lo, v22, v6
	v_cmp_le_i32_e64 s5, v22, v10
	v_lshl_or_b32 v34, v8, 8, v11
	v_add_nc_u32_e32 v35, 0x800, v13
	v_dual_ashrrev_i32 v11, 31, v10 :: v_dual_mov_b32 v17, 0
	v_lshl_add_u64 v[12:13], v[18:19], 3, s[12:13]
	v_lshl_add_u64 v[14:15], v[20:21], 3, s[18:19]
	s_and_b32 s13, s3, s4
	s_and_b32 s18, vcc_lo, s2
	s_and_b32 s12, s20, s21
	s_and_b32 s4, s5, s4
	s_branch .LBB195_6
.LBB195_5:                              ;   in Loop: Header=BB195_6 Depth=1
	s_wait_xcnt 0x0
	s_or_b32 exec_lo, exec_lo, s2
	s_add_co_i32 s24, s24, 0x10000
	s_delay_alu instid0(SALU_CYCLE_1)
	s_cmp_lt_u32 s24, s33
	s_cbranch_scc0 .LBB195_35
.LBB195_6:                              ; =>This Loop Header: Depth=1
                                        ;     Child Loop BB195_9 Depth 2
	v_mov_b64_e32 v[24:25], 0
	v_mov_b64_e32 v[22:23], 0
	;; [unrolled: 1-line block ×4, first 2 shown]
	s_and_not1_b32 vcc_lo, exec_lo, s12
	s_cbranch_vccnz .LBB195_15
; %bb.7:                                ;   in Loop: Header=BB195_6 Depth=1
	s_mul_u64 s[2:3], s[22:23], s[24:25]
	s_mul_u64 s[20:21], s[16:17], s[24:25]
	v_mov_b64_e32 v[18:19], 0
	v_mov_b64_e32 v[20:21], 0
	;; [unrolled: 1-line block ×4, first 2 shown]
	v_lshl_add_u64 v[26:27], s[20:21], 3, v[12:13]
	v_lshl_add_u64 v[28:29], s[2:3], 3, v[14:15]
	s_mov_b64 s[2:3], 0
	s_branch .LBB195_9
.LBB195_8:                              ;   in Loop: Header=BB195_9 Depth=2
	s_wait_xcnt 0x0
	s_or_b32 exec_lo, exec_lo, s5
	s_wait_loadcnt 0x0
	ds_store_b64 v35, v[32:33]
	s_wait_dscnt 0x0
	s_barrier_signal -1
	s_barrier_wait -1
	ds_load_b128 v[30:33], v9
	ds_load_2addr_b64 v[36:39], v1 offset1:16
	ds_load_b128 v[40:43], v9 offset:1024
	ds_load_b128 v[44:47], v9 offset:16
	;; [unrolled: 1-line block ×3, first 2 shown]
	s_add_nc_u64 s[2:3], s[2:3], 8
	s_delay_alu instid0(SALU_CYCLE_1)
	v_cmp_gt_i64_e64 s5, s[8:9], s[2:3]
	s_and_b32 vcc_lo, exec_lo, s5
	s_wait_dscnt 0x3
	v_fmac_f64_e32 v[24:25], v[36:37], v[30:31]
	v_fmac_f64_e32 v[22:23], v[38:39], v[30:31]
	s_wait_dscnt 0x2
	v_fmac_f64_e32 v[20:21], v[36:37], v[40:41]
	v_fmac_f64_e32 v[18:19], v[38:39], v[40:41]
	ds_load_2addr_b64 v[36:39], v1 offset0:32 offset1:48
	s_wait_dscnt 0x0
	v_fmac_f64_e32 v[24:25], v[36:37], v[32:33]
	v_fmac_f64_e32 v[22:23], v[38:39], v[32:33]
	v_fmac_f64_e32 v[20:21], v[36:37], v[42:43]
	v_fmac_f64_e32 v[18:19], v[38:39], v[42:43]
	ds_load_2addr_b64 v[30:33], v1 offset0:64 offset1:80
	s_wait_dscnt 0x0
	v_fmac_f64_e32 v[24:25], v[30:31], v[44:45]
	v_fmac_f64_e32 v[22:23], v[32:33], v[44:45]
	;; [unrolled: 6-line block ×3, first 2 shown]
	v_fmac_f64_e32 v[20:21], v[30:31], v[50:51]
	v_fmac_f64_e32 v[18:19], v[32:33], v[50:51]
	ds_load_b128 v[30:33], v9 offset:32
	ds_load_2addr_b64 v[36:39], v1 offset0:128 offset1:144
	ds_load_b128 v[40:43], v9 offset:1056
	ds_load_b128 v[44:47], v9 offset:48
	;; [unrolled: 1-line block ×3, first 2 shown]
	s_wait_dscnt 0x3
	v_fmac_f64_e32 v[24:25], v[36:37], v[30:31]
	v_fmac_f64_e32 v[22:23], v[38:39], v[30:31]
	s_wait_dscnt 0x2
	v_fmac_f64_e32 v[20:21], v[36:37], v[40:41]
	v_fmac_f64_e32 v[18:19], v[38:39], v[40:41]
	ds_load_2addr_b64 v[36:39], v1 offset0:160 offset1:176
	s_wait_dscnt 0x0
	v_fmac_f64_e32 v[24:25], v[36:37], v[32:33]
	v_fmac_f64_e32 v[22:23], v[38:39], v[32:33]
	;; [unrolled: 1-line block ×4, first 2 shown]
	ds_load_2addr_b64 v[30:33], v1 offset0:192 offset1:208
	s_wait_dscnt 0x0
	v_fmac_f64_e32 v[24:25], v[30:31], v[44:45]
	v_fmac_f64_e32 v[22:23], v[32:33], v[44:45]
	;; [unrolled: 1-line block ×4, first 2 shown]
	ds_load_2addr_b64 v[30:33], v1 offset0:224 offset1:240
	s_wait_dscnt 0x0
	s_barrier_signal -1
	s_barrier_wait -1
	v_fmac_f64_e32 v[24:25], v[30:31], v[46:47]
	v_fmac_f64_e32 v[22:23], v[32:33], v[46:47]
	;; [unrolled: 1-line block ×4, first 2 shown]
	s_cbranch_vccz .LBB195_15
.LBB195_9:                              ;   Parent Loop BB195_6 Depth=1
                                        ; =>  This Inner Loop Header: Depth=2
	v_mov_b64_e32 v[30:31], 0
	s_and_saveexec_b32 s5, s0
	s_cbranch_execz .LBB195_13
; %bb.10:                               ;   in Loop: Header=BB195_9 Depth=2
	v_mov_b64_e32 v[30:31], 0
	v_add_nc_u32_e32 v16, s2, v8
	s_mov_b32 s19, exec_lo
	s_delay_alu instid0(VALU_DEP_1)
	v_cmpx_gt_u64_e64 s[8:9], v[16:17]
	s_cbranch_execz .LBB195_12
; %bb.11:                               ;   in Loop: Header=BB195_9 Depth=2
	v_lshl_add_u64 v[30:31], v[16:17], 3, v[26:27]
	global_load_b64 v[30:31], v[30:31], off
.LBB195_12:                             ;   in Loop: Header=BB195_9 Depth=2
	s_wait_xcnt 0x0
	s_or_b32 exec_lo, exec_lo, s19
.LBB195_13:                             ;   in Loop: Header=BB195_9 Depth=2
	s_delay_alu instid0(SALU_CYCLE_1)
	s_or_b32 exec_lo, exec_lo, s5
	v_add_nc_u32_e32 v16, s2, v0
	v_mov_b64_e32 v[32:33], 0
	s_wait_loadcnt 0x0
	ds_store_b64 v34, v[30:31]
	v_cmp_gt_u64_e32 vcc_lo, s[8:9], v[16:17]
	s_and_b32 s19, vcc_lo, s1
	s_delay_alu instid0(SALU_CYCLE_1)
	s_and_saveexec_b32 s5, s19
	s_cbranch_execz .LBB195_8
; %bb.14:                               ;   in Loop: Header=BB195_9 Depth=2
	v_lshl_add_u64 v[30:31], v[16:17], 3, v[28:29]
	global_load_b64 v[32:33], v[30:31], off
	s_branch .LBB195_8
.LBB195_15:                             ;   in Loop: Header=BB195_6 Depth=1
	s_mul_u64 s[2:3], s[30:31], s[24:25]
	s_delay_alu instid0(SALU_CYCLE_1) | instskip(NEXT) | instid1(SALU_CYCLE_1)
	s_lshl_b64 s[2:3], s[2:3], 3
	s_add_nc_u64 s[2:3], s[26:27], s[2:3]
	s_delay_alu instid0(SALU_CYCLE_1)
	v_lshl_add_u64 v[26:27], v[2:3], 3, s[2:3]
	s_and_saveexec_b32 s5, s15
	s_cbranch_execz .LBB195_19
; %bb.16:                               ;   in Loop: Header=BB195_6 Depth=1
	v_mul_f64_e32 v[24:25], s[10:11], v[24:25]
	s_delay_alu instid0(VALU_DEP_2)
	v_lshl_add_u64 v[28:29], v[6:7], 3, v[26:27]
	s_and_b32 vcc_lo, exec_lo, s14
	s_cbranch_vccz .LBB195_30
; %bb.17:                               ;   in Loop: Header=BB195_6 Depth=1
	global_load_b64 v[30:31], v[28:29], off
	s_wait_loadcnt 0x0
	v_fma_f64 v[30:31], s[6:7], v[30:31], v[24:25]
	global_store_b64 v[28:29], v[30:31], off
	s_cbranch_execnz .LBB195_19
.LBB195_18:                             ;   in Loop: Header=BB195_6 Depth=1
	global_store_b64 v[28:29], v[24:25], off
.LBB195_19:                             ;   in Loop: Header=BB195_6 Depth=1
	s_wait_xcnt 0x0
	s_or_b32 exec_lo, exec_lo, s5
	s_and_saveexec_b32 s5, s13
	s_cbranch_execz .LBB195_23
; %bb.20:                               ;   in Loop: Header=BB195_6 Depth=1
	s_delay_alu instid0(VALU_DEP_4)
	v_mul_f64_e32 v[22:23], s[10:11], v[22:23]
	v_lshl_add_u64 v[24:25], v[10:11], 3, v[26:27]
	s_and_not1_b32 vcc_lo, exec_lo, s14
	s_cbranch_vccnz .LBB195_31
; %bb.21:                               ;   in Loop: Header=BB195_6 Depth=1
	global_load_b64 v[26:27], v[24:25], off
	s_wait_loadcnt 0x0
	v_fma_f64 v[26:27], s[6:7], v[26:27], v[22:23]
	global_store_b64 v[24:25], v[26:27], off
	s_cbranch_execnz .LBB195_23
.LBB195_22:                             ;   in Loop: Header=BB195_6 Depth=1
	global_store_b64 v[24:25], v[22:23], off
.LBB195_23:                             ;   in Loop: Header=BB195_6 Depth=1
	s_wait_xcnt 0x0
	s_or_b32 exec_lo, exec_lo, s5
	v_lshl_add_u64 v[22:23], v[4:5], 3, s[2:3]
	s_and_saveexec_b32 s2, s18
	s_cbranch_execz .LBB195_27
; %bb.24:                               ;   in Loop: Header=BB195_6 Depth=1
	s_delay_alu instid0(VALU_DEP_4) | instskip(NEXT) | instid1(VALU_DEP_2)
	v_mul_f64_e32 v[20:21], s[10:11], v[20:21]
	v_lshl_add_u64 v[24:25], v[6:7], 3, v[22:23]
	s_and_not1_b32 vcc_lo, exec_lo, s14
	s_cbranch_vccnz .LBB195_32
; %bb.25:                               ;   in Loop: Header=BB195_6 Depth=1
	global_load_b64 v[26:27], v[24:25], off
	s_wait_loadcnt 0x0
	v_fma_f64 v[26:27], s[6:7], v[26:27], v[20:21]
	global_store_b64 v[24:25], v[26:27], off
	s_cbranch_execnz .LBB195_27
.LBB195_26:                             ;   in Loop: Header=BB195_6 Depth=1
	global_store_b64 v[24:25], v[20:21], off
.LBB195_27:                             ;   in Loop: Header=BB195_6 Depth=1
	s_wait_xcnt 0x0
	s_or_b32 exec_lo, exec_lo, s2
	s_and_saveexec_b32 s2, s4
	s_cbranch_execz .LBB195_5
; %bb.28:                               ;   in Loop: Header=BB195_6 Depth=1
	s_delay_alu instid0(VALU_DEP_3)
	v_mul_f64_e32 v[18:19], s[10:11], v[18:19]
	v_lshl_add_u64 v[20:21], v[10:11], 3, v[22:23]
	s_and_not1_b32 vcc_lo, exec_lo, s14
	s_cbranch_vccnz .LBB195_33
; %bb.29:                               ;   in Loop: Header=BB195_6 Depth=1
	global_load_b64 v[22:23], v[20:21], off
	s_wait_loadcnt 0x0
	v_fma_f64 v[22:23], s[6:7], v[22:23], v[18:19]
	global_store_b64 v[20:21], v[22:23], off
	s_cbranch_execnz .LBB195_5
	s_branch .LBB195_34
.LBB195_30:                             ;   in Loop: Header=BB195_6 Depth=1
	s_branch .LBB195_18
.LBB195_31:                             ;   in Loop: Header=BB195_6 Depth=1
	s_branch .LBB195_22
.LBB195_32:                             ;   in Loop: Header=BB195_6 Depth=1
	s_branch .LBB195_26
.LBB195_33:                             ;   in Loop: Header=BB195_6 Depth=1
.LBB195_34:                             ;   in Loop: Header=BB195_6 Depth=1
	global_store_b64 v[20:21], v[18:19], off
	s_branch .LBB195_5
.LBB195_35:
	s_endpgm
	.section	.rodata,"a",@progbits
	.p2align	6, 0x0
	.amdhsa_kernel _ZL29rocblas_internal_gemmt_kernelIlLi16ELi32ELi8ELc67ELc78ELc76ELb0ELb0EdPKdS1_PdEviT_T9_T10_S3_lS5_S3_lS4_T11_S3_li
		.amdhsa_group_segment_fixed_size 4096
		.amdhsa_private_segment_fixed_size 0
		.amdhsa_kernarg_size 108
		.amdhsa_user_sgpr_count 2
		.amdhsa_user_sgpr_dispatch_ptr 0
		.amdhsa_user_sgpr_queue_ptr 0
		.amdhsa_user_sgpr_kernarg_segment_ptr 1
		.amdhsa_user_sgpr_dispatch_id 0
		.amdhsa_user_sgpr_kernarg_preload_length 0
		.amdhsa_user_sgpr_kernarg_preload_offset 0
		.amdhsa_user_sgpr_private_segment_size 0
		.amdhsa_wavefront_size32 1
		.amdhsa_uses_dynamic_stack 0
		.amdhsa_enable_private_segment 0
		.amdhsa_system_sgpr_workgroup_id_x 1
		.amdhsa_system_sgpr_workgroup_id_y 1
		.amdhsa_system_sgpr_workgroup_id_z 1
		.amdhsa_system_sgpr_workgroup_info 0
		.amdhsa_system_vgpr_workitem_id 1
		.amdhsa_next_free_vgpr 52
		.amdhsa_next_free_sgpr 36
		.amdhsa_named_barrier_count 0
		.amdhsa_reserve_vcc 1
		.amdhsa_float_round_mode_32 0
		.amdhsa_float_round_mode_16_64 0
		.amdhsa_float_denorm_mode_32 3
		.amdhsa_float_denorm_mode_16_64 3
		.amdhsa_fp16_overflow 0
		.amdhsa_memory_ordered 1
		.amdhsa_forward_progress 1
		.amdhsa_inst_pref_size 13
		.amdhsa_round_robin_scheduling 0
		.amdhsa_exception_fp_ieee_invalid_op 0
		.amdhsa_exception_fp_denorm_src 0
		.amdhsa_exception_fp_ieee_div_zero 0
		.amdhsa_exception_fp_ieee_overflow 0
		.amdhsa_exception_fp_ieee_underflow 0
		.amdhsa_exception_fp_ieee_inexact 0
		.amdhsa_exception_int_div_zero 0
	.end_amdhsa_kernel
	.section	.text._ZL29rocblas_internal_gemmt_kernelIlLi16ELi32ELi8ELc67ELc78ELc76ELb0ELb0EdPKdS1_PdEviT_T9_T10_S3_lS5_S3_lS4_T11_S3_li,"axG",@progbits,_ZL29rocblas_internal_gemmt_kernelIlLi16ELi32ELi8ELc67ELc78ELc76ELb0ELb0EdPKdS1_PdEviT_T9_T10_S3_lS5_S3_lS4_T11_S3_li,comdat
.Lfunc_end195:
	.size	_ZL29rocblas_internal_gemmt_kernelIlLi16ELi32ELi8ELc67ELc78ELc76ELb0ELb0EdPKdS1_PdEviT_T9_T10_S3_lS5_S3_lS4_T11_S3_li, .Lfunc_end195-_ZL29rocblas_internal_gemmt_kernelIlLi16ELi32ELi8ELc67ELc78ELc76ELb0ELb0EdPKdS1_PdEviT_T9_T10_S3_lS5_S3_lS4_T11_S3_li
                                        ; -- End function
	.set _ZL29rocblas_internal_gemmt_kernelIlLi16ELi32ELi8ELc67ELc78ELc76ELb0ELb0EdPKdS1_PdEviT_T9_T10_S3_lS5_S3_lS4_T11_S3_li.num_vgpr, 52
	.set _ZL29rocblas_internal_gemmt_kernelIlLi16ELi32ELi8ELc67ELc78ELc76ELb0ELb0EdPKdS1_PdEviT_T9_T10_S3_lS5_S3_lS4_T11_S3_li.num_agpr, 0
	.set _ZL29rocblas_internal_gemmt_kernelIlLi16ELi32ELi8ELc67ELc78ELc76ELb0ELb0EdPKdS1_PdEviT_T9_T10_S3_lS5_S3_lS4_T11_S3_li.numbered_sgpr, 36
	.set _ZL29rocblas_internal_gemmt_kernelIlLi16ELi32ELi8ELc67ELc78ELc76ELb0ELb0EdPKdS1_PdEviT_T9_T10_S3_lS5_S3_lS4_T11_S3_li.num_named_barrier, 0
	.set _ZL29rocblas_internal_gemmt_kernelIlLi16ELi32ELi8ELc67ELc78ELc76ELb0ELb0EdPKdS1_PdEviT_T9_T10_S3_lS5_S3_lS4_T11_S3_li.private_seg_size, 0
	.set _ZL29rocblas_internal_gemmt_kernelIlLi16ELi32ELi8ELc67ELc78ELc76ELb0ELb0EdPKdS1_PdEviT_T9_T10_S3_lS5_S3_lS4_T11_S3_li.uses_vcc, 1
	.set _ZL29rocblas_internal_gemmt_kernelIlLi16ELi32ELi8ELc67ELc78ELc76ELb0ELb0EdPKdS1_PdEviT_T9_T10_S3_lS5_S3_lS4_T11_S3_li.uses_flat_scratch, 0
	.set _ZL29rocblas_internal_gemmt_kernelIlLi16ELi32ELi8ELc67ELc78ELc76ELb0ELb0EdPKdS1_PdEviT_T9_T10_S3_lS5_S3_lS4_T11_S3_li.has_dyn_sized_stack, 0
	.set _ZL29rocblas_internal_gemmt_kernelIlLi16ELi32ELi8ELc67ELc78ELc76ELb0ELb0EdPKdS1_PdEviT_T9_T10_S3_lS5_S3_lS4_T11_S3_li.has_recursion, 0
	.set _ZL29rocblas_internal_gemmt_kernelIlLi16ELi32ELi8ELc67ELc78ELc76ELb0ELb0EdPKdS1_PdEviT_T9_T10_S3_lS5_S3_lS4_T11_S3_li.has_indirect_call, 0
	.section	.AMDGPU.csdata,"",@progbits
; Kernel info:
; codeLenInByte = 1600
; TotalNumSgprs: 38
; NumVgprs: 52
; ScratchSize: 0
; MemoryBound: 0
; FloatMode: 240
; IeeeMode: 1
; LDSByteSize: 4096 bytes/workgroup (compile time only)
; SGPRBlocks: 0
; VGPRBlocks: 3
; NumSGPRsForWavesPerEU: 38
; NumVGPRsForWavesPerEU: 52
; NamedBarCnt: 0
; Occupancy: 16
; WaveLimiterHint : 0
; COMPUTE_PGM_RSRC2:SCRATCH_EN: 0
; COMPUTE_PGM_RSRC2:USER_SGPR: 2
; COMPUTE_PGM_RSRC2:TRAP_HANDLER: 0
; COMPUTE_PGM_RSRC2:TGID_X_EN: 1
; COMPUTE_PGM_RSRC2:TGID_Y_EN: 1
; COMPUTE_PGM_RSRC2:TGID_Z_EN: 1
; COMPUTE_PGM_RSRC2:TIDIG_COMP_CNT: 1
	.section	.text._ZL29rocblas_internal_gemmt_kernelIlLi16ELi32ELi8ELc67ELc84ELc76ELb0ELb0EdPKdS1_PdEviT_T9_T10_S3_lS5_S3_lS4_T11_S3_li,"axG",@progbits,_ZL29rocblas_internal_gemmt_kernelIlLi16ELi32ELi8ELc67ELc84ELc76ELb0ELb0EdPKdS1_PdEviT_T9_T10_S3_lS5_S3_lS4_T11_S3_li,comdat
	.globl	_ZL29rocblas_internal_gemmt_kernelIlLi16ELi32ELi8ELc67ELc84ELc76ELb0ELb0EdPKdS1_PdEviT_T9_T10_S3_lS5_S3_lS4_T11_S3_li ; -- Begin function _ZL29rocblas_internal_gemmt_kernelIlLi16ELi32ELi8ELc67ELc84ELc76ELb0ELb0EdPKdS1_PdEviT_T9_T10_S3_lS5_S3_lS4_T11_S3_li
	.p2align	8
	.type	_ZL29rocblas_internal_gemmt_kernelIlLi16ELi32ELi8ELc67ELc84ELc76ELb0ELb0EdPKdS1_PdEviT_T9_T10_S3_lS5_S3_lS4_T11_S3_li,@function
_ZL29rocblas_internal_gemmt_kernelIlLi16ELi32ELi8ELc67ELc84ELc76ELb0ELb0EdPKdS1_PdEviT_T9_T10_S3_lS5_S3_lS4_T11_S3_li: ; @_ZL29rocblas_internal_gemmt_kernelIlLi16ELi32ELi8ELc67ELc84ELc76ELb0ELb0EdPKdS1_PdEviT_T9_T10_S3_lS5_S3_lS4_T11_S3_li
; %bb.0:
	s_load_b256 s[24:31], s[0:1], 0x48
	s_wait_kmcnt 0x0
	s_load_b64 s[6:7], s[24:25], 0x0
	s_load_b512 s[8:23], s[0:1], 0x8
	s_wait_kmcnt 0x0
	v_cmp_neq_f64_e64 s2, s[6:7], 1.0
	s_load_b64 s[10:11], s[10:11], 0x0
	s_and_b32 vcc_lo, exec_lo, s2
	s_cbranch_vccnz .LBB196_2
; %bb.1:
	s_wait_kmcnt 0x0
	v_cmp_neq_f64_e64 s2, s[10:11], 0
	s_cmp_lg_u64 s[8:9], 0
	s_cselect_b32 s3, -1, 0
	s_delay_alu instid0(SALU_CYCLE_1)
	s_and_b32 s2, s3, s2
.LBB196_2:
	s_delay_alu instid0(SALU_CYCLE_1)
	s_and_not1_b32 vcc_lo, exec_lo, s2
	s_cbranch_vccnz .LBB196_35
; %bb.3:
	s_load_b32 s33, s[0:1], 0x68
	s_bfe_u32 s2, ttmp6, 0x40014
	s_lshr_b32 s3, ttmp7, 16
	s_add_co_i32 s2, s2, 1
	s_bfe_u32 s5, ttmp6, 0x40008
	s_mul_i32 s4, s3, s2
	s_getreg_b32 s2, hwreg(HW_REG_IB_STS2, 6, 4)
	s_add_co_i32 s5, s5, s4
	s_cmp_eq_u32 s2, 0
	s_mov_b32 s25, 0
	s_cselect_b32 s24, s3, s5
	s_wait_kmcnt 0x0
	s_cmp_ge_u32 s24, s33
	s_cbranch_scc1 .LBB196_35
; %bb.4:
	s_bfe_u32 s3, ttmp6, 0x4000c
	s_bfe_u32 s5, ttmp6, 0x40010
	s_add_co_i32 s3, s3, 1
	s_and_b32 s34, ttmp7, 0xffff
	s_add_co_i32 s5, s5, 1
	v_and_b32_e32 v6, 0x3ff, v0
	v_bfe_u32 v7, v0, 10, 10
	s_and_b32 s4, ttmp6, 15
	s_mul_i32 s3, ttmp9, s3
	s_mul_i32 s5, s34, s5
	s_bfe_u32 s35, ttmp6, 0x40004
	s_add_co_i32 s4, s4, s3
	s_add_co_i32 s35, s35, s5
	s_cmp_eq_u32 s2, 0
	v_lshl_add_u32 v8, v7, 4, v6
	s_cselect_b32 s3, s34, s35
	s_cselect_b32 s2, ttmp9, s4
	s_lshl_b32 s3, s3, 5
	s_lshl_b32 s2, s2, 5
	v_dual_add_nc_u32 v14, s3, v7 :: v_dual_bitop2_b32 v10, 31, v8 bitop3:0x40
	v_and_b32_e32 v0, 7, v0
	v_cmp_neq_f64_e64 s34, s[10:11], 0
	s_load_b32 s4, s[0:1], 0x0
	v_lshlrev_b32_e32 v1, 3, v6
	v_add_nc_u32_e32 v16, 16, v14
	v_or_b32_e32 v12, s2, v10
	v_dual_ashrrev_i32 v15, 31, v14 :: v_dual_lshlrev_b32 v11, 3, v0
	s_delay_alu instid0(VALU_DEP_3) | instskip(NEXT) | instid1(VALU_DEP_3)
	v_dual_add_nc_u32 v6, s2, v6 :: v_dual_ashrrev_i32 v17, 31, v16
	v_ashrrev_i32_e32 v13, 31, v12
	s_delay_alu instid0(VALU_DEP_3) | instskip(SKIP_1) | instid1(VALU_DEP_4)
	v_mul_u64_e32 v[2:3], s[28:29], v[14:15]
	v_lshl_add_u32 v9, v7, 6, 0x800
	v_cmp_le_i32_e32 vcc_lo, v14, v6
	v_mul_u64_e32 v[4:5], s[28:29], v[16:17]
	v_mul_u64_e32 v[18:19], s[14:15], v[12:13]
	v_cmp_neq_f64_e64 s14, s[6:7], 0
	v_dual_lshrrev_b32 v13, 3, v8 :: v_dual_lshrrev_b32 v8, 5, v8
	v_ashrrev_i32_e32 v7, 31, v6
	v_cmp_gt_i64_e64 s35, s[8:9], 0
	s_delay_alu instid0(VALU_DEP_3)
	v_dual_mov_b32 v17, 0 :: v_dual_add_nc_u32 v20, s3, v13
	v_lshlrev_b32_e32 v15, 3, v10
	v_add_nc_u32_e32 v10, 16, v6
	s_wait_kmcnt 0x0
	v_cmp_gt_i32_e64 s2, s4, v6
	v_lshl_or_b32 v11, v13, 6, v11
	v_ashrrev_i32_e32 v21, 31, v20
	v_cmp_gt_i32_e64 s0, s4, v12
	v_cmp_gt_i32_e64 s1, s4, v20
	v_cmp_le_i32_e64 s3, v14, v10
	v_cmp_gt_i32_e64 s4, s4, v10
	s_and_b32 s15, vcc_lo, s2
	v_cmp_le_i32_e32 vcc_lo, v16, v6
	v_cmp_le_i32_e64 s5, v16, v10
	v_lshl_or_b32 v34, v8, 8, v15
	v_add_nc_u32_e32 v35, 0x800, v11
	v_ashrrev_i32_e32 v11, 31, v10
	v_lshl_add_u64 v[12:13], v[20:21], 3, s[18:19]
	s_and_b32 s18, vcc_lo, s2
	v_lshl_add_u64 v[14:15], v[18:19], 3, s[12:13]
	s_and_b32 s12, s34, s35
	s_and_b32 s13, s3, s4
	;; [unrolled: 1-line block ×3, first 2 shown]
	s_branch .LBB196_6
.LBB196_5:                              ;   in Loop: Header=BB196_6 Depth=1
	s_wait_xcnt 0x0
	s_or_b32 exec_lo, exec_lo, s2
	s_add_co_i32 s24, s24, 0x10000
	s_delay_alu instid0(SALU_CYCLE_1)
	s_cmp_lt_u32 s24, s33
	s_cbranch_scc0 .LBB196_35
.LBB196_6:                              ; =>This Loop Header: Depth=1
                                        ;     Child Loop BB196_9 Depth 2
	v_mov_b64_e32 v[24:25], 0
	v_mov_b64_e32 v[22:23], 0
	;; [unrolled: 1-line block ×4, first 2 shown]
	s_and_not1_b32 vcc_lo, exec_lo, s12
	s_cbranch_vccnz .LBB196_15
; %bb.7:                                ;   in Loop: Header=BB196_6 Depth=1
	s_mul_u64 s[2:3], s[22:23], s[24:25]
	s_mul_u64 s[28:29], s[16:17], s[24:25]
	v_mov_b64_e32 v[18:19], 0
	v_mov_b64_e32 v[20:21], 0
	;; [unrolled: 1-line block ×4, first 2 shown]
	v_lshl_add_u64 v[26:27], s[28:29], 3, v[14:15]
	v_lshl_add_u64 v[28:29], s[2:3], 3, v[12:13]
	s_mov_b64 s[2:3], 0
	s_branch .LBB196_9
.LBB196_8:                              ;   in Loop: Header=BB196_9 Depth=2
	s_wait_xcnt 0x0
	s_or_b32 exec_lo, exec_lo, s5
	s_wait_loadcnt 0x0
	ds_store_b64 v35, v[32:33]
	s_wait_dscnt 0x0
	s_barrier_signal -1
	s_barrier_wait -1
	ds_load_b128 v[30:33], v9
	ds_load_2addr_b64 v[36:39], v1 offset1:16
	ds_load_b128 v[40:43], v9 offset:1024
	ds_load_b128 v[44:47], v9 offset:16
	;; [unrolled: 1-line block ×3, first 2 shown]
	s_add_nc_u64 s[2:3], s[2:3], 8
	s_delay_alu instid0(SALU_CYCLE_1)
	v_cmp_gt_i64_e64 s5, s[8:9], s[2:3]
	s_and_b32 vcc_lo, exec_lo, s5
	s_wait_dscnt 0x3
	v_fmac_f64_e32 v[24:25], v[36:37], v[30:31]
	v_fmac_f64_e32 v[22:23], v[38:39], v[30:31]
	s_wait_dscnt 0x2
	v_fmac_f64_e32 v[20:21], v[36:37], v[40:41]
	v_fmac_f64_e32 v[18:19], v[38:39], v[40:41]
	ds_load_2addr_b64 v[36:39], v1 offset0:32 offset1:48
	s_wait_dscnt 0x0
	v_fmac_f64_e32 v[24:25], v[36:37], v[32:33]
	v_fmac_f64_e32 v[22:23], v[38:39], v[32:33]
	v_fmac_f64_e32 v[20:21], v[36:37], v[42:43]
	v_fmac_f64_e32 v[18:19], v[38:39], v[42:43]
	ds_load_2addr_b64 v[30:33], v1 offset0:64 offset1:80
	s_wait_dscnt 0x0
	v_fmac_f64_e32 v[24:25], v[30:31], v[44:45]
	v_fmac_f64_e32 v[22:23], v[32:33], v[44:45]
	;; [unrolled: 6-line block ×3, first 2 shown]
	v_fmac_f64_e32 v[20:21], v[30:31], v[50:51]
	v_fmac_f64_e32 v[18:19], v[32:33], v[50:51]
	ds_load_b128 v[30:33], v9 offset:32
	ds_load_2addr_b64 v[36:39], v1 offset0:128 offset1:144
	ds_load_b128 v[40:43], v9 offset:1056
	ds_load_b128 v[44:47], v9 offset:48
	;; [unrolled: 1-line block ×3, first 2 shown]
	s_wait_dscnt 0x3
	v_fmac_f64_e32 v[24:25], v[36:37], v[30:31]
	v_fmac_f64_e32 v[22:23], v[38:39], v[30:31]
	s_wait_dscnt 0x2
	v_fmac_f64_e32 v[20:21], v[36:37], v[40:41]
	v_fmac_f64_e32 v[18:19], v[38:39], v[40:41]
	ds_load_2addr_b64 v[36:39], v1 offset0:160 offset1:176
	s_wait_dscnt 0x0
	v_fmac_f64_e32 v[24:25], v[36:37], v[32:33]
	v_fmac_f64_e32 v[22:23], v[38:39], v[32:33]
	;; [unrolled: 1-line block ×4, first 2 shown]
	ds_load_2addr_b64 v[30:33], v1 offset0:192 offset1:208
	s_wait_dscnt 0x0
	v_fmac_f64_e32 v[24:25], v[30:31], v[44:45]
	v_fmac_f64_e32 v[22:23], v[32:33], v[44:45]
	;; [unrolled: 1-line block ×4, first 2 shown]
	ds_load_2addr_b64 v[30:33], v1 offset0:224 offset1:240
	s_wait_dscnt 0x0
	s_barrier_signal -1
	s_barrier_wait -1
	v_fmac_f64_e32 v[24:25], v[30:31], v[46:47]
	v_fmac_f64_e32 v[22:23], v[32:33], v[46:47]
	;; [unrolled: 1-line block ×4, first 2 shown]
	s_cbranch_vccz .LBB196_15
.LBB196_9:                              ;   Parent Loop BB196_6 Depth=1
                                        ; =>  This Inner Loop Header: Depth=2
	v_mov_b64_e32 v[30:31], 0
	s_and_saveexec_b32 s5, s0
	s_cbranch_execz .LBB196_13
; %bb.10:                               ;   in Loop: Header=BB196_9 Depth=2
	v_mov_b64_e32 v[30:31], 0
	v_add_nc_u32_e32 v16, s2, v8
	s_mov_b32 s19, exec_lo
	s_delay_alu instid0(VALU_DEP_1)
	v_cmpx_gt_u64_e64 s[8:9], v[16:17]
	s_cbranch_execz .LBB196_12
; %bb.11:                               ;   in Loop: Header=BB196_9 Depth=2
	v_lshl_add_u64 v[30:31], v[16:17], 3, v[26:27]
	global_load_b64 v[30:31], v[30:31], off
.LBB196_12:                             ;   in Loop: Header=BB196_9 Depth=2
	s_wait_xcnt 0x0
	s_or_b32 exec_lo, exec_lo, s19
.LBB196_13:                             ;   in Loop: Header=BB196_9 Depth=2
	s_delay_alu instid0(SALU_CYCLE_1)
	s_or_b32 exec_lo, exec_lo, s5
	v_add_nc_u32_e32 v16, s2, v0
	v_mov_b64_e32 v[32:33], 0
	s_wait_loadcnt 0x0
	ds_store_b64 v34, v[30:31]
	v_cmp_gt_u64_e32 vcc_lo, s[8:9], v[16:17]
	s_and_b32 s19, vcc_lo, s1
	s_delay_alu instid0(SALU_CYCLE_1)
	s_and_saveexec_b32 s5, s19
	s_cbranch_execz .LBB196_8
; %bb.14:                               ;   in Loop: Header=BB196_9 Depth=2
	v_mul_u64_e32 v[30:31], s[20:21], v[16:17]
	s_delay_alu instid0(VALU_DEP_1)
	v_lshl_add_u64 v[30:31], v[30:31], 3, v[28:29]
	global_load_b64 v[32:33], v[30:31], off
	s_branch .LBB196_8
.LBB196_15:                             ;   in Loop: Header=BB196_6 Depth=1
	s_mul_u64 s[2:3], s[30:31], s[24:25]
	s_delay_alu instid0(SALU_CYCLE_1) | instskip(NEXT) | instid1(SALU_CYCLE_1)
	s_lshl_b64 s[2:3], s[2:3], 3
	s_add_nc_u64 s[2:3], s[26:27], s[2:3]
	s_delay_alu instid0(SALU_CYCLE_1)
	v_lshl_add_u64 v[26:27], v[2:3], 3, s[2:3]
	s_and_saveexec_b32 s5, s15
	s_cbranch_execz .LBB196_19
; %bb.16:                               ;   in Loop: Header=BB196_6 Depth=1
	v_mul_f64_e32 v[24:25], s[10:11], v[24:25]
	s_delay_alu instid0(VALU_DEP_2)
	v_lshl_add_u64 v[28:29], v[6:7], 3, v[26:27]
	s_and_b32 vcc_lo, exec_lo, s14
	s_cbranch_vccz .LBB196_30
; %bb.17:                               ;   in Loop: Header=BB196_6 Depth=1
	global_load_b64 v[30:31], v[28:29], off
	s_wait_loadcnt 0x0
	v_fma_f64 v[30:31], s[6:7], v[30:31], v[24:25]
	global_store_b64 v[28:29], v[30:31], off
	s_cbranch_execnz .LBB196_19
.LBB196_18:                             ;   in Loop: Header=BB196_6 Depth=1
	global_store_b64 v[28:29], v[24:25], off
.LBB196_19:                             ;   in Loop: Header=BB196_6 Depth=1
	s_wait_xcnt 0x0
	s_or_b32 exec_lo, exec_lo, s5
	s_and_saveexec_b32 s5, s13
	s_cbranch_execz .LBB196_23
; %bb.20:                               ;   in Loop: Header=BB196_6 Depth=1
	s_delay_alu instid0(VALU_DEP_4)
	v_mul_f64_e32 v[22:23], s[10:11], v[22:23]
	v_lshl_add_u64 v[24:25], v[10:11], 3, v[26:27]
	s_and_not1_b32 vcc_lo, exec_lo, s14
	s_cbranch_vccnz .LBB196_31
; %bb.21:                               ;   in Loop: Header=BB196_6 Depth=1
	global_load_b64 v[26:27], v[24:25], off
	s_wait_loadcnt 0x0
	v_fma_f64 v[26:27], s[6:7], v[26:27], v[22:23]
	global_store_b64 v[24:25], v[26:27], off
	s_cbranch_execnz .LBB196_23
.LBB196_22:                             ;   in Loop: Header=BB196_6 Depth=1
	global_store_b64 v[24:25], v[22:23], off
.LBB196_23:                             ;   in Loop: Header=BB196_6 Depth=1
	s_wait_xcnt 0x0
	s_or_b32 exec_lo, exec_lo, s5
	v_lshl_add_u64 v[22:23], v[4:5], 3, s[2:3]
	s_and_saveexec_b32 s2, s18
	s_cbranch_execz .LBB196_27
; %bb.24:                               ;   in Loop: Header=BB196_6 Depth=1
	s_delay_alu instid0(VALU_DEP_4) | instskip(NEXT) | instid1(VALU_DEP_2)
	v_mul_f64_e32 v[20:21], s[10:11], v[20:21]
	v_lshl_add_u64 v[24:25], v[6:7], 3, v[22:23]
	s_and_not1_b32 vcc_lo, exec_lo, s14
	s_cbranch_vccnz .LBB196_32
; %bb.25:                               ;   in Loop: Header=BB196_6 Depth=1
	global_load_b64 v[26:27], v[24:25], off
	s_wait_loadcnt 0x0
	v_fma_f64 v[26:27], s[6:7], v[26:27], v[20:21]
	global_store_b64 v[24:25], v[26:27], off
	s_cbranch_execnz .LBB196_27
.LBB196_26:                             ;   in Loop: Header=BB196_6 Depth=1
	global_store_b64 v[24:25], v[20:21], off
.LBB196_27:                             ;   in Loop: Header=BB196_6 Depth=1
	s_wait_xcnt 0x0
	s_or_b32 exec_lo, exec_lo, s2
	s_and_saveexec_b32 s2, s4
	s_cbranch_execz .LBB196_5
; %bb.28:                               ;   in Loop: Header=BB196_6 Depth=1
	s_delay_alu instid0(VALU_DEP_3)
	v_mul_f64_e32 v[18:19], s[10:11], v[18:19]
	v_lshl_add_u64 v[20:21], v[10:11], 3, v[22:23]
	s_and_not1_b32 vcc_lo, exec_lo, s14
	s_cbranch_vccnz .LBB196_33
; %bb.29:                               ;   in Loop: Header=BB196_6 Depth=1
	global_load_b64 v[22:23], v[20:21], off
	s_wait_loadcnt 0x0
	v_fma_f64 v[22:23], s[6:7], v[22:23], v[18:19]
	global_store_b64 v[20:21], v[22:23], off
	s_cbranch_execnz .LBB196_5
	s_branch .LBB196_34
.LBB196_30:                             ;   in Loop: Header=BB196_6 Depth=1
	s_branch .LBB196_18
.LBB196_31:                             ;   in Loop: Header=BB196_6 Depth=1
	s_branch .LBB196_22
.LBB196_32:                             ;   in Loop: Header=BB196_6 Depth=1
	s_branch .LBB196_26
.LBB196_33:                             ;   in Loop: Header=BB196_6 Depth=1
.LBB196_34:                             ;   in Loop: Header=BB196_6 Depth=1
	global_store_b64 v[20:21], v[18:19], off
	s_branch .LBB196_5
.LBB196_35:
	s_endpgm
	.section	.rodata,"a",@progbits
	.p2align	6, 0x0
	.amdhsa_kernel _ZL29rocblas_internal_gemmt_kernelIlLi16ELi32ELi8ELc67ELc84ELc76ELb0ELb0EdPKdS1_PdEviT_T9_T10_S3_lS5_S3_lS4_T11_S3_li
		.amdhsa_group_segment_fixed_size 4096
		.amdhsa_private_segment_fixed_size 0
		.amdhsa_kernarg_size 108
		.amdhsa_user_sgpr_count 2
		.amdhsa_user_sgpr_dispatch_ptr 0
		.amdhsa_user_sgpr_queue_ptr 0
		.amdhsa_user_sgpr_kernarg_segment_ptr 1
		.amdhsa_user_sgpr_dispatch_id 0
		.amdhsa_user_sgpr_kernarg_preload_length 0
		.amdhsa_user_sgpr_kernarg_preload_offset 0
		.amdhsa_user_sgpr_private_segment_size 0
		.amdhsa_wavefront_size32 1
		.amdhsa_uses_dynamic_stack 0
		.amdhsa_enable_private_segment 0
		.amdhsa_system_sgpr_workgroup_id_x 1
		.amdhsa_system_sgpr_workgroup_id_y 1
		.amdhsa_system_sgpr_workgroup_id_z 1
		.amdhsa_system_sgpr_workgroup_info 0
		.amdhsa_system_vgpr_workitem_id 1
		.amdhsa_next_free_vgpr 52
		.amdhsa_next_free_sgpr 36
		.amdhsa_named_barrier_count 0
		.amdhsa_reserve_vcc 1
		.amdhsa_float_round_mode_32 0
		.amdhsa_float_round_mode_16_64 0
		.amdhsa_float_denorm_mode_32 3
		.amdhsa_float_denorm_mode_16_64 3
		.amdhsa_fp16_overflow 0
		.amdhsa_memory_ordered 1
		.amdhsa_forward_progress 1
		.amdhsa_inst_pref_size 13
		.amdhsa_round_robin_scheduling 0
		.amdhsa_exception_fp_ieee_invalid_op 0
		.amdhsa_exception_fp_denorm_src 0
		.amdhsa_exception_fp_ieee_div_zero 0
		.amdhsa_exception_fp_ieee_overflow 0
		.amdhsa_exception_fp_ieee_underflow 0
		.amdhsa_exception_fp_ieee_inexact 0
		.amdhsa_exception_int_div_zero 0
	.end_amdhsa_kernel
	.section	.text._ZL29rocblas_internal_gemmt_kernelIlLi16ELi32ELi8ELc67ELc84ELc76ELb0ELb0EdPKdS1_PdEviT_T9_T10_S3_lS5_S3_lS4_T11_S3_li,"axG",@progbits,_ZL29rocblas_internal_gemmt_kernelIlLi16ELi32ELi8ELc67ELc84ELc76ELb0ELb0EdPKdS1_PdEviT_T9_T10_S3_lS5_S3_lS4_T11_S3_li,comdat
.Lfunc_end196:
	.size	_ZL29rocblas_internal_gemmt_kernelIlLi16ELi32ELi8ELc67ELc84ELc76ELb0ELb0EdPKdS1_PdEviT_T9_T10_S3_lS5_S3_lS4_T11_S3_li, .Lfunc_end196-_ZL29rocblas_internal_gemmt_kernelIlLi16ELi32ELi8ELc67ELc84ELc76ELb0ELb0EdPKdS1_PdEviT_T9_T10_S3_lS5_S3_lS4_T11_S3_li
                                        ; -- End function
	.set _ZL29rocblas_internal_gemmt_kernelIlLi16ELi32ELi8ELc67ELc84ELc76ELb0ELb0EdPKdS1_PdEviT_T9_T10_S3_lS5_S3_lS4_T11_S3_li.num_vgpr, 52
	.set _ZL29rocblas_internal_gemmt_kernelIlLi16ELi32ELi8ELc67ELc84ELc76ELb0ELb0EdPKdS1_PdEviT_T9_T10_S3_lS5_S3_lS4_T11_S3_li.num_agpr, 0
	.set _ZL29rocblas_internal_gemmt_kernelIlLi16ELi32ELi8ELc67ELc84ELc76ELb0ELb0EdPKdS1_PdEviT_T9_T10_S3_lS5_S3_lS4_T11_S3_li.numbered_sgpr, 36
	.set _ZL29rocblas_internal_gemmt_kernelIlLi16ELi32ELi8ELc67ELc84ELc76ELb0ELb0EdPKdS1_PdEviT_T9_T10_S3_lS5_S3_lS4_T11_S3_li.num_named_barrier, 0
	.set _ZL29rocblas_internal_gemmt_kernelIlLi16ELi32ELi8ELc67ELc84ELc76ELb0ELb0EdPKdS1_PdEviT_T9_T10_S3_lS5_S3_lS4_T11_S3_li.private_seg_size, 0
	.set _ZL29rocblas_internal_gemmt_kernelIlLi16ELi32ELi8ELc67ELc84ELc76ELb0ELb0EdPKdS1_PdEviT_T9_T10_S3_lS5_S3_lS4_T11_S3_li.uses_vcc, 1
	.set _ZL29rocblas_internal_gemmt_kernelIlLi16ELi32ELi8ELc67ELc84ELc76ELb0ELb0EdPKdS1_PdEviT_T9_T10_S3_lS5_S3_lS4_T11_S3_li.uses_flat_scratch, 0
	.set _ZL29rocblas_internal_gemmt_kernelIlLi16ELi32ELi8ELc67ELc84ELc76ELb0ELb0EdPKdS1_PdEviT_T9_T10_S3_lS5_S3_lS4_T11_S3_li.has_dyn_sized_stack, 0
	.set _ZL29rocblas_internal_gemmt_kernelIlLi16ELi32ELi8ELc67ELc84ELc76ELb0ELb0EdPKdS1_PdEviT_T9_T10_S3_lS5_S3_lS4_T11_S3_li.has_recursion, 0
	.set _ZL29rocblas_internal_gemmt_kernelIlLi16ELi32ELi8ELc67ELc84ELc76ELb0ELb0EdPKdS1_PdEviT_T9_T10_S3_lS5_S3_lS4_T11_S3_li.has_indirect_call, 0
	.section	.AMDGPU.csdata,"",@progbits
; Kernel info:
; codeLenInByte = 1584
; TotalNumSgprs: 38
; NumVgprs: 52
; ScratchSize: 0
; MemoryBound: 0
; FloatMode: 240
; IeeeMode: 1
; LDSByteSize: 4096 bytes/workgroup (compile time only)
; SGPRBlocks: 0
; VGPRBlocks: 3
; NumSGPRsForWavesPerEU: 38
; NumVGPRsForWavesPerEU: 52
; NamedBarCnt: 0
; Occupancy: 16
; WaveLimiterHint : 0
; COMPUTE_PGM_RSRC2:SCRATCH_EN: 0
; COMPUTE_PGM_RSRC2:USER_SGPR: 2
; COMPUTE_PGM_RSRC2:TRAP_HANDLER: 0
; COMPUTE_PGM_RSRC2:TGID_X_EN: 1
; COMPUTE_PGM_RSRC2:TGID_Y_EN: 1
; COMPUTE_PGM_RSRC2:TGID_Z_EN: 1
; COMPUTE_PGM_RSRC2:TIDIG_COMP_CNT: 1
	.section	.text._ZL29rocblas_internal_gemmt_kernelIlLi16ELi32ELi8ELc67ELc67ELc76ELb0ELb0EdPKdS1_PdEviT_T9_T10_S3_lS5_S3_lS4_T11_S3_li,"axG",@progbits,_ZL29rocblas_internal_gemmt_kernelIlLi16ELi32ELi8ELc67ELc67ELc76ELb0ELb0EdPKdS1_PdEviT_T9_T10_S3_lS5_S3_lS4_T11_S3_li,comdat
	.globl	_ZL29rocblas_internal_gemmt_kernelIlLi16ELi32ELi8ELc67ELc67ELc76ELb0ELb0EdPKdS1_PdEviT_T9_T10_S3_lS5_S3_lS4_T11_S3_li ; -- Begin function _ZL29rocblas_internal_gemmt_kernelIlLi16ELi32ELi8ELc67ELc67ELc76ELb0ELb0EdPKdS1_PdEviT_T9_T10_S3_lS5_S3_lS4_T11_S3_li
	.p2align	8
	.type	_ZL29rocblas_internal_gemmt_kernelIlLi16ELi32ELi8ELc67ELc67ELc76ELb0ELb0EdPKdS1_PdEviT_T9_T10_S3_lS5_S3_lS4_T11_S3_li,@function
_ZL29rocblas_internal_gemmt_kernelIlLi16ELi32ELi8ELc67ELc67ELc76ELb0ELb0EdPKdS1_PdEviT_T9_T10_S3_lS5_S3_lS4_T11_S3_li: ; @_ZL29rocblas_internal_gemmt_kernelIlLi16ELi32ELi8ELc67ELc67ELc76ELb0ELb0EdPKdS1_PdEviT_T9_T10_S3_lS5_S3_lS4_T11_S3_li
; %bb.0:
	s_load_b256 s[24:31], s[0:1], 0x48
	s_wait_kmcnt 0x0
	s_load_b64 s[6:7], s[24:25], 0x0
	s_load_b512 s[8:23], s[0:1], 0x8
	s_wait_kmcnt 0x0
	v_cmp_neq_f64_e64 s2, s[6:7], 1.0
	s_load_b64 s[10:11], s[10:11], 0x0
	s_and_b32 vcc_lo, exec_lo, s2
	s_cbranch_vccnz .LBB197_2
; %bb.1:
	s_wait_kmcnt 0x0
	v_cmp_neq_f64_e64 s2, s[10:11], 0
	s_cmp_lg_u64 s[8:9], 0
	s_cselect_b32 s3, -1, 0
	s_delay_alu instid0(SALU_CYCLE_1)
	s_and_b32 s2, s3, s2
.LBB197_2:
	s_delay_alu instid0(SALU_CYCLE_1)
	s_and_not1_b32 vcc_lo, exec_lo, s2
	s_cbranch_vccnz .LBB197_35
; %bb.3:
	s_load_b32 s33, s[0:1], 0x68
	s_bfe_u32 s2, ttmp6, 0x40014
	s_lshr_b32 s3, ttmp7, 16
	s_add_co_i32 s2, s2, 1
	s_bfe_u32 s5, ttmp6, 0x40008
	s_mul_i32 s4, s3, s2
	s_getreg_b32 s2, hwreg(HW_REG_IB_STS2, 6, 4)
	s_add_co_i32 s5, s5, s4
	s_cmp_eq_u32 s2, 0
	s_mov_b32 s25, 0
	s_cselect_b32 s24, s3, s5
	s_wait_kmcnt 0x0
	s_cmp_ge_u32 s24, s33
	s_cbranch_scc1 .LBB197_35
; %bb.4:
	s_bfe_u32 s3, ttmp6, 0x4000c
	s_bfe_u32 s5, ttmp6, 0x40010
	s_add_co_i32 s3, s3, 1
	s_and_b32 s34, ttmp7, 0xffff
	s_add_co_i32 s5, s5, 1
	v_and_b32_e32 v6, 0x3ff, v0
	v_bfe_u32 v7, v0, 10, 10
	s_and_b32 s4, ttmp6, 15
	s_mul_i32 s3, ttmp9, s3
	s_mul_i32 s5, s34, s5
	s_bfe_u32 s35, ttmp6, 0x40004
	s_add_co_i32 s4, s4, s3
	s_add_co_i32 s35, s35, s5
	s_cmp_eq_u32 s2, 0
	v_lshl_add_u32 v8, v7, 4, v6
	s_cselect_b32 s3, s34, s35
	s_cselect_b32 s2, ttmp9, s4
	s_lshl_b32 s3, s3, 5
	s_lshl_b32 s2, s2, 5
	v_dual_add_nc_u32 v14, s3, v7 :: v_dual_bitop2_b32 v10, 31, v8 bitop3:0x40
	v_and_b32_e32 v0, 7, v0
	v_cmp_neq_f64_e64 s34, s[10:11], 0
	s_load_b32 s4, s[0:1], 0x0
	v_lshlrev_b32_e32 v1, 3, v6
	v_add_nc_u32_e32 v16, 16, v14
	v_or_b32_e32 v12, s2, v10
	v_dual_ashrrev_i32 v15, 31, v14 :: v_dual_lshlrev_b32 v11, 3, v0
	s_delay_alu instid0(VALU_DEP_3) | instskip(NEXT) | instid1(VALU_DEP_3)
	v_dual_add_nc_u32 v6, s2, v6 :: v_dual_ashrrev_i32 v17, 31, v16
	v_ashrrev_i32_e32 v13, 31, v12
	s_delay_alu instid0(VALU_DEP_3) | instskip(SKIP_1) | instid1(VALU_DEP_4)
	v_mul_u64_e32 v[2:3], s[28:29], v[14:15]
	v_lshl_add_u32 v9, v7, 6, 0x800
	v_cmp_le_i32_e32 vcc_lo, v14, v6
	v_mul_u64_e32 v[4:5], s[28:29], v[16:17]
	v_mul_u64_e32 v[18:19], s[14:15], v[12:13]
	v_cmp_neq_f64_e64 s14, s[6:7], 0
	v_dual_lshrrev_b32 v13, 3, v8 :: v_dual_lshrrev_b32 v8, 5, v8
	v_ashrrev_i32_e32 v7, 31, v6
	v_cmp_gt_i64_e64 s35, s[8:9], 0
	s_delay_alu instid0(VALU_DEP_3)
	v_dual_mov_b32 v17, 0 :: v_dual_add_nc_u32 v20, s3, v13
	v_lshlrev_b32_e32 v15, 3, v10
	v_add_nc_u32_e32 v10, 16, v6
	s_wait_kmcnt 0x0
	v_cmp_gt_i32_e64 s2, s4, v6
	v_lshl_or_b32 v11, v13, 6, v11
	v_ashrrev_i32_e32 v21, 31, v20
	v_cmp_gt_i32_e64 s0, s4, v12
	v_cmp_gt_i32_e64 s1, s4, v20
	v_cmp_le_i32_e64 s3, v14, v10
	v_cmp_gt_i32_e64 s4, s4, v10
	s_and_b32 s15, vcc_lo, s2
	v_cmp_le_i32_e32 vcc_lo, v16, v6
	v_cmp_le_i32_e64 s5, v16, v10
	v_lshl_or_b32 v34, v8, 8, v15
	v_add_nc_u32_e32 v35, 0x800, v11
	v_ashrrev_i32_e32 v11, 31, v10
	v_lshl_add_u64 v[12:13], v[20:21], 3, s[18:19]
	s_and_b32 s18, vcc_lo, s2
	v_lshl_add_u64 v[14:15], v[18:19], 3, s[12:13]
	s_and_b32 s12, s34, s35
	s_and_b32 s13, s3, s4
	s_and_b32 s4, s5, s4
	s_branch .LBB197_6
.LBB197_5:                              ;   in Loop: Header=BB197_6 Depth=1
	s_wait_xcnt 0x0
	s_or_b32 exec_lo, exec_lo, s2
	s_add_co_i32 s24, s24, 0x10000
	s_delay_alu instid0(SALU_CYCLE_1)
	s_cmp_lt_u32 s24, s33
	s_cbranch_scc0 .LBB197_35
.LBB197_6:                              ; =>This Loop Header: Depth=1
                                        ;     Child Loop BB197_9 Depth 2
	v_mov_b64_e32 v[24:25], 0
	v_mov_b64_e32 v[22:23], 0
	;; [unrolled: 1-line block ×4, first 2 shown]
	s_and_not1_b32 vcc_lo, exec_lo, s12
	s_cbranch_vccnz .LBB197_15
; %bb.7:                                ;   in Loop: Header=BB197_6 Depth=1
	s_mul_u64 s[2:3], s[22:23], s[24:25]
	s_mul_u64 s[28:29], s[16:17], s[24:25]
	v_mov_b64_e32 v[18:19], 0
	v_mov_b64_e32 v[20:21], 0
	;; [unrolled: 1-line block ×4, first 2 shown]
	v_lshl_add_u64 v[26:27], s[28:29], 3, v[14:15]
	v_lshl_add_u64 v[28:29], s[2:3], 3, v[12:13]
	s_mov_b64 s[2:3], 0
	s_branch .LBB197_9
.LBB197_8:                              ;   in Loop: Header=BB197_9 Depth=2
	s_wait_xcnt 0x0
	s_or_b32 exec_lo, exec_lo, s5
	s_wait_loadcnt 0x0
	ds_store_b64 v35, v[32:33]
	s_wait_dscnt 0x0
	s_barrier_signal -1
	s_barrier_wait -1
	ds_load_b128 v[30:33], v9
	ds_load_2addr_b64 v[36:39], v1 offset1:16
	ds_load_b128 v[40:43], v9 offset:1024
	ds_load_b128 v[44:47], v9 offset:16
	;; [unrolled: 1-line block ×3, first 2 shown]
	s_add_nc_u64 s[2:3], s[2:3], 8
	s_delay_alu instid0(SALU_CYCLE_1)
	v_cmp_gt_i64_e64 s5, s[8:9], s[2:3]
	s_and_b32 vcc_lo, exec_lo, s5
	s_wait_dscnt 0x3
	v_fmac_f64_e32 v[24:25], v[36:37], v[30:31]
	v_fmac_f64_e32 v[22:23], v[38:39], v[30:31]
	s_wait_dscnt 0x2
	v_fmac_f64_e32 v[20:21], v[36:37], v[40:41]
	v_fmac_f64_e32 v[18:19], v[38:39], v[40:41]
	ds_load_2addr_b64 v[36:39], v1 offset0:32 offset1:48
	s_wait_dscnt 0x0
	v_fmac_f64_e32 v[24:25], v[36:37], v[32:33]
	v_fmac_f64_e32 v[22:23], v[38:39], v[32:33]
	v_fmac_f64_e32 v[20:21], v[36:37], v[42:43]
	v_fmac_f64_e32 v[18:19], v[38:39], v[42:43]
	ds_load_2addr_b64 v[30:33], v1 offset0:64 offset1:80
	s_wait_dscnt 0x0
	v_fmac_f64_e32 v[24:25], v[30:31], v[44:45]
	v_fmac_f64_e32 v[22:23], v[32:33], v[44:45]
	;; [unrolled: 6-line block ×3, first 2 shown]
	v_fmac_f64_e32 v[20:21], v[30:31], v[50:51]
	v_fmac_f64_e32 v[18:19], v[32:33], v[50:51]
	ds_load_b128 v[30:33], v9 offset:32
	ds_load_2addr_b64 v[36:39], v1 offset0:128 offset1:144
	ds_load_b128 v[40:43], v9 offset:1056
	ds_load_b128 v[44:47], v9 offset:48
	;; [unrolled: 1-line block ×3, first 2 shown]
	s_wait_dscnt 0x3
	v_fmac_f64_e32 v[24:25], v[36:37], v[30:31]
	v_fmac_f64_e32 v[22:23], v[38:39], v[30:31]
	s_wait_dscnt 0x2
	v_fmac_f64_e32 v[20:21], v[36:37], v[40:41]
	v_fmac_f64_e32 v[18:19], v[38:39], v[40:41]
	ds_load_2addr_b64 v[36:39], v1 offset0:160 offset1:176
	s_wait_dscnt 0x0
	v_fmac_f64_e32 v[24:25], v[36:37], v[32:33]
	v_fmac_f64_e32 v[22:23], v[38:39], v[32:33]
	;; [unrolled: 1-line block ×4, first 2 shown]
	ds_load_2addr_b64 v[30:33], v1 offset0:192 offset1:208
	s_wait_dscnt 0x0
	v_fmac_f64_e32 v[24:25], v[30:31], v[44:45]
	v_fmac_f64_e32 v[22:23], v[32:33], v[44:45]
	;; [unrolled: 1-line block ×4, first 2 shown]
	ds_load_2addr_b64 v[30:33], v1 offset0:224 offset1:240
	s_wait_dscnt 0x0
	s_barrier_signal -1
	s_barrier_wait -1
	v_fmac_f64_e32 v[24:25], v[30:31], v[46:47]
	v_fmac_f64_e32 v[22:23], v[32:33], v[46:47]
	;; [unrolled: 1-line block ×4, first 2 shown]
	s_cbranch_vccz .LBB197_15
.LBB197_9:                              ;   Parent Loop BB197_6 Depth=1
                                        ; =>  This Inner Loop Header: Depth=2
	v_mov_b64_e32 v[30:31], 0
	s_and_saveexec_b32 s5, s0
	s_cbranch_execz .LBB197_13
; %bb.10:                               ;   in Loop: Header=BB197_9 Depth=2
	v_mov_b64_e32 v[30:31], 0
	v_add_nc_u32_e32 v16, s2, v8
	s_mov_b32 s19, exec_lo
	s_delay_alu instid0(VALU_DEP_1)
	v_cmpx_gt_u64_e64 s[8:9], v[16:17]
	s_cbranch_execz .LBB197_12
; %bb.11:                               ;   in Loop: Header=BB197_9 Depth=2
	v_lshl_add_u64 v[30:31], v[16:17], 3, v[26:27]
	global_load_b64 v[30:31], v[30:31], off
.LBB197_12:                             ;   in Loop: Header=BB197_9 Depth=2
	s_wait_xcnt 0x0
	s_or_b32 exec_lo, exec_lo, s19
.LBB197_13:                             ;   in Loop: Header=BB197_9 Depth=2
	s_delay_alu instid0(SALU_CYCLE_1)
	s_or_b32 exec_lo, exec_lo, s5
	v_add_nc_u32_e32 v16, s2, v0
	v_mov_b64_e32 v[32:33], 0
	s_wait_loadcnt 0x0
	ds_store_b64 v34, v[30:31]
	v_cmp_gt_u64_e32 vcc_lo, s[8:9], v[16:17]
	s_and_b32 s19, vcc_lo, s1
	s_delay_alu instid0(SALU_CYCLE_1)
	s_and_saveexec_b32 s5, s19
	s_cbranch_execz .LBB197_8
; %bb.14:                               ;   in Loop: Header=BB197_9 Depth=2
	v_mul_u64_e32 v[30:31], s[20:21], v[16:17]
	s_delay_alu instid0(VALU_DEP_1)
	v_lshl_add_u64 v[30:31], v[30:31], 3, v[28:29]
	global_load_b64 v[32:33], v[30:31], off
	s_branch .LBB197_8
.LBB197_15:                             ;   in Loop: Header=BB197_6 Depth=1
	s_mul_u64 s[2:3], s[30:31], s[24:25]
	s_delay_alu instid0(SALU_CYCLE_1) | instskip(NEXT) | instid1(SALU_CYCLE_1)
	s_lshl_b64 s[2:3], s[2:3], 3
	s_add_nc_u64 s[2:3], s[26:27], s[2:3]
	s_delay_alu instid0(SALU_CYCLE_1)
	v_lshl_add_u64 v[26:27], v[2:3], 3, s[2:3]
	s_and_saveexec_b32 s5, s15
	s_cbranch_execz .LBB197_19
; %bb.16:                               ;   in Loop: Header=BB197_6 Depth=1
	v_mul_f64_e32 v[24:25], s[10:11], v[24:25]
	s_delay_alu instid0(VALU_DEP_2)
	v_lshl_add_u64 v[28:29], v[6:7], 3, v[26:27]
	s_and_b32 vcc_lo, exec_lo, s14
	s_cbranch_vccz .LBB197_30
; %bb.17:                               ;   in Loop: Header=BB197_6 Depth=1
	global_load_b64 v[30:31], v[28:29], off
	s_wait_loadcnt 0x0
	v_fma_f64 v[30:31], s[6:7], v[30:31], v[24:25]
	global_store_b64 v[28:29], v[30:31], off
	s_cbranch_execnz .LBB197_19
.LBB197_18:                             ;   in Loop: Header=BB197_6 Depth=1
	global_store_b64 v[28:29], v[24:25], off
.LBB197_19:                             ;   in Loop: Header=BB197_6 Depth=1
	s_wait_xcnt 0x0
	s_or_b32 exec_lo, exec_lo, s5
	s_and_saveexec_b32 s5, s13
	s_cbranch_execz .LBB197_23
; %bb.20:                               ;   in Loop: Header=BB197_6 Depth=1
	s_delay_alu instid0(VALU_DEP_4)
	v_mul_f64_e32 v[22:23], s[10:11], v[22:23]
	v_lshl_add_u64 v[24:25], v[10:11], 3, v[26:27]
	s_and_not1_b32 vcc_lo, exec_lo, s14
	s_cbranch_vccnz .LBB197_31
; %bb.21:                               ;   in Loop: Header=BB197_6 Depth=1
	global_load_b64 v[26:27], v[24:25], off
	s_wait_loadcnt 0x0
	v_fma_f64 v[26:27], s[6:7], v[26:27], v[22:23]
	global_store_b64 v[24:25], v[26:27], off
	s_cbranch_execnz .LBB197_23
.LBB197_22:                             ;   in Loop: Header=BB197_6 Depth=1
	global_store_b64 v[24:25], v[22:23], off
.LBB197_23:                             ;   in Loop: Header=BB197_6 Depth=1
	s_wait_xcnt 0x0
	s_or_b32 exec_lo, exec_lo, s5
	v_lshl_add_u64 v[22:23], v[4:5], 3, s[2:3]
	s_and_saveexec_b32 s2, s18
	s_cbranch_execz .LBB197_27
; %bb.24:                               ;   in Loop: Header=BB197_6 Depth=1
	s_delay_alu instid0(VALU_DEP_4) | instskip(NEXT) | instid1(VALU_DEP_2)
	v_mul_f64_e32 v[20:21], s[10:11], v[20:21]
	v_lshl_add_u64 v[24:25], v[6:7], 3, v[22:23]
	s_and_not1_b32 vcc_lo, exec_lo, s14
	s_cbranch_vccnz .LBB197_32
; %bb.25:                               ;   in Loop: Header=BB197_6 Depth=1
	global_load_b64 v[26:27], v[24:25], off
	s_wait_loadcnt 0x0
	v_fma_f64 v[26:27], s[6:7], v[26:27], v[20:21]
	global_store_b64 v[24:25], v[26:27], off
	s_cbranch_execnz .LBB197_27
.LBB197_26:                             ;   in Loop: Header=BB197_6 Depth=1
	global_store_b64 v[24:25], v[20:21], off
.LBB197_27:                             ;   in Loop: Header=BB197_6 Depth=1
	s_wait_xcnt 0x0
	s_or_b32 exec_lo, exec_lo, s2
	s_and_saveexec_b32 s2, s4
	s_cbranch_execz .LBB197_5
; %bb.28:                               ;   in Loop: Header=BB197_6 Depth=1
	s_delay_alu instid0(VALU_DEP_3)
	v_mul_f64_e32 v[18:19], s[10:11], v[18:19]
	v_lshl_add_u64 v[20:21], v[10:11], 3, v[22:23]
	s_and_not1_b32 vcc_lo, exec_lo, s14
	s_cbranch_vccnz .LBB197_33
; %bb.29:                               ;   in Loop: Header=BB197_6 Depth=1
	global_load_b64 v[22:23], v[20:21], off
	s_wait_loadcnt 0x0
	v_fma_f64 v[22:23], s[6:7], v[22:23], v[18:19]
	global_store_b64 v[20:21], v[22:23], off
	s_cbranch_execnz .LBB197_5
	s_branch .LBB197_34
.LBB197_30:                             ;   in Loop: Header=BB197_6 Depth=1
	s_branch .LBB197_18
.LBB197_31:                             ;   in Loop: Header=BB197_6 Depth=1
	s_branch .LBB197_22
.LBB197_32:                             ;   in Loop: Header=BB197_6 Depth=1
	s_branch .LBB197_26
.LBB197_33:                             ;   in Loop: Header=BB197_6 Depth=1
.LBB197_34:                             ;   in Loop: Header=BB197_6 Depth=1
	global_store_b64 v[20:21], v[18:19], off
	s_branch .LBB197_5
.LBB197_35:
	s_endpgm
	.section	.rodata,"a",@progbits
	.p2align	6, 0x0
	.amdhsa_kernel _ZL29rocblas_internal_gemmt_kernelIlLi16ELi32ELi8ELc67ELc67ELc76ELb0ELb0EdPKdS1_PdEviT_T9_T10_S3_lS5_S3_lS4_T11_S3_li
		.amdhsa_group_segment_fixed_size 4096
		.amdhsa_private_segment_fixed_size 0
		.amdhsa_kernarg_size 108
		.amdhsa_user_sgpr_count 2
		.amdhsa_user_sgpr_dispatch_ptr 0
		.amdhsa_user_sgpr_queue_ptr 0
		.amdhsa_user_sgpr_kernarg_segment_ptr 1
		.amdhsa_user_sgpr_dispatch_id 0
		.amdhsa_user_sgpr_kernarg_preload_length 0
		.amdhsa_user_sgpr_kernarg_preload_offset 0
		.amdhsa_user_sgpr_private_segment_size 0
		.amdhsa_wavefront_size32 1
		.amdhsa_uses_dynamic_stack 0
		.amdhsa_enable_private_segment 0
		.amdhsa_system_sgpr_workgroup_id_x 1
		.amdhsa_system_sgpr_workgroup_id_y 1
		.amdhsa_system_sgpr_workgroup_id_z 1
		.amdhsa_system_sgpr_workgroup_info 0
		.amdhsa_system_vgpr_workitem_id 1
		.amdhsa_next_free_vgpr 52
		.amdhsa_next_free_sgpr 36
		.amdhsa_named_barrier_count 0
		.amdhsa_reserve_vcc 1
		.amdhsa_float_round_mode_32 0
		.amdhsa_float_round_mode_16_64 0
		.amdhsa_float_denorm_mode_32 3
		.amdhsa_float_denorm_mode_16_64 3
		.amdhsa_fp16_overflow 0
		.amdhsa_memory_ordered 1
		.amdhsa_forward_progress 1
		.amdhsa_inst_pref_size 13
		.amdhsa_round_robin_scheduling 0
		.amdhsa_exception_fp_ieee_invalid_op 0
		.amdhsa_exception_fp_denorm_src 0
		.amdhsa_exception_fp_ieee_div_zero 0
		.amdhsa_exception_fp_ieee_overflow 0
		.amdhsa_exception_fp_ieee_underflow 0
		.amdhsa_exception_fp_ieee_inexact 0
		.amdhsa_exception_int_div_zero 0
	.end_amdhsa_kernel
	.section	.text._ZL29rocblas_internal_gemmt_kernelIlLi16ELi32ELi8ELc67ELc67ELc76ELb0ELb0EdPKdS1_PdEviT_T9_T10_S3_lS5_S3_lS4_T11_S3_li,"axG",@progbits,_ZL29rocblas_internal_gemmt_kernelIlLi16ELi32ELi8ELc67ELc67ELc76ELb0ELb0EdPKdS1_PdEviT_T9_T10_S3_lS5_S3_lS4_T11_S3_li,comdat
.Lfunc_end197:
	.size	_ZL29rocblas_internal_gemmt_kernelIlLi16ELi32ELi8ELc67ELc67ELc76ELb0ELb0EdPKdS1_PdEviT_T9_T10_S3_lS5_S3_lS4_T11_S3_li, .Lfunc_end197-_ZL29rocblas_internal_gemmt_kernelIlLi16ELi32ELi8ELc67ELc67ELc76ELb0ELb0EdPKdS1_PdEviT_T9_T10_S3_lS5_S3_lS4_T11_S3_li
                                        ; -- End function
	.set _ZL29rocblas_internal_gemmt_kernelIlLi16ELi32ELi8ELc67ELc67ELc76ELb0ELb0EdPKdS1_PdEviT_T9_T10_S3_lS5_S3_lS4_T11_S3_li.num_vgpr, 52
	.set _ZL29rocblas_internal_gemmt_kernelIlLi16ELi32ELi8ELc67ELc67ELc76ELb0ELb0EdPKdS1_PdEviT_T9_T10_S3_lS5_S3_lS4_T11_S3_li.num_agpr, 0
	.set _ZL29rocblas_internal_gemmt_kernelIlLi16ELi32ELi8ELc67ELc67ELc76ELb0ELb0EdPKdS1_PdEviT_T9_T10_S3_lS5_S3_lS4_T11_S3_li.numbered_sgpr, 36
	.set _ZL29rocblas_internal_gemmt_kernelIlLi16ELi32ELi8ELc67ELc67ELc76ELb0ELb0EdPKdS1_PdEviT_T9_T10_S3_lS5_S3_lS4_T11_S3_li.num_named_barrier, 0
	.set _ZL29rocblas_internal_gemmt_kernelIlLi16ELi32ELi8ELc67ELc67ELc76ELb0ELb0EdPKdS1_PdEviT_T9_T10_S3_lS5_S3_lS4_T11_S3_li.private_seg_size, 0
	.set _ZL29rocblas_internal_gemmt_kernelIlLi16ELi32ELi8ELc67ELc67ELc76ELb0ELb0EdPKdS1_PdEviT_T9_T10_S3_lS5_S3_lS4_T11_S3_li.uses_vcc, 1
	.set _ZL29rocblas_internal_gemmt_kernelIlLi16ELi32ELi8ELc67ELc67ELc76ELb0ELb0EdPKdS1_PdEviT_T9_T10_S3_lS5_S3_lS4_T11_S3_li.uses_flat_scratch, 0
	.set _ZL29rocblas_internal_gemmt_kernelIlLi16ELi32ELi8ELc67ELc67ELc76ELb0ELb0EdPKdS1_PdEviT_T9_T10_S3_lS5_S3_lS4_T11_S3_li.has_dyn_sized_stack, 0
	.set _ZL29rocblas_internal_gemmt_kernelIlLi16ELi32ELi8ELc67ELc67ELc76ELb0ELb0EdPKdS1_PdEviT_T9_T10_S3_lS5_S3_lS4_T11_S3_li.has_recursion, 0
	.set _ZL29rocblas_internal_gemmt_kernelIlLi16ELi32ELi8ELc67ELc67ELc76ELb0ELb0EdPKdS1_PdEviT_T9_T10_S3_lS5_S3_lS4_T11_S3_li.has_indirect_call, 0
	.section	.AMDGPU.csdata,"",@progbits
; Kernel info:
; codeLenInByte = 1584
; TotalNumSgprs: 38
; NumVgprs: 52
; ScratchSize: 0
; MemoryBound: 0
; FloatMode: 240
; IeeeMode: 1
; LDSByteSize: 4096 bytes/workgroup (compile time only)
; SGPRBlocks: 0
; VGPRBlocks: 3
; NumSGPRsForWavesPerEU: 38
; NumVGPRsForWavesPerEU: 52
; NamedBarCnt: 0
; Occupancy: 16
; WaveLimiterHint : 0
; COMPUTE_PGM_RSRC2:SCRATCH_EN: 0
; COMPUTE_PGM_RSRC2:USER_SGPR: 2
; COMPUTE_PGM_RSRC2:TRAP_HANDLER: 0
; COMPUTE_PGM_RSRC2:TGID_X_EN: 1
; COMPUTE_PGM_RSRC2:TGID_Y_EN: 1
; COMPUTE_PGM_RSRC2:TGID_Z_EN: 1
; COMPUTE_PGM_RSRC2:TIDIG_COMP_CNT: 1
	.section	.text._ZL29rocblas_internal_gemmt_kernelIlLi16ELi32ELi8ELc78ELc78ELc85ELb0ELb0EddPKdPdEviT_T9_T10_S3_lS5_S3_lS4_T11_S3_li,"axG",@progbits,_ZL29rocblas_internal_gemmt_kernelIlLi16ELi32ELi8ELc78ELc78ELc85ELb0ELb0EddPKdPdEviT_T9_T10_S3_lS5_S3_lS4_T11_S3_li,comdat
	.globl	_ZL29rocblas_internal_gemmt_kernelIlLi16ELi32ELi8ELc78ELc78ELc85ELb0ELb0EddPKdPdEviT_T9_T10_S3_lS5_S3_lS4_T11_S3_li ; -- Begin function _ZL29rocblas_internal_gemmt_kernelIlLi16ELi32ELi8ELc78ELc78ELc85ELb0ELb0EddPKdPdEviT_T9_T10_S3_lS5_S3_lS4_T11_S3_li
	.p2align	8
	.type	_ZL29rocblas_internal_gemmt_kernelIlLi16ELi32ELi8ELc78ELc78ELc85ELb0ELb0EddPKdPdEviT_T9_T10_S3_lS5_S3_lS4_T11_S3_li,@function
_ZL29rocblas_internal_gemmt_kernelIlLi16ELi32ELi8ELc78ELc78ELc85ELb0ELb0EddPKdPdEviT_T9_T10_S3_lS5_S3_lS4_T11_S3_li: ; @_ZL29rocblas_internal_gemmt_kernelIlLi16ELi32ELi8ELc78ELc78ELc85ELb0ELb0EddPKdPdEviT_T9_T10_S3_lS5_S3_lS4_T11_S3_li
; %bb.0:
	s_clause 0x1
	s_load_b256 s[24:31], s[0:1], 0x48
	s_load_b512 s[8:23], s[0:1], 0x8
	s_wait_kmcnt 0x0
	v_cmp_neq_f64_e64 s2, s[24:25], 1.0
	s_and_b32 vcc_lo, exec_lo, s2
	s_cbranch_vccnz .LBB198_2
; %bb.1:
	v_cmp_neq_f64_e64 s2, s[10:11], 0
	s_cmp_lg_u64 s[8:9], 0
	s_cselect_b32 s3, -1, 0
	s_delay_alu instid0(SALU_CYCLE_1)
	s_and_b32 s2, s3, s2
.LBB198_2:
	s_delay_alu instid0(SALU_CYCLE_1)
	s_and_not1_b32 vcc_lo, exec_lo, s2
	s_cbranch_vccnz .LBB198_35
; %bb.3:
	s_load_b32 s33, s[0:1], 0x68
	s_bfe_u32 s2, ttmp6, 0x40014
	s_lshr_b32 s3, ttmp7, 16
	s_add_co_i32 s2, s2, 1
	s_bfe_u32 s5, ttmp6, 0x40008
	s_mul_i32 s4, s3, s2
	s_getreg_b32 s2, hwreg(HW_REG_IB_STS2, 6, 4)
	s_add_co_i32 s5, s5, s4
	s_cmp_eq_u32 s2, 0
	s_mov_b32 s7, 0
	s_cselect_b32 s6, s3, s5
	s_wait_kmcnt 0x0
	s_cmp_ge_u32 s6, s33
	s_cbranch_scc1 .LBB198_35
; %bb.4:
	s_bfe_u32 s3, ttmp6, 0x4000c
	s_bfe_u32 s5, ttmp6, 0x40010
	v_and_b32_e32 v6, 0x3ff, v0
	v_bfe_u32 v7, v0, 10, 10
	s_add_co_i32 s3, s3, 1
	s_and_b32 s34, ttmp7, 0xffff
	s_add_co_i32 s5, s5, 1
	s_and_b32 s4, ttmp6, 15
	s_mul_i32 s3, ttmp9, s3
	s_mul_i32 s5, s34, s5
	s_bfe_u32 s35, ttmp6, 0x40004
	v_lshl_add_u32 v8, v7, 4, v6
	s_add_co_i32 s4, s4, s3
	s_add_co_i32 s35, s35, s5
	s_cmp_eq_u32 s2, 0
	v_lshl_add_u32 v9, v7, 6, 0x800
	s_cselect_b32 s2, s34, s35
	s_cselect_b32 s3, ttmp9, s4
	s_lshl_b32 s2, s2, 5
	s_delay_alu instid0(SALU_CYCLE_1)
	v_dual_lshrrev_b32 v10, 3, v8 :: v_dual_add_nc_u32 v14, s2, v7
	v_and_b32_e32 v0, 7, v0
	s_load_b32 s4, s[0:1], 0x0
	s_wait_xcnt 0x0
	s_lshl_b32 s0, s3, 5
	v_add_nc_u32_e32 v12, s2, v10
	v_dual_add_nc_u32 v16, 16, v14 :: v_dual_ashrrev_i32 v15, 31, v14
	v_dual_lshlrev_b32 v11, 3, v0 :: v_dual_lshlrev_b32 v1, 3, v6
	s_delay_alu instid0(VALU_DEP_3) | instskip(NEXT) | instid1(VALU_DEP_3)
	v_ashrrev_i32_e32 v13, 31, v12
	v_ashrrev_i32_e32 v17, 31, v16
	s_delay_alu instid0(VALU_DEP_4)
	v_mul_u64_e32 v[2:3], s[28:29], v[14:15]
	v_add_nc_u32_e32 v6, s0, v6
	v_lshl_or_b32 v11, v10, 6, v11
	v_mul_u64_e32 v[18:19], s[20:21], v[12:13]
	v_cmp_neq_f64_e64 s21, s[10:11], 0
	v_cmp_neq_f64_e64 s20, s[24:25], 0
	v_mul_u64_e32 v[4:5], s[28:29], v[16:17]
	v_dual_lshrrev_b32 v8, 5, v8 :: v_dual_bitop2_b32 v13, 31, v8 bitop3:0x40
	v_cmp_le_i32_e32 vcc_lo, v6, v14
	v_cmp_gt_i64_e64 s34, s[8:9], 0
	s_wait_kmcnt 0x0
	v_cmp_gt_i32_e64 s2, s4, v14
	v_dual_lshlrev_b32 v13, 3, v13 :: v_dual_bitop2_b32 v20, s0, v13 bitop3:0x54
	v_dual_ashrrev_i32 v7, 31, v6 :: v_dual_add_nc_u32 v10, 16, v6
	v_cmp_gt_i32_e64 s1, s4, v12
	s_delay_alu instid0(VALU_DEP_3)
	v_ashrrev_i32_e32 v21, 31, v20
	v_cmp_gt_i32_e64 s0, s4, v20
	v_lshl_or_b32 v34, v8, 8, v13
	v_cmp_le_i32_e64 s3, v10, v14
	v_cmp_gt_i32_e64 s4, s4, v16
	v_lshl_add_u64 v[12:13], v[20:21], 3, s[12:13]
	s_and_b32 s12, s2, vcc_lo
	v_cmp_le_i32_e32 vcc_lo, v6, v16
	v_cmp_le_i32_e64 s5, v10, v16
	v_add_nc_u32_e32 v35, 0x800, v11
	v_dual_ashrrev_i32 v11, 31, v10 :: v_dual_mov_b32 v17, 0
	v_lshl_add_u64 v[14:15], v[18:19], 3, s[18:19]
	s_and_b32 s13, s21, s34
	s_and_b32 s18, s2, s3
	s_and_b32 s19, s4, vcc_lo
	s_and_b32 s4, s4, s5
	s_branch .LBB198_6
.LBB198_5:                              ;   in Loop: Header=BB198_6 Depth=1
	s_wait_xcnt 0x0
	s_or_b32 exec_lo, exec_lo, s2
	s_add_co_i32 s6, s6, 0x10000
	s_delay_alu instid0(SALU_CYCLE_1)
	s_cmp_lt_u32 s6, s33
	s_cbranch_scc0 .LBB198_35
.LBB198_6:                              ; =>This Loop Header: Depth=1
                                        ;     Child Loop BB198_9 Depth 2
	v_mov_b64_e32 v[24:25], 0
	v_mov_b64_e32 v[22:23], 0
	;; [unrolled: 1-line block ×4, first 2 shown]
	s_and_not1_b32 vcc_lo, exec_lo, s13
	s_cbranch_vccnz .LBB198_15
; %bb.7:                                ;   in Loop: Header=BB198_6 Depth=1
	s_mul_u64 s[2:3], s[22:23], s[6:7]
	s_mul_u64 s[28:29], s[16:17], s[6:7]
	v_mov_b64_e32 v[18:19], 0
	v_mov_b64_e32 v[20:21], 0
	;; [unrolled: 1-line block ×4, first 2 shown]
	v_lshl_add_u64 v[26:27], s[28:29], 3, v[12:13]
	v_lshl_add_u64 v[28:29], s[2:3], 3, v[14:15]
	s_mov_b64 s[2:3], 0
	s_branch .LBB198_9
.LBB198_8:                              ;   in Loop: Header=BB198_9 Depth=2
	s_wait_xcnt 0x0
	s_or_b32 exec_lo, exec_lo, s5
	s_wait_loadcnt 0x0
	ds_store_b64 v35, v[32:33]
	s_wait_dscnt 0x0
	s_barrier_signal -1
	s_barrier_wait -1
	ds_load_b128 v[30:33], v9
	ds_load_2addr_b64 v[36:39], v1 offset1:16
	ds_load_b128 v[40:43], v9 offset:1024
	ds_load_b128 v[44:47], v9 offset:16
	;; [unrolled: 1-line block ×3, first 2 shown]
	s_add_nc_u64 s[2:3], s[2:3], 8
	s_delay_alu instid0(SALU_CYCLE_1)
	v_cmp_gt_i64_e64 s5, s[8:9], s[2:3]
	s_and_b32 vcc_lo, exec_lo, s5
	s_wait_dscnt 0x3
	v_fmac_f64_e32 v[24:25], v[36:37], v[30:31]
	v_fmac_f64_e32 v[22:23], v[38:39], v[30:31]
	s_wait_dscnt 0x2
	v_fmac_f64_e32 v[20:21], v[36:37], v[40:41]
	v_fmac_f64_e32 v[18:19], v[38:39], v[40:41]
	ds_load_2addr_b64 v[36:39], v1 offset0:32 offset1:48
	s_wait_dscnt 0x0
	v_fmac_f64_e32 v[24:25], v[36:37], v[32:33]
	v_fmac_f64_e32 v[22:23], v[38:39], v[32:33]
	v_fmac_f64_e32 v[20:21], v[36:37], v[42:43]
	v_fmac_f64_e32 v[18:19], v[38:39], v[42:43]
	ds_load_2addr_b64 v[30:33], v1 offset0:64 offset1:80
	s_wait_dscnt 0x0
	v_fmac_f64_e32 v[24:25], v[30:31], v[44:45]
	v_fmac_f64_e32 v[22:23], v[32:33], v[44:45]
	;; [unrolled: 6-line block ×3, first 2 shown]
	v_fmac_f64_e32 v[20:21], v[30:31], v[50:51]
	v_fmac_f64_e32 v[18:19], v[32:33], v[50:51]
	ds_load_b128 v[30:33], v9 offset:32
	ds_load_2addr_b64 v[36:39], v1 offset0:128 offset1:144
	ds_load_b128 v[40:43], v9 offset:1056
	ds_load_b128 v[44:47], v9 offset:48
	;; [unrolled: 1-line block ×3, first 2 shown]
	s_wait_dscnt 0x3
	v_fmac_f64_e32 v[24:25], v[36:37], v[30:31]
	v_fmac_f64_e32 v[22:23], v[38:39], v[30:31]
	s_wait_dscnt 0x2
	v_fmac_f64_e32 v[20:21], v[36:37], v[40:41]
	v_fmac_f64_e32 v[18:19], v[38:39], v[40:41]
	ds_load_2addr_b64 v[36:39], v1 offset0:160 offset1:176
	s_wait_dscnt 0x0
	v_fmac_f64_e32 v[24:25], v[36:37], v[32:33]
	v_fmac_f64_e32 v[22:23], v[38:39], v[32:33]
	;; [unrolled: 1-line block ×4, first 2 shown]
	ds_load_2addr_b64 v[30:33], v1 offset0:192 offset1:208
	s_wait_dscnt 0x0
	v_fmac_f64_e32 v[24:25], v[30:31], v[44:45]
	v_fmac_f64_e32 v[22:23], v[32:33], v[44:45]
	;; [unrolled: 1-line block ×4, first 2 shown]
	ds_load_2addr_b64 v[30:33], v1 offset0:224 offset1:240
	s_wait_dscnt 0x0
	s_barrier_signal -1
	s_barrier_wait -1
	v_fmac_f64_e32 v[24:25], v[30:31], v[46:47]
	v_fmac_f64_e32 v[22:23], v[32:33], v[46:47]
	;; [unrolled: 1-line block ×4, first 2 shown]
	s_cbranch_vccz .LBB198_15
.LBB198_9:                              ;   Parent Loop BB198_6 Depth=1
                                        ; =>  This Inner Loop Header: Depth=2
	v_mov_b64_e32 v[30:31], 0
	s_and_saveexec_b32 s5, s0
	s_cbranch_execz .LBB198_13
; %bb.10:                               ;   in Loop: Header=BB198_9 Depth=2
	v_mov_b64_e32 v[30:31], 0
	v_add_nc_u32_e32 v16, s2, v8
	s_mov_b32 s21, exec_lo
	s_delay_alu instid0(VALU_DEP_1)
	v_cmpx_gt_u64_e64 s[8:9], v[16:17]
	s_cbranch_execz .LBB198_12
; %bb.11:                               ;   in Loop: Header=BB198_9 Depth=2
	v_mul_u64_e32 v[30:31], s[14:15], v[16:17]
	s_delay_alu instid0(VALU_DEP_1)
	v_lshl_add_u64 v[30:31], v[30:31], 3, v[26:27]
	global_load_b64 v[30:31], v[30:31], off
.LBB198_12:                             ;   in Loop: Header=BB198_9 Depth=2
	s_wait_xcnt 0x0
	s_or_b32 exec_lo, exec_lo, s21
.LBB198_13:                             ;   in Loop: Header=BB198_9 Depth=2
	s_delay_alu instid0(SALU_CYCLE_1)
	s_or_b32 exec_lo, exec_lo, s5
	v_add_nc_u32_e32 v16, s2, v0
	v_mov_b64_e32 v[32:33], 0
	s_wait_loadcnt 0x0
	ds_store_b64 v34, v[30:31]
	v_cmp_gt_u64_e32 vcc_lo, s[8:9], v[16:17]
	s_and_b32 s21, vcc_lo, s1
	s_delay_alu instid0(SALU_CYCLE_1)
	s_and_saveexec_b32 s5, s21
	s_cbranch_execz .LBB198_8
; %bb.14:                               ;   in Loop: Header=BB198_9 Depth=2
	v_lshl_add_u64 v[30:31], v[16:17], 3, v[28:29]
	global_load_b64 v[32:33], v[30:31], off
	s_branch .LBB198_8
.LBB198_15:                             ;   in Loop: Header=BB198_6 Depth=1
	s_mul_u64 s[2:3], s[30:31], s[6:7]
	s_delay_alu instid0(SALU_CYCLE_1) | instskip(NEXT) | instid1(SALU_CYCLE_1)
	s_lshl_b64 s[2:3], s[2:3], 3
	s_add_nc_u64 s[2:3], s[26:27], s[2:3]
	s_delay_alu instid0(SALU_CYCLE_1)
	v_lshl_add_u64 v[26:27], v[2:3], 3, s[2:3]
	s_and_saveexec_b32 s5, s12
	s_cbranch_execz .LBB198_19
; %bb.16:                               ;   in Loop: Header=BB198_6 Depth=1
	v_mul_f64_e32 v[24:25], s[10:11], v[24:25]
	s_delay_alu instid0(VALU_DEP_2)
	v_lshl_add_u64 v[28:29], v[6:7], 3, v[26:27]
	s_and_b32 vcc_lo, exec_lo, s20
	s_cbranch_vccz .LBB198_30
; %bb.17:                               ;   in Loop: Header=BB198_6 Depth=1
	global_load_b64 v[30:31], v[28:29], off
	s_wait_loadcnt 0x0
	v_fma_f64 v[30:31], s[24:25], v[30:31], v[24:25]
	global_store_b64 v[28:29], v[30:31], off
	s_cbranch_execnz .LBB198_19
.LBB198_18:                             ;   in Loop: Header=BB198_6 Depth=1
	global_store_b64 v[28:29], v[24:25], off
.LBB198_19:                             ;   in Loop: Header=BB198_6 Depth=1
	s_wait_xcnt 0x0
	s_or_b32 exec_lo, exec_lo, s5
	s_and_saveexec_b32 s5, s18
	s_cbranch_execz .LBB198_23
; %bb.20:                               ;   in Loop: Header=BB198_6 Depth=1
	s_delay_alu instid0(VALU_DEP_4)
	v_mul_f64_e32 v[22:23], s[10:11], v[22:23]
	v_lshl_add_u64 v[24:25], v[10:11], 3, v[26:27]
	s_and_not1_b32 vcc_lo, exec_lo, s20
	s_cbranch_vccnz .LBB198_31
; %bb.21:                               ;   in Loop: Header=BB198_6 Depth=1
	global_load_b64 v[26:27], v[24:25], off
	s_wait_loadcnt 0x0
	v_fma_f64 v[26:27], s[24:25], v[26:27], v[22:23]
	global_store_b64 v[24:25], v[26:27], off
	s_cbranch_execnz .LBB198_23
.LBB198_22:                             ;   in Loop: Header=BB198_6 Depth=1
	global_store_b64 v[24:25], v[22:23], off
.LBB198_23:                             ;   in Loop: Header=BB198_6 Depth=1
	s_wait_xcnt 0x0
	s_or_b32 exec_lo, exec_lo, s5
	v_lshl_add_u64 v[22:23], v[4:5], 3, s[2:3]
	s_and_saveexec_b32 s2, s19
	s_cbranch_execz .LBB198_27
; %bb.24:                               ;   in Loop: Header=BB198_6 Depth=1
	s_delay_alu instid0(VALU_DEP_4) | instskip(NEXT) | instid1(VALU_DEP_2)
	v_mul_f64_e32 v[20:21], s[10:11], v[20:21]
	v_lshl_add_u64 v[24:25], v[6:7], 3, v[22:23]
	s_and_not1_b32 vcc_lo, exec_lo, s20
	s_cbranch_vccnz .LBB198_32
; %bb.25:                               ;   in Loop: Header=BB198_6 Depth=1
	global_load_b64 v[26:27], v[24:25], off
	s_wait_loadcnt 0x0
	v_fma_f64 v[26:27], s[24:25], v[26:27], v[20:21]
	global_store_b64 v[24:25], v[26:27], off
	s_cbranch_execnz .LBB198_27
.LBB198_26:                             ;   in Loop: Header=BB198_6 Depth=1
	global_store_b64 v[24:25], v[20:21], off
.LBB198_27:                             ;   in Loop: Header=BB198_6 Depth=1
	s_wait_xcnt 0x0
	s_or_b32 exec_lo, exec_lo, s2
	s_and_saveexec_b32 s2, s4
	s_cbranch_execz .LBB198_5
; %bb.28:                               ;   in Loop: Header=BB198_6 Depth=1
	s_delay_alu instid0(VALU_DEP_3)
	v_mul_f64_e32 v[18:19], s[10:11], v[18:19]
	v_lshl_add_u64 v[20:21], v[10:11], 3, v[22:23]
	s_and_not1_b32 vcc_lo, exec_lo, s20
	s_cbranch_vccnz .LBB198_33
; %bb.29:                               ;   in Loop: Header=BB198_6 Depth=1
	global_load_b64 v[22:23], v[20:21], off
	s_wait_loadcnt 0x0
	v_fma_f64 v[22:23], s[24:25], v[22:23], v[18:19]
	global_store_b64 v[20:21], v[22:23], off
	s_cbranch_execnz .LBB198_5
	s_branch .LBB198_34
.LBB198_30:                             ;   in Loop: Header=BB198_6 Depth=1
	s_branch .LBB198_18
.LBB198_31:                             ;   in Loop: Header=BB198_6 Depth=1
	s_branch .LBB198_22
.LBB198_32:                             ;   in Loop: Header=BB198_6 Depth=1
	s_branch .LBB198_26
.LBB198_33:                             ;   in Loop: Header=BB198_6 Depth=1
.LBB198_34:                             ;   in Loop: Header=BB198_6 Depth=1
	global_store_b64 v[20:21], v[18:19], off
	s_branch .LBB198_5
.LBB198_35:
	s_endpgm
	.section	.rodata,"a",@progbits
	.p2align	6, 0x0
	.amdhsa_kernel _ZL29rocblas_internal_gemmt_kernelIlLi16ELi32ELi8ELc78ELc78ELc85ELb0ELb0EddPKdPdEviT_T9_T10_S3_lS5_S3_lS4_T11_S3_li
		.amdhsa_group_segment_fixed_size 4096
		.amdhsa_private_segment_fixed_size 0
		.amdhsa_kernarg_size 108
		.amdhsa_user_sgpr_count 2
		.amdhsa_user_sgpr_dispatch_ptr 0
		.amdhsa_user_sgpr_queue_ptr 0
		.amdhsa_user_sgpr_kernarg_segment_ptr 1
		.amdhsa_user_sgpr_dispatch_id 0
		.amdhsa_user_sgpr_kernarg_preload_length 0
		.amdhsa_user_sgpr_kernarg_preload_offset 0
		.amdhsa_user_sgpr_private_segment_size 0
		.amdhsa_wavefront_size32 1
		.amdhsa_uses_dynamic_stack 0
		.amdhsa_enable_private_segment 0
		.amdhsa_system_sgpr_workgroup_id_x 1
		.amdhsa_system_sgpr_workgroup_id_y 1
		.amdhsa_system_sgpr_workgroup_id_z 1
		.amdhsa_system_sgpr_workgroup_info 0
		.amdhsa_system_vgpr_workitem_id 1
		.amdhsa_next_free_vgpr 52
		.amdhsa_next_free_sgpr 36
		.amdhsa_named_barrier_count 0
		.amdhsa_reserve_vcc 1
		.amdhsa_float_round_mode_32 0
		.amdhsa_float_round_mode_16_64 0
		.amdhsa_float_denorm_mode_32 3
		.amdhsa_float_denorm_mode_16_64 3
		.amdhsa_fp16_overflow 0
		.amdhsa_memory_ordered 1
		.amdhsa_forward_progress 1
		.amdhsa_inst_pref_size 13
		.amdhsa_round_robin_scheduling 0
		.amdhsa_exception_fp_ieee_invalid_op 0
		.amdhsa_exception_fp_denorm_src 0
		.amdhsa_exception_fp_ieee_div_zero 0
		.amdhsa_exception_fp_ieee_overflow 0
		.amdhsa_exception_fp_ieee_underflow 0
		.amdhsa_exception_fp_ieee_inexact 0
		.amdhsa_exception_int_div_zero 0
	.end_amdhsa_kernel
	.section	.text._ZL29rocblas_internal_gemmt_kernelIlLi16ELi32ELi8ELc78ELc78ELc85ELb0ELb0EddPKdPdEviT_T9_T10_S3_lS5_S3_lS4_T11_S3_li,"axG",@progbits,_ZL29rocblas_internal_gemmt_kernelIlLi16ELi32ELi8ELc78ELc78ELc85ELb0ELb0EddPKdPdEviT_T9_T10_S3_lS5_S3_lS4_T11_S3_li,comdat
.Lfunc_end198:
	.size	_ZL29rocblas_internal_gemmt_kernelIlLi16ELi32ELi8ELc78ELc78ELc85ELb0ELb0EddPKdPdEviT_T9_T10_S3_lS5_S3_lS4_T11_S3_li, .Lfunc_end198-_ZL29rocblas_internal_gemmt_kernelIlLi16ELi32ELi8ELc78ELc78ELc85ELb0ELb0EddPKdPdEviT_T9_T10_S3_lS5_S3_lS4_T11_S3_li
                                        ; -- End function
	.set _ZL29rocblas_internal_gemmt_kernelIlLi16ELi32ELi8ELc78ELc78ELc85ELb0ELb0EddPKdPdEviT_T9_T10_S3_lS5_S3_lS4_T11_S3_li.num_vgpr, 52
	.set _ZL29rocblas_internal_gemmt_kernelIlLi16ELi32ELi8ELc78ELc78ELc85ELb0ELb0EddPKdPdEviT_T9_T10_S3_lS5_S3_lS4_T11_S3_li.num_agpr, 0
	.set _ZL29rocblas_internal_gemmt_kernelIlLi16ELi32ELi8ELc78ELc78ELc85ELb0ELb0EddPKdPdEviT_T9_T10_S3_lS5_S3_lS4_T11_S3_li.numbered_sgpr, 36
	.set _ZL29rocblas_internal_gemmt_kernelIlLi16ELi32ELi8ELc78ELc78ELc85ELb0ELb0EddPKdPdEviT_T9_T10_S3_lS5_S3_lS4_T11_S3_li.num_named_barrier, 0
	.set _ZL29rocblas_internal_gemmt_kernelIlLi16ELi32ELi8ELc78ELc78ELc85ELb0ELb0EddPKdPdEviT_T9_T10_S3_lS5_S3_lS4_T11_S3_li.private_seg_size, 0
	.set _ZL29rocblas_internal_gemmt_kernelIlLi16ELi32ELi8ELc78ELc78ELc85ELb0ELb0EddPKdPdEviT_T9_T10_S3_lS5_S3_lS4_T11_S3_li.uses_vcc, 1
	.set _ZL29rocblas_internal_gemmt_kernelIlLi16ELi32ELi8ELc78ELc78ELc85ELb0ELb0EddPKdPdEviT_T9_T10_S3_lS5_S3_lS4_T11_S3_li.uses_flat_scratch, 0
	.set _ZL29rocblas_internal_gemmt_kernelIlLi16ELi32ELi8ELc78ELc78ELc85ELb0ELb0EddPKdPdEviT_T9_T10_S3_lS5_S3_lS4_T11_S3_li.has_dyn_sized_stack, 0
	.set _ZL29rocblas_internal_gemmt_kernelIlLi16ELi32ELi8ELc78ELc78ELc85ELb0ELb0EddPKdPdEviT_T9_T10_S3_lS5_S3_lS4_T11_S3_li.has_recursion, 0
	.set _ZL29rocblas_internal_gemmt_kernelIlLi16ELi32ELi8ELc78ELc78ELc85ELb0ELb0EddPKdPdEviT_T9_T10_S3_lS5_S3_lS4_T11_S3_li.has_indirect_call, 0
	.section	.AMDGPU.csdata,"",@progbits
; Kernel info:
; codeLenInByte = 1584
; TotalNumSgprs: 38
; NumVgprs: 52
; ScratchSize: 0
; MemoryBound: 0
; FloatMode: 240
; IeeeMode: 1
; LDSByteSize: 4096 bytes/workgroup (compile time only)
; SGPRBlocks: 0
; VGPRBlocks: 3
; NumSGPRsForWavesPerEU: 38
; NumVGPRsForWavesPerEU: 52
; NamedBarCnt: 0
; Occupancy: 16
; WaveLimiterHint : 0
; COMPUTE_PGM_RSRC2:SCRATCH_EN: 0
; COMPUTE_PGM_RSRC2:USER_SGPR: 2
; COMPUTE_PGM_RSRC2:TRAP_HANDLER: 0
; COMPUTE_PGM_RSRC2:TGID_X_EN: 1
; COMPUTE_PGM_RSRC2:TGID_Y_EN: 1
; COMPUTE_PGM_RSRC2:TGID_Z_EN: 1
; COMPUTE_PGM_RSRC2:TIDIG_COMP_CNT: 1
	.section	.text._ZL29rocblas_internal_gemmt_kernelIlLi16ELi32ELi8ELc78ELc84ELc85ELb0ELb0EddPKdPdEviT_T9_T10_S3_lS5_S3_lS4_T11_S3_li,"axG",@progbits,_ZL29rocblas_internal_gemmt_kernelIlLi16ELi32ELi8ELc78ELc84ELc85ELb0ELb0EddPKdPdEviT_T9_T10_S3_lS5_S3_lS4_T11_S3_li,comdat
	.globl	_ZL29rocblas_internal_gemmt_kernelIlLi16ELi32ELi8ELc78ELc84ELc85ELb0ELb0EddPKdPdEviT_T9_T10_S3_lS5_S3_lS4_T11_S3_li ; -- Begin function _ZL29rocblas_internal_gemmt_kernelIlLi16ELi32ELi8ELc78ELc84ELc85ELb0ELb0EddPKdPdEviT_T9_T10_S3_lS5_S3_lS4_T11_S3_li
	.p2align	8
	.type	_ZL29rocblas_internal_gemmt_kernelIlLi16ELi32ELi8ELc78ELc84ELc85ELb0ELb0EddPKdPdEviT_T9_T10_S3_lS5_S3_lS4_T11_S3_li,@function
_ZL29rocblas_internal_gemmt_kernelIlLi16ELi32ELi8ELc78ELc84ELc85ELb0ELb0EddPKdPdEviT_T9_T10_S3_lS5_S3_lS4_T11_S3_li: ; @_ZL29rocblas_internal_gemmt_kernelIlLi16ELi32ELi8ELc78ELc84ELc85ELb0ELb0EddPKdPdEviT_T9_T10_S3_lS5_S3_lS4_T11_S3_li
; %bb.0:
	s_clause 0x1
	s_load_b256 s[24:31], s[0:1], 0x48
	s_load_b512 s[8:23], s[0:1], 0x8
	s_wait_kmcnt 0x0
	v_cmp_neq_f64_e64 s2, s[24:25], 1.0
	s_and_b32 vcc_lo, exec_lo, s2
	s_cbranch_vccnz .LBB199_2
; %bb.1:
	v_cmp_neq_f64_e64 s2, s[10:11], 0
	s_cmp_lg_u64 s[8:9], 0
	s_cselect_b32 s3, -1, 0
	s_delay_alu instid0(SALU_CYCLE_1)
	s_and_b32 s2, s3, s2
.LBB199_2:
	s_delay_alu instid0(SALU_CYCLE_1)
	s_and_not1_b32 vcc_lo, exec_lo, s2
	s_cbranch_vccnz .LBB199_35
; %bb.3:
	s_load_b32 s33, s[0:1], 0x68
	s_bfe_u32 s2, ttmp6, 0x40014
	s_lshr_b32 s3, ttmp7, 16
	s_add_co_i32 s2, s2, 1
	s_bfe_u32 s5, ttmp6, 0x40008
	s_mul_i32 s4, s3, s2
	s_getreg_b32 s2, hwreg(HW_REG_IB_STS2, 6, 4)
	s_add_co_i32 s5, s5, s4
	s_cmp_eq_u32 s2, 0
	s_mov_b32 s7, 0
	s_cselect_b32 s6, s3, s5
	s_wait_kmcnt 0x0
	s_cmp_ge_u32 s6, s33
	s_cbranch_scc1 .LBB199_35
; %bb.4:
	s_bfe_u32 s3, ttmp6, 0x4000c
	s_bfe_u32 s5, ttmp6, 0x40010
	s_add_co_i32 s3, s3, 1
	s_and_b32 s34, ttmp7, 0xffff
	s_add_co_i32 s5, s5, 1
	s_and_b32 s4, ttmp6, 15
	s_mul_i32 s3, ttmp9, s3
	s_mul_i32 s5, s34, s5
	s_bfe_u32 s35, ttmp6, 0x40004
	s_add_co_i32 s4, s4, s3
	s_add_co_i32 s35, s35, s5
	s_cmp_eq_u32 s2, 0
	v_and_b32_e32 v11, 0x3ff, v0
	v_bfe_u32 v15, v0, 10, 10
	s_cselect_b32 s2, s34, s35
	s_cselect_b32 s3, ttmp9, s4
	s_lshl_b32 s2, s2, 5
	s_load_b32 s4, s[0:1], 0x0
	v_lshl_add_u32 v1, v15, 4, v11
	v_add_nc_u32_e32 v16, s2, v15
	s_wait_xcnt 0x0
	s_lshl_b32 s1, s3, 5
	v_cmp_neq_f64_e64 s35, s[10:11], 0
	v_dual_lshrrev_b32 v10, 3, v1 :: v_dual_bitop2_b32 v0, 7, v0 bitop3:0x40
	v_dual_lshrrev_b32 v2, 5, v1 :: v_dual_bitop2_b32 v3, 31, v1 bitop3:0x40
	v_dual_add_nc_u32 v18, 16, v16 :: v_dual_ashrrev_i32 v17, 31, v16
	v_cmp_neq_f64_e64 s34, s[24:25], 0
	s_delay_alu instid0(VALU_DEP_3) | instskip(NEXT) | instid1(VALU_DEP_3)
	v_dual_add_nc_u32 v12, s2, v10 :: v_dual_bitop2_b32 v8, s1, v3 bitop3:0x54
	v_dual_ashrrev_i32 v19, 31, v18 :: v_dual_lshlrev_b32 v1, 3, v3
	s_delay_alu instid0(VALU_DEP_4) | instskip(SKIP_1) | instid1(VALU_DEP_4)
	v_mul_u64_e32 v[4:5], s[28:29], v[16:17]
	v_lshlrev_b32_e32 v3, 3, v0
	v_ashrrev_i32_e32 v9, 31, v8
	s_delay_alu instid0(VALU_DEP_4)
	v_mul_u64_e32 v[6:7], s[28:29], v[18:19]
	s_wait_kmcnt 0x0
	v_cmp_gt_i32_e32 vcc_lo, s4, v16
	v_cmp_gt_i64_e64 s28, s[8:9], 0
	v_lshl_or_b32 v3, v10, 6, v3
	v_dual_add_nc_u32 v10, s1, v11 :: v_dual_ashrrev_i32 v13, 31, v12
	v_cmp_gt_i32_e64 s0, s4, v8
	v_lshl_add_u64 v[8:9], v[8:9], 3, s[12:13]
	v_cmp_gt_i32_e64 s1, s4, v12
	s_delay_alu instid0(VALU_DEP_4)
	v_cmp_le_i32_e64 s2, v10, v16
	v_add_nc_u32_e32 v14, 16, v10
	v_cmp_gt_i32_e64 s3, s4, v18
	v_cmp_le_i32_e64 s4, v10, v18
	v_lshl_or_b32 v1, v2, 8, v1
	s_and_b32 s12, vcc_lo, s2
	v_cmp_le_i32_e64 s2, v14, v16
	v_cmp_le_i32_e64 s5, v14, v18
	v_add_nc_u32_e32 v3, 0x800, v3
	v_lshl_add_u64 v[12:13], v[12:13], 3, s[18:19]
	v_dual_lshlrev_b32 v34, 3, v11 :: v_dual_ashrrev_i32 v11, 31, v10
	v_lshl_add_u32 v35, v15, 6, 0x800
	v_dual_ashrrev_i32 v15, 31, v14 :: v_dual_mov_b32 v17, 0
	s_and_b32 s13, s35, s28
	s_and_b32 s18, vcc_lo, s2
	s_and_b32 s4, s3, s4
	s_and_b32 s5, s3, s5
	s_branch .LBB199_6
.LBB199_5:                              ;   in Loop: Header=BB199_6 Depth=1
	s_wait_xcnt 0x0
	s_or_b32 exec_lo, exec_lo, s2
	s_add_co_i32 s6, s6, 0x10000
	s_delay_alu instid0(SALU_CYCLE_1)
	s_cmp_lt_u32 s6, s33
	s_cbranch_scc0 .LBB199_35
.LBB199_6:                              ; =>This Loop Header: Depth=1
                                        ;     Child Loop BB199_9 Depth 2
	v_mov_b64_e32 v[24:25], 0
	v_mov_b64_e32 v[22:23], 0
	;; [unrolled: 1-line block ×4, first 2 shown]
	s_and_not1_b32 vcc_lo, exec_lo, s13
	s_cbranch_vccnz .LBB199_15
; %bb.7:                                ;   in Loop: Header=BB199_6 Depth=1
	s_mul_u64 s[2:3], s[22:23], s[6:7]
	s_mul_u64 s[28:29], s[16:17], s[6:7]
	v_mov_b64_e32 v[18:19], 0
	v_mov_b64_e32 v[20:21], 0
	;; [unrolled: 1-line block ×4, first 2 shown]
	v_lshl_add_u64 v[26:27], s[28:29], 3, v[8:9]
	v_lshl_add_u64 v[28:29], s[2:3], 3, v[12:13]
	s_mov_b64 s[2:3], 0
	s_branch .LBB199_9
.LBB199_8:                              ;   in Loop: Header=BB199_9 Depth=2
	s_wait_xcnt 0x0
	s_or_b32 exec_lo, exec_lo, s19
	s_wait_loadcnt 0x0
	ds_store_b64 v3, v[32:33]
	s_wait_dscnt 0x0
	s_barrier_signal -1
	s_barrier_wait -1
	ds_load_b128 v[30:33], v35
	ds_load_2addr_b64 v[36:39], v34 offset1:16
	ds_load_b128 v[40:43], v35 offset:1024
	ds_load_b128 v[44:47], v35 offset:16
	;; [unrolled: 1-line block ×3, first 2 shown]
	s_add_nc_u64 s[2:3], s[2:3], 8
	s_delay_alu instid0(SALU_CYCLE_1)
	v_cmp_gt_i64_e64 s19, s[8:9], s[2:3]
	s_and_b32 vcc_lo, exec_lo, s19
	s_wait_dscnt 0x3
	v_fmac_f64_e32 v[24:25], v[36:37], v[30:31]
	v_fmac_f64_e32 v[22:23], v[38:39], v[30:31]
	s_wait_dscnt 0x2
	v_fmac_f64_e32 v[20:21], v[36:37], v[40:41]
	v_fmac_f64_e32 v[18:19], v[38:39], v[40:41]
	ds_load_2addr_b64 v[36:39], v34 offset0:32 offset1:48
	s_wait_dscnt 0x0
	v_fmac_f64_e32 v[24:25], v[36:37], v[32:33]
	v_fmac_f64_e32 v[22:23], v[38:39], v[32:33]
	v_fmac_f64_e32 v[20:21], v[36:37], v[42:43]
	v_fmac_f64_e32 v[18:19], v[38:39], v[42:43]
	ds_load_2addr_b64 v[30:33], v34 offset0:64 offset1:80
	s_wait_dscnt 0x0
	v_fmac_f64_e32 v[24:25], v[30:31], v[44:45]
	v_fmac_f64_e32 v[22:23], v[32:33], v[44:45]
	;; [unrolled: 6-line block ×3, first 2 shown]
	v_fmac_f64_e32 v[20:21], v[30:31], v[50:51]
	v_fmac_f64_e32 v[18:19], v[32:33], v[50:51]
	ds_load_b128 v[30:33], v35 offset:32
	ds_load_2addr_b64 v[36:39], v34 offset0:128 offset1:144
	ds_load_b128 v[40:43], v35 offset:1056
	ds_load_b128 v[44:47], v35 offset:48
	;; [unrolled: 1-line block ×3, first 2 shown]
	s_wait_dscnt 0x3
	v_fmac_f64_e32 v[24:25], v[36:37], v[30:31]
	v_fmac_f64_e32 v[22:23], v[38:39], v[30:31]
	s_wait_dscnt 0x2
	v_fmac_f64_e32 v[20:21], v[36:37], v[40:41]
	v_fmac_f64_e32 v[18:19], v[38:39], v[40:41]
	ds_load_2addr_b64 v[36:39], v34 offset0:160 offset1:176
	s_wait_dscnt 0x0
	v_fmac_f64_e32 v[24:25], v[36:37], v[32:33]
	v_fmac_f64_e32 v[22:23], v[38:39], v[32:33]
	;; [unrolled: 1-line block ×4, first 2 shown]
	ds_load_2addr_b64 v[30:33], v34 offset0:192 offset1:208
	s_wait_dscnt 0x0
	v_fmac_f64_e32 v[24:25], v[30:31], v[44:45]
	v_fmac_f64_e32 v[22:23], v[32:33], v[44:45]
	;; [unrolled: 1-line block ×4, first 2 shown]
	ds_load_2addr_b64 v[30:33], v34 offset0:224 offset1:240
	s_wait_dscnt 0x0
	s_barrier_signal -1
	s_barrier_wait -1
	v_fmac_f64_e32 v[24:25], v[30:31], v[46:47]
	v_fmac_f64_e32 v[22:23], v[32:33], v[46:47]
	;; [unrolled: 1-line block ×4, first 2 shown]
	s_cbranch_vccz .LBB199_15
.LBB199_9:                              ;   Parent Loop BB199_6 Depth=1
                                        ; =>  This Inner Loop Header: Depth=2
	v_mov_b64_e32 v[30:31], 0
	s_and_saveexec_b32 s19, s0
	s_cbranch_execz .LBB199_13
; %bb.10:                               ;   in Loop: Header=BB199_9 Depth=2
	v_mov_b64_e32 v[30:31], 0
	v_add_nc_u32_e32 v16, s2, v2
	s_mov_b32 s28, exec_lo
	s_delay_alu instid0(VALU_DEP_1)
	v_cmpx_gt_u64_e64 s[8:9], v[16:17]
	s_cbranch_execz .LBB199_12
; %bb.11:                               ;   in Loop: Header=BB199_9 Depth=2
	v_mul_u64_e32 v[30:31], s[14:15], v[16:17]
	s_delay_alu instid0(VALU_DEP_1)
	v_lshl_add_u64 v[30:31], v[30:31], 3, v[26:27]
	global_load_b64 v[30:31], v[30:31], off
.LBB199_12:                             ;   in Loop: Header=BB199_9 Depth=2
	s_wait_xcnt 0x0
	s_or_b32 exec_lo, exec_lo, s28
.LBB199_13:                             ;   in Loop: Header=BB199_9 Depth=2
	s_delay_alu instid0(SALU_CYCLE_1)
	s_or_b32 exec_lo, exec_lo, s19
	v_add_nc_u32_e32 v16, s2, v0
	v_mov_b64_e32 v[32:33], 0
	s_wait_loadcnt 0x0
	ds_store_b64 v1, v[30:31]
	v_cmp_gt_u64_e32 vcc_lo, s[8:9], v[16:17]
	s_and_b32 s28, vcc_lo, s1
	s_delay_alu instid0(SALU_CYCLE_1)
	s_and_saveexec_b32 s19, s28
	s_cbranch_execz .LBB199_8
; %bb.14:                               ;   in Loop: Header=BB199_9 Depth=2
	v_mul_u64_e32 v[30:31], s[20:21], v[16:17]
	s_delay_alu instid0(VALU_DEP_1)
	v_lshl_add_u64 v[30:31], v[30:31], 3, v[28:29]
	global_load_b64 v[32:33], v[30:31], off
	s_branch .LBB199_8
.LBB199_15:                             ;   in Loop: Header=BB199_6 Depth=1
	s_mul_u64 s[2:3], s[30:31], s[6:7]
	s_delay_alu instid0(SALU_CYCLE_1) | instskip(NEXT) | instid1(SALU_CYCLE_1)
	s_lshl_b64 s[2:3], s[2:3], 3
	s_add_nc_u64 s[2:3], s[26:27], s[2:3]
	s_delay_alu instid0(SALU_CYCLE_1)
	v_lshl_add_u64 v[26:27], v[4:5], 3, s[2:3]
	s_and_saveexec_b32 s19, s12
	s_cbranch_execz .LBB199_19
; %bb.16:                               ;   in Loop: Header=BB199_6 Depth=1
	v_mul_f64_e32 v[24:25], s[10:11], v[24:25]
	s_delay_alu instid0(VALU_DEP_2)
	v_lshl_add_u64 v[28:29], v[10:11], 3, v[26:27]
	s_and_b32 vcc_lo, exec_lo, s34
	s_cbranch_vccz .LBB199_30
; %bb.17:                               ;   in Loop: Header=BB199_6 Depth=1
	global_load_b64 v[30:31], v[28:29], off
	s_wait_loadcnt 0x0
	v_fma_f64 v[30:31], s[24:25], v[30:31], v[24:25]
	global_store_b64 v[28:29], v[30:31], off
	s_cbranch_execnz .LBB199_19
.LBB199_18:                             ;   in Loop: Header=BB199_6 Depth=1
	global_store_b64 v[28:29], v[24:25], off
.LBB199_19:                             ;   in Loop: Header=BB199_6 Depth=1
	s_wait_xcnt 0x0
	s_or_b32 exec_lo, exec_lo, s19
	s_and_saveexec_b32 s19, s18
	s_cbranch_execz .LBB199_23
; %bb.20:                               ;   in Loop: Header=BB199_6 Depth=1
	s_delay_alu instid0(VALU_DEP_4)
	v_mul_f64_e32 v[22:23], s[10:11], v[22:23]
	v_lshl_add_u64 v[24:25], v[14:15], 3, v[26:27]
	s_and_not1_b32 vcc_lo, exec_lo, s34
	s_cbranch_vccnz .LBB199_31
; %bb.21:                               ;   in Loop: Header=BB199_6 Depth=1
	global_load_b64 v[26:27], v[24:25], off
	s_wait_loadcnt 0x0
	v_fma_f64 v[26:27], s[24:25], v[26:27], v[22:23]
	global_store_b64 v[24:25], v[26:27], off
	s_cbranch_execnz .LBB199_23
.LBB199_22:                             ;   in Loop: Header=BB199_6 Depth=1
	global_store_b64 v[24:25], v[22:23], off
.LBB199_23:                             ;   in Loop: Header=BB199_6 Depth=1
	s_wait_xcnt 0x0
	s_or_b32 exec_lo, exec_lo, s19
	v_lshl_add_u64 v[22:23], v[6:7], 3, s[2:3]
	s_and_saveexec_b32 s2, s4
	s_cbranch_execz .LBB199_27
; %bb.24:                               ;   in Loop: Header=BB199_6 Depth=1
	s_delay_alu instid0(VALU_DEP_4) | instskip(NEXT) | instid1(VALU_DEP_2)
	v_mul_f64_e32 v[20:21], s[10:11], v[20:21]
	v_lshl_add_u64 v[24:25], v[10:11], 3, v[22:23]
	s_and_not1_b32 vcc_lo, exec_lo, s34
	s_cbranch_vccnz .LBB199_32
; %bb.25:                               ;   in Loop: Header=BB199_6 Depth=1
	global_load_b64 v[26:27], v[24:25], off
	s_wait_loadcnt 0x0
	v_fma_f64 v[26:27], s[24:25], v[26:27], v[20:21]
	global_store_b64 v[24:25], v[26:27], off
	s_cbranch_execnz .LBB199_27
.LBB199_26:                             ;   in Loop: Header=BB199_6 Depth=1
	global_store_b64 v[24:25], v[20:21], off
.LBB199_27:                             ;   in Loop: Header=BB199_6 Depth=1
	s_wait_xcnt 0x0
	s_or_b32 exec_lo, exec_lo, s2
	s_and_saveexec_b32 s2, s5
	s_cbranch_execz .LBB199_5
; %bb.28:                               ;   in Loop: Header=BB199_6 Depth=1
	s_delay_alu instid0(VALU_DEP_3)
	v_mul_f64_e32 v[18:19], s[10:11], v[18:19]
	v_lshl_add_u64 v[20:21], v[14:15], 3, v[22:23]
	s_and_not1_b32 vcc_lo, exec_lo, s34
	s_cbranch_vccnz .LBB199_33
; %bb.29:                               ;   in Loop: Header=BB199_6 Depth=1
	global_load_b64 v[22:23], v[20:21], off
	s_wait_loadcnt 0x0
	v_fma_f64 v[22:23], s[24:25], v[22:23], v[18:19]
	global_store_b64 v[20:21], v[22:23], off
	s_cbranch_execnz .LBB199_5
	s_branch .LBB199_34
.LBB199_30:                             ;   in Loop: Header=BB199_6 Depth=1
	s_branch .LBB199_18
.LBB199_31:                             ;   in Loop: Header=BB199_6 Depth=1
	s_branch .LBB199_22
.LBB199_32:                             ;   in Loop: Header=BB199_6 Depth=1
	s_branch .LBB199_26
.LBB199_33:                             ;   in Loop: Header=BB199_6 Depth=1
.LBB199_34:                             ;   in Loop: Header=BB199_6 Depth=1
	global_store_b64 v[20:21], v[18:19], off
	s_branch .LBB199_5
.LBB199_35:
	s_endpgm
	.section	.rodata,"a",@progbits
	.p2align	6, 0x0
	.amdhsa_kernel _ZL29rocblas_internal_gemmt_kernelIlLi16ELi32ELi8ELc78ELc84ELc85ELb0ELb0EddPKdPdEviT_T9_T10_S3_lS5_S3_lS4_T11_S3_li
		.amdhsa_group_segment_fixed_size 4096
		.amdhsa_private_segment_fixed_size 0
		.amdhsa_kernarg_size 108
		.amdhsa_user_sgpr_count 2
		.amdhsa_user_sgpr_dispatch_ptr 0
		.amdhsa_user_sgpr_queue_ptr 0
		.amdhsa_user_sgpr_kernarg_segment_ptr 1
		.amdhsa_user_sgpr_dispatch_id 0
		.amdhsa_user_sgpr_kernarg_preload_length 0
		.amdhsa_user_sgpr_kernarg_preload_offset 0
		.amdhsa_user_sgpr_private_segment_size 0
		.amdhsa_wavefront_size32 1
		.amdhsa_uses_dynamic_stack 0
		.amdhsa_enable_private_segment 0
		.amdhsa_system_sgpr_workgroup_id_x 1
		.amdhsa_system_sgpr_workgroup_id_y 1
		.amdhsa_system_sgpr_workgroup_id_z 1
		.amdhsa_system_sgpr_workgroup_info 0
		.amdhsa_system_vgpr_workitem_id 1
		.amdhsa_next_free_vgpr 52
		.amdhsa_next_free_sgpr 36
		.amdhsa_named_barrier_count 0
		.amdhsa_reserve_vcc 1
		.amdhsa_float_round_mode_32 0
		.amdhsa_float_round_mode_16_64 0
		.amdhsa_float_denorm_mode_32 3
		.amdhsa_float_denorm_mode_16_64 3
		.amdhsa_fp16_overflow 0
		.amdhsa_memory_ordered 1
		.amdhsa_forward_progress 1
		.amdhsa_inst_pref_size 13
		.amdhsa_round_robin_scheduling 0
		.amdhsa_exception_fp_ieee_invalid_op 0
		.amdhsa_exception_fp_denorm_src 0
		.amdhsa_exception_fp_ieee_div_zero 0
		.amdhsa_exception_fp_ieee_overflow 0
		.amdhsa_exception_fp_ieee_underflow 0
		.amdhsa_exception_fp_ieee_inexact 0
		.amdhsa_exception_int_div_zero 0
	.end_amdhsa_kernel
	.section	.text._ZL29rocblas_internal_gemmt_kernelIlLi16ELi32ELi8ELc78ELc84ELc85ELb0ELb0EddPKdPdEviT_T9_T10_S3_lS5_S3_lS4_T11_S3_li,"axG",@progbits,_ZL29rocblas_internal_gemmt_kernelIlLi16ELi32ELi8ELc78ELc84ELc85ELb0ELb0EddPKdPdEviT_T9_T10_S3_lS5_S3_lS4_T11_S3_li,comdat
.Lfunc_end199:
	.size	_ZL29rocblas_internal_gemmt_kernelIlLi16ELi32ELi8ELc78ELc84ELc85ELb0ELb0EddPKdPdEviT_T9_T10_S3_lS5_S3_lS4_T11_S3_li, .Lfunc_end199-_ZL29rocblas_internal_gemmt_kernelIlLi16ELi32ELi8ELc78ELc84ELc85ELb0ELb0EddPKdPdEviT_T9_T10_S3_lS5_S3_lS4_T11_S3_li
                                        ; -- End function
	.set _ZL29rocblas_internal_gemmt_kernelIlLi16ELi32ELi8ELc78ELc84ELc85ELb0ELb0EddPKdPdEviT_T9_T10_S3_lS5_S3_lS4_T11_S3_li.num_vgpr, 52
	.set _ZL29rocblas_internal_gemmt_kernelIlLi16ELi32ELi8ELc78ELc84ELc85ELb0ELb0EddPKdPdEviT_T9_T10_S3_lS5_S3_lS4_T11_S3_li.num_agpr, 0
	.set _ZL29rocblas_internal_gemmt_kernelIlLi16ELi32ELi8ELc78ELc84ELc85ELb0ELb0EddPKdPdEviT_T9_T10_S3_lS5_S3_lS4_T11_S3_li.numbered_sgpr, 36
	.set _ZL29rocblas_internal_gemmt_kernelIlLi16ELi32ELi8ELc78ELc84ELc85ELb0ELb0EddPKdPdEviT_T9_T10_S3_lS5_S3_lS4_T11_S3_li.num_named_barrier, 0
	.set _ZL29rocblas_internal_gemmt_kernelIlLi16ELi32ELi8ELc78ELc84ELc85ELb0ELb0EddPKdPdEviT_T9_T10_S3_lS5_S3_lS4_T11_S3_li.private_seg_size, 0
	.set _ZL29rocblas_internal_gemmt_kernelIlLi16ELi32ELi8ELc78ELc84ELc85ELb0ELb0EddPKdPdEviT_T9_T10_S3_lS5_S3_lS4_T11_S3_li.uses_vcc, 1
	.set _ZL29rocblas_internal_gemmt_kernelIlLi16ELi32ELi8ELc78ELc84ELc85ELb0ELb0EddPKdPdEviT_T9_T10_S3_lS5_S3_lS4_T11_S3_li.uses_flat_scratch, 0
	.set _ZL29rocblas_internal_gemmt_kernelIlLi16ELi32ELi8ELc78ELc84ELc85ELb0ELb0EddPKdPdEviT_T9_T10_S3_lS5_S3_lS4_T11_S3_li.has_dyn_sized_stack, 0
	.set _ZL29rocblas_internal_gemmt_kernelIlLi16ELi32ELi8ELc78ELc84ELc85ELb0ELb0EddPKdPdEviT_T9_T10_S3_lS5_S3_lS4_T11_S3_li.has_recursion, 0
	.set _ZL29rocblas_internal_gemmt_kernelIlLi16ELi32ELi8ELc78ELc84ELc85ELb0ELb0EddPKdPdEviT_T9_T10_S3_lS5_S3_lS4_T11_S3_li.has_indirect_call, 0
	.section	.AMDGPU.csdata,"",@progbits
; Kernel info:
; codeLenInByte = 1596
; TotalNumSgprs: 38
; NumVgprs: 52
; ScratchSize: 0
; MemoryBound: 0
; FloatMode: 240
; IeeeMode: 1
; LDSByteSize: 4096 bytes/workgroup (compile time only)
; SGPRBlocks: 0
; VGPRBlocks: 3
; NumSGPRsForWavesPerEU: 38
; NumVGPRsForWavesPerEU: 52
; NamedBarCnt: 0
; Occupancy: 16
; WaveLimiterHint : 0
; COMPUTE_PGM_RSRC2:SCRATCH_EN: 0
; COMPUTE_PGM_RSRC2:USER_SGPR: 2
; COMPUTE_PGM_RSRC2:TRAP_HANDLER: 0
; COMPUTE_PGM_RSRC2:TGID_X_EN: 1
; COMPUTE_PGM_RSRC2:TGID_Y_EN: 1
; COMPUTE_PGM_RSRC2:TGID_Z_EN: 1
; COMPUTE_PGM_RSRC2:TIDIG_COMP_CNT: 1
	.section	.text._ZL29rocblas_internal_gemmt_kernelIlLi16ELi32ELi8ELc78ELc67ELc85ELb0ELb0EddPKdPdEviT_T9_T10_S3_lS5_S3_lS4_T11_S3_li,"axG",@progbits,_ZL29rocblas_internal_gemmt_kernelIlLi16ELi32ELi8ELc78ELc67ELc85ELb0ELb0EddPKdPdEviT_T9_T10_S3_lS5_S3_lS4_T11_S3_li,comdat
	.globl	_ZL29rocblas_internal_gemmt_kernelIlLi16ELi32ELi8ELc78ELc67ELc85ELb0ELb0EddPKdPdEviT_T9_T10_S3_lS5_S3_lS4_T11_S3_li ; -- Begin function _ZL29rocblas_internal_gemmt_kernelIlLi16ELi32ELi8ELc78ELc67ELc85ELb0ELb0EddPKdPdEviT_T9_T10_S3_lS5_S3_lS4_T11_S3_li
	.p2align	8
	.type	_ZL29rocblas_internal_gemmt_kernelIlLi16ELi32ELi8ELc78ELc67ELc85ELb0ELb0EddPKdPdEviT_T9_T10_S3_lS5_S3_lS4_T11_S3_li,@function
_ZL29rocblas_internal_gemmt_kernelIlLi16ELi32ELi8ELc78ELc67ELc85ELb0ELb0EddPKdPdEviT_T9_T10_S3_lS5_S3_lS4_T11_S3_li: ; @_ZL29rocblas_internal_gemmt_kernelIlLi16ELi32ELi8ELc78ELc67ELc85ELb0ELb0EddPKdPdEviT_T9_T10_S3_lS5_S3_lS4_T11_S3_li
; %bb.0:
	s_clause 0x1
	s_load_b256 s[24:31], s[0:1], 0x48
	s_load_b512 s[8:23], s[0:1], 0x8
	s_wait_kmcnt 0x0
	v_cmp_neq_f64_e64 s2, s[24:25], 1.0
	s_and_b32 vcc_lo, exec_lo, s2
	s_cbranch_vccnz .LBB200_2
; %bb.1:
	v_cmp_neq_f64_e64 s2, s[10:11], 0
	s_cmp_lg_u64 s[8:9], 0
	s_cselect_b32 s3, -1, 0
	s_delay_alu instid0(SALU_CYCLE_1)
	s_and_b32 s2, s3, s2
.LBB200_2:
	s_delay_alu instid0(SALU_CYCLE_1)
	s_and_not1_b32 vcc_lo, exec_lo, s2
	s_cbranch_vccnz .LBB200_35
; %bb.3:
	s_load_b32 s33, s[0:1], 0x68
	s_bfe_u32 s2, ttmp6, 0x40014
	s_lshr_b32 s3, ttmp7, 16
	s_add_co_i32 s2, s2, 1
	s_bfe_u32 s5, ttmp6, 0x40008
	s_mul_i32 s4, s3, s2
	s_getreg_b32 s2, hwreg(HW_REG_IB_STS2, 6, 4)
	s_add_co_i32 s5, s5, s4
	s_cmp_eq_u32 s2, 0
	s_mov_b32 s7, 0
	s_cselect_b32 s6, s3, s5
	s_wait_kmcnt 0x0
	s_cmp_ge_u32 s6, s33
	s_cbranch_scc1 .LBB200_35
; %bb.4:
	s_bfe_u32 s3, ttmp6, 0x4000c
	s_bfe_u32 s5, ttmp6, 0x40010
	s_add_co_i32 s3, s3, 1
	s_and_b32 s34, ttmp7, 0xffff
	s_add_co_i32 s5, s5, 1
	s_and_b32 s4, ttmp6, 15
	s_mul_i32 s3, ttmp9, s3
	s_mul_i32 s5, s34, s5
	s_bfe_u32 s35, ttmp6, 0x40004
	s_add_co_i32 s4, s4, s3
	s_add_co_i32 s35, s35, s5
	s_cmp_eq_u32 s2, 0
	v_and_b32_e32 v11, 0x3ff, v0
	v_bfe_u32 v15, v0, 10, 10
	s_cselect_b32 s2, s34, s35
	s_cselect_b32 s3, ttmp9, s4
	s_lshl_b32 s2, s2, 5
	s_load_b32 s4, s[0:1], 0x0
	v_lshl_add_u32 v1, v15, 4, v11
	v_add_nc_u32_e32 v16, s2, v15
	s_wait_xcnt 0x0
	s_lshl_b32 s1, s3, 5
	v_cmp_neq_f64_e64 s35, s[10:11], 0
	v_dual_lshrrev_b32 v10, 3, v1 :: v_dual_bitop2_b32 v0, 7, v0 bitop3:0x40
	v_dual_lshrrev_b32 v2, 5, v1 :: v_dual_bitop2_b32 v3, 31, v1 bitop3:0x40
	v_dual_add_nc_u32 v18, 16, v16 :: v_dual_ashrrev_i32 v17, 31, v16
	v_cmp_neq_f64_e64 s34, s[24:25], 0
	s_delay_alu instid0(VALU_DEP_3) | instskip(NEXT) | instid1(VALU_DEP_3)
	v_dual_add_nc_u32 v12, s2, v10 :: v_dual_bitop2_b32 v8, s1, v3 bitop3:0x54
	v_dual_ashrrev_i32 v19, 31, v18 :: v_dual_lshlrev_b32 v1, 3, v3
	s_delay_alu instid0(VALU_DEP_4) | instskip(SKIP_1) | instid1(VALU_DEP_4)
	v_mul_u64_e32 v[4:5], s[28:29], v[16:17]
	v_lshlrev_b32_e32 v3, 3, v0
	v_ashrrev_i32_e32 v9, 31, v8
	s_delay_alu instid0(VALU_DEP_4)
	v_mul_u64_e32 v[6:7], s[28:29], v[18:19]
	s_wait_kmcnt 0x0
	v_cmp_gt_i32_e32 vcc_lo, s4, v16
	v_cmp_gt_i64_e64 s28, s[8:9], 0
	v_lshl_or_b32 v3, v10, 6, v3
	v_dual_add_nc_u32 v10, s1, v11 :: v_dual_ashrrev_i32 v13, 31, v12
	v_cmp_gt_i32_e64 s0, s4, v8
	v_lshl_add_u64 v[8:9], v[8:9], 3, s[12:13]
	v_cmp_gt_i32_e64 s1, s4, v12
	s_delay_alu instid0(VALU_DEP_4)
	v_cmp_le_i32_e64 s2, v10, v16
	v_add_nc_u32_e32 v14, 16, v10
	v_cmp_gt_i32_e64 s3, s4, v18
	v_cmp_le_i32_e64 s4, v10, v18
	v_lshl_or_b32 v1, v2, 8, v1
	s_and_b32 s12, vcc_lo, s2
	v_cmp_le_i32_e64 s2, v14, v16
	v_cmp_le_i32_e64 s5, v14, v18
	v_add_nc_u32_e32 v3, 0x800, v3
	v_lshl_add_u64 v[12:13], v[12:13], 3, s[18:19]
	v_dual_lshlrev_b32 v34, 3, v11 :: v_dual_ashrrev_i32 v11, 31, v10
	v_lshl_add_u32 v35, v15, 6, 0x800
	v_dual_ashrrev_i32 v15, 31, v14 :: v_dual_mov_b32 v17, 0
	s_and_b32 s13, s35, s28
	s_and_b32 s18, vcc_lo, s2
	s_and_b32 s4, s3, s4
	s_and_b32 s5, s3, s5
	s_branch .LBB200_6
.LBB200_5:                              ;   in Loop: Header=BB200_6 Depth=1
	s_wait_xcnt 0x0
	s_or_b32 exec_lo, exec_lo, s2
	s_add_co_i32 s6, s6, 0x10000
	s_delay_alu instid0(SALU_CYCLE_1)
	s_cmp_lt_u32 s6, s33
	s_cbranch_scc0 .LBB200_35
.LBB200_6:                              ; =>This Loop Header: Depth=1
                                        ;     Child Loop BB200_9 Depth 2
	v_mov_b64_e32 v[24:25], 0
	v_mov_b64_e32 v[22:23], 0
	;; [unrolled: 1-line block ×4, first 2 shown]
	s_and_not1_b32 vcc_lo, exec_lo, s13
	s_cbranch_vccnz .LBB200_15
; %bb.7:                                ;   in Loop: Header=BB200_6 Depth=1
	s_mul_u64 s[2:3], s[22:23], s[6:7]
	s_mul_u64 s[28:29], s[16:17], s[6:7]
	v_mov_b64_e32 v[18:19], 0
	v_mov_b64_e32 v[20:21], 0
	;; [unrolled: 1-line block ×4, first 2 shown]
	v_lshl_add_u64 v[26:27], s[28:29], 3, v[8:9]
	v_lshl_add_u64 v[28:29], s[2:3], 3, v[12:13]
	s_mov_b64 s[2:3], 0
	s_branch .LBB200_9
.LBB200_8:                              ;   in Loop: Header=BB200_9 Depth=2
	s_wait_xcnt 0x0
	s_or_b32 exec_lo, exec_lo, s19
	s_wait_loadcnt 0x0
	ds_store_b64 v3, v[32:33]
	s_wait_dscnt 0x0
	s_barrier_signal -1
	s_barrier_wait -1
	ds_load_b128 v[30:33], v35
	ds_load_2addr_b64 v[36:39], v34 offset1:16
	ds_load_b128 v[40:43], v35 offset:1024
	ds_load_b128 v[44:47], v35 offset:16
	ds_load_b128 v[48:51], v35 offset:1040
	s_add_nc_u64 s[2:3], s[2:3], 8
	s_delay_alu instid0(SALU_CYCLE_1)
	v_cmp_gt_i64_e64 s19, s[8:9], s[2:3]
	s_and_b32 vcc_lo, exec_lo, s19
	s_wait_dscnt 0x3
	v_fmac_f64_e32 v[24:25], v[36:37], v[30:31]
	v_fmac_f64_e32 v[22:23], v[38:39], v[30:31]
	s_wait_dscnt 0x2
	v_fmac_f64_e32 v[20:21], v[36:37], v[40:41]
	v_fmac_f64_e32 v[18:19], v[38:39], v[40:41]
	ds_load_2addr_b64 v[36:39], v34 offset0:32 offset1:48
	s_wait_dscnt 0x0
	v_fmac_f64_e32 v[24:25], v[36:37], v[32:33]
	v_fmac_f64_e32 v[22:23], v[38:39], v[32:33]
	v_fmac_f64_e32 v[20:21], v[36:37], v[42:43]
	v_fmac_f64_e32 v[18:19], v[38:39], v[42:43]
	ds_load_2addr_b64 v[30:33], v34 offset0:64 offset1:80
	s_wait_dscnt 0x0
	v_fmac_f64_e32 v[24:25], v[30:31], v[44:45]
	v_fmac_f64_e32 v[22:23], v[32:33], v[44:45]
	;; [unrolled: 6-line block ×3, first 2 shown]
	v_fmac_f64_e32 v[20:21], v[30:31], v[50:51]
	v_fmac_f64_e32 v[18:19], v[32:33], v[50:51]
	ds_load_b128 v[30:33], v35 offset:32
	ds_load_2addr_b64 v[36:39], v34 offset0:128 offset1:144
	ds_load_b128 v[40:43], v35 offset:1056
	ds_load_b128 v[44:47], v35 offset:48
	;; [unrolled: 1-line block ×3, first 2 shown]
	s_wait_dscnt 0x3
	v_fmac_f64_e32 v[24:25], v[36:37], v[30:31]
	v_fmac_f64_e32 v[22:23], v[38:39], v[30:31]
	s_wait_dscnt 0x2
	v_fmac_f64_e32 v[20:21], v[36:37], v[40:41]
	v_fmac_f64_e32 v[18:19], v[38:39], v[40:41]
	ds_load_2addr_b64 v[36:39], v34 offset0:160 offset1:176
	s_wait_dscnt 0x0
	v_fmac_f64_e32 v[24:25], v[36:37], v[32:33]
	v_fmac_f64_e32 v[22:23], v[38:39], v[32:33]
	;; [unrolled: 1-line block ×4, first 2 shown]
	ds_load_2addr_b64 v[30:33], v34 offset0:192 offset1:208
	s_wait_dscnt 0x0
	v_fmac_f64_e32 v[24:25], v[30:31], v[44:45]
	v_fmac_f64_e32 v[22:23], v[32:33], v[44:45]
	;; [unrolled: 1-line block ×4, first 2 shown]
	ds_load_2addr_b64 v[30:33], v34 offset0:224 offset1:240
	s_wait_dscnt 0x0
	s_barrier_signal -1
	s_barrier_wait -1
	v_fmac_f64_e32 v[24:25], v[30:31], v[46:47]
	v_fmac_f64_e32 v[22:23], v[32:33], v[46:47]
	;; [unrolled: 1-line block ×4, first 2 shown]
	s_cbranch_vccz .LBB200_15
.LBB200_9:                              ;   Parent Loop BB200_6 Depth=1
                                        ; =>  This Inner Loop Header: Depth=2
	v_mov_b64_e32 v[30:31], 0
	s_and_saveexec_b32 s19, s0
	s_cbranch_execz .LBB200_13
; %bb.10:                               ;   in Loop: Header=BB200_9 Depth=2
	v_mov_b64_e32 v[30:31], 0
	v_add_nc_u32_e32 v16, s2, v2
	s_mov_b32 s28, exec_lo
	s_delay_alu instid0(VALU_DEP_1)
	v_cmpx_gt_u64_e64 s[8:9], v[16:17]
	s_cbranch_execz .LBB200_12
; %bb.11:                               ;   in Loop: Header=BB200_9 Depth=2
	v_mul_u64_e32 v[30:31], s[14:15], v[16:17]
	s_delay_alu instid0(VALU_DEP_1)
	v_lshl_add_u64 v[30:31], v[30:31], 3, v[26:27]
	global_load_b64 v[30:31], v[30:31], off
.LBB200_12:                             ;   in Loop: Header=BB200_9 Depth=2
	s_wait_xcnt 0x0
	s_or_b32 exec_lo, exec_lo, s28
.LBB200_13:                             ;   in Loop: Header=BB200_9 Depth=2
	s_delay_alu instid0(SALU_CYCLE_1)
	s_or_b32 exec_lo, exec_lo, s19
	v_add_nc_u32_e32 v16, s2, v0
	v_mov_b64_e32 v[32:33], 0
	s_wait_loadcnt 0x0
	ds_store_b64 v1, v[30:31]
	v_cmp_gt_u64_e32 vcc_lo, s[8:9], v[16:17]
	s_and_b32 s28, vcc_lo, s1
	s_delay_alu instid0(SALU_CYCLE_1)
	s_and_saveexec_b32 s19, s28
	s_cbranch_execz .LBB200_8
; %bb.14:                               ;   in Loop: Header=BB200_9 Depth=2
	v_mul_u64_e32 v[30:31], s[20:21], v[16:17]
	s_delay_alu instid0(VALU_DEP_1)
	v_lshl_add_u64 v[30:31], v[30:31], 3, v[28:29]
	global_load_b64 v[32:33], v[30:31], off
	s_branch .LBB200_8
.LBB200_15:                             ;   in Loop: Header=BB200_6 Depth=1
	s_mul_u64 s[2:3], s[30:31], s[6:7]
	s_delay_alu instid0(SALU_CYCLE_1) | instskip(NEXT) | instid1(SALU_CYCLE_1)
	s_lshl_b64 s[2:3], s[2:3], 3
	s_add_nc_u64 s[2:3], s[26:27], s[2:3]
	s_delay_alu instid0(SALU_CYCLE_1)
	v_lshl_add_u64 v[26:27], v[4:5], 3, s[2:3]
	s_and_saveexec_b32 s19, s12
	s_cbranch_execz .LBB200_19
; %bb.16:                               ;   in Loop: Header=BB200_6 Depth=1
	v_mul_f64_e32 v[24:25], s[10:11], v[24:25]
	s_delay_alu instid0(VALU_DEP_2)
	v_lshl_add_u64 v[28:29], v[10:11], 3, v[26:27]
	s_and_b32 vcc_lo, exec_lo, s34
	s_cbranch_vccz .LBB200_30
; %bb.17:                               ;   in Loop: Header=BB200_6 Depth=1
	global_load_b64 v[30:31], v[28:29], off
	s_wait_loadcnt 0x0
	v_fma_f64 v[30:31], s[24:25], v[30:31], v[24:25]
	global_store_b64 v[28:29], v[30:31], off
	s_cbranch_execnz .LBB200_19
.LBB200_18:                             ;   in Loop: Header=BB200_6 Depth=1
	global_store_b64 v[28:29], v[24:25], off
.LBB200_19:                             ;   in Loop: Header=BB200_6 Depth=1
	s_wait_xcnt 0x0
	s_or_b32 exec_lo, exec_lo, s19
	s_and_saveexec_b32 s19, s18
	s_cbranch_execz .LBB200_23
; %bb.20:                               ;   in Loop: Header=BB200_6 Depth=1
	s_delay_alu instid0(VALU_DEP_4)
	v_mul_f64_e32 v[22:23], s[10:11], v[22:23]
	v_lshl_add_u64 v[24:25], v[14:15], 3, v[26:27]
	s_and_not1_b32 vcc_lo, exec_lo, s34
	s_cbranch_vccnz .LBB200_31
; %bb.21:                               ;   in Loop: Header=BB200_6 Depth=1
	global_load_b64 v[26:27], v[24:25], off
	s_wait_loadcnt 0x0
	v_fma_f64 v[26:27], s[24:25], v[26:27], v[22:23]
	global_store_b64 v[24:25], v[26:27], off
	s_cbranch_execnz .LBB200_23
.LBB200_22:                             ;   in Loop: Header=BB200_6 Depth=1
	global_store_b64 v[24:25], v[22:23], off
.LBB200_23:                             ;   in Loop: Header=BB200_6 Depth=1
	s_wait_xcnt 0x0
	s_or_b32 exec_lo, exec_lo, s19
	v_lshl_add_u64 v[22:23], v[6:7], 3, s[2:3]
	s_and_saveexec_b32 s2, s4
	s_cbranch_execz .LBB200_27
; %bb.24:                               ;   in Loop: Header=BB200_6 Depth=1
	s_delay_alu instid0(VALU_DEP_4) | instskip(NEXT) | instid1(VALU_DEP_2)
	v_mul_f64_e32 v[20:21], s[10:11], v[20:21]
	v_lshl_add_u64 v[24:25], v[10:11], 3, v[22:23]
	s_and_not1_b32 vcc_lo, exec_lo, s34
	s_cbranch_vccnz .LBB200_32
; %bb.25:                               ;   in Loop: Header=BB200_6 Depth=1
	global_load_b64 v[26:27], v[24:25], off
	s_wait_loadcnt 0x0
	v_fma_f64 v[26:27], s[24:25], v[26:27], v[20:21]
	global_store_b64 v[24:25], v[26:27], off
	s_cbranch_execnz .LBB200_27
.LBB200_26:                             ;   in Loop: Header=BB200_6 Depth=1
	global_store_b64 v[24:25], v[20:21], off
.LBB200_27:                             ;   in Loop: Header=BB200_6 Depth=1
	s_wait_xcnt 0x0
	s_or_b32 exec_lo, exec_lo, s2
	s_and_saveexec_b32 s2, s5
	s_cbranch_execz .LBB200_5
; %bb.28:                               ;   in Loop: Header=BB200_6 Depth=1
	s_delay_alu instid0(VALU_DEP_3)
	v_mul_f64_e32 v[18:19], s[10:11], v[18:19]
	v_lshl_add_u64 v[20:21], v[14:15], 3, v[22:23]
	s_and_not1_b32 vcc_lo, exec_lo, s34
	s_cbranch_vccnz .LBB200_33
; %bb.29:                               ;   in Loop: Header=BB200_6 Depth=1
	global_load_b64 v[22:23], v[20:21], off
	s_wait_loadcnt 0x0
	v_fma_f64 v[22:23], s[24:25], v[22:23], v[18:19]
	global_store_b64 v[20:21], v[22:23], off
	s_cbranch_execnz .LBB200_5
	s_branch .LBB200_34
.LBB200_30:                             ;   in Loop: Header=BB200_6 Depth=1
	s_branch .LBB200_18
.LBB200_31:                             ;   in Loop: Header=BB200_6 Depth=1
	s_branch .LBB200_22
.LBB200_32:                             ;   in Loop: Header=BB200_6 Depth=1
	s_branch .LBB200_26
.LBB200_33:                             ;   in Loop: Header=BB200_6 Depth=1
.LBB200_34:                             ;   in Loop: Header=BB200_6 Depth=1
	global_store_b64 v[20:21], v[18:19], off
	s_branch .LBB200_5
.LBB200_35:
	s_endpgm
	.section	.rodata,"a",@progbits
	.p2align	6, 0x0
	.amdhsa_kernel _ZL29rocblas_internal_gemmt_kernelIlLi16ELi32ELi8ELc78ELc67ELc85ELb0ELb0EddPKdPdEviT_T9_T10_S3_lS5_S3_lS4_T11_S3_li
		.amdhsa_group_segment_fixed_size 4096
		.amdhsa_private_segment_fixed_size 0
		.amdhsa_kernarg_size 108
		.amdhsa_user_sgpr_count 2
		.amdhsa_user_sgpr_dispatch_ptr 0
		.amdhsa_user_sgpr_queue_ptr 0
		.amdhsa_user_sgpr_kernarg_segment_ptr 1
		.amdhsa_user_sgpr_dispatch_id 0
		.amdhsa_user_sgpr_kernarg_preload_length 0
		.amdhsa_user_sgpr_kernarg_preload_offset 0
		.amdhsa_user_sgpr_private_segment_size 0
		.amdhsa_wavefront_size32 1
		.amdhsa_uses_dynamic_stack 0
		.amdhsa_enable_private_segment 0
		.amdhsa_system_sgpr_workgroup_id_x 1
		.amdhsa_system_sgpr_workgroup_id_y 1
		.amdhsa_system_sgpr_workgroup_id_z 1
		.amdhsa_system_sgpr_workgroup_info 0
		.amdhsa_system_vgpr_workitem_id 1
		.amdhsa_next_free_vgpr 52
		.amdhsa_next_free_sgpr 36
		.amdhsa_named_barrier_count 0
		.amdhsa_reserve_vcc 1
		.amdhsa_float_round_mode_32 0
		.amdhsa_float_round_mode_16_64 0
		.amdhsa_float_denorm_mode_32 3
		.amdhsa_float_denorm_mode_16_64 3
		.amdhsa_fp16_overflow 0
		.amdhsa_memory_ordered 1
		.amdhsa_forward_progress 1
		.amdhsa_inst_pref_size 13
		.amdhsa_round_robin_scheduling 0
		.amdhsa_exception_fp_ieee_invalid_op 0
		.amdhsa_exception_fp_denorm_src 0
		.amdhsa_exception_fp_ieee_div_zero 0
		.amdhsa_exception_fp_ieee_overflow 0
		.amdhsa_exception_fp_ieee_underflow 0
		.amdhsa_exception_fp_ieee_inexact 0
		.amdhsa_exception_int_div_zero 0
	.end_amdhsa_kernel
	.section	.text._ZL29rocblas_internal_gemmt_kernelIlLi16ELi32ELi8ELc78ELc67ELc85ELb0ELb0EddPKdPdEviT_T9_T10_S3_lS5_S3_lS4_T11_S3_li,"axG",@progbits,_ZL29rocblas_internal_gemmt_kernelIlLi16ELi32ELi8ELc78ELc67ELc85ELb0ELb0EddPKdPdEviT_T9_T10_S3_lS5_S3_lS4_T11_S3_li,comdat
.Lfunc_end200:
	.size	_ZL29rocblas_internal_gemmt_kernelIlLi16ELi32ELi8ELc78ELc67ELc85ELb0ELb0EddPKdPdEviT_T9_T10_S3_lS5_S3_lS4_T11_S3_li, .Lfunc_end200-_ZL29rocblas_internal_gemmt_kernelIlLi16ELi32ELi8ELc78ELc67ELc85ELb0ELb0EddPKdPdEviT_T9_T10_S3_lS5_S3_lS4_T11_S3_li
                                        ; -- End function
	.set _ZL29rocblas_internal_gemmt_kernelIlLi16ELi32ELi8ELc78ELc67ELc85ELb0ELb0EddPKdPdEviT_T9_T10_S3_lS5_S3_lS4_T11_S3_li.num_vgpr, 52
	.set _ZL29rocblas_internal_gemmt_kernelIlLi16ELi32ELi8ELc78ELc67ELc85ELb0ELb0EddPKdPdEviT_T9_T10_S3_lS5_S3_lS4_T11_S3_li.num_agpr, 0
	.set _ZL29rocblas_internal_gemmt_kernelIlLi16ELi32ELi8ELc78ELc67ELc85ELb0ELb0EddPKdPdEviT_T9_T10_S3_lS5_S3_lS4_T11_S3_li.numbered_sgpr, 36
	.set _ZL29rocblas_internal_gemmt_kernelIlLi16ELi32ELi8ELc78ELc67ELc85ELb0ELb0EddPKdPdEviT_T9_T10_S3_lS5_S3_lS4_T11_S3_li.num_named_barrier, 0
	.set _ZL29rocblas_internal_gemmt_kernelIlLi16ELi32ELi8ELc78ELc67ELc85ELb0ELb0EddPKdPdEviT_T9_T10_S3_lS5_S3_lS4_T11_S3_li.private_seg_size, 0
	.set _ZL29rocblas_internal_gemmt_kernelIlLi16ELi32ELi8ELc78ELc67ELc85ELb0ELb0EddPKdPdEviT_T9_T10_S3_lS5_S3_lS4_T11_S3_li.uses_vcc, 1
	.set _ZL29rocblas_internal_gemmt_kernelIlLi16ELi32ELi8ELc78ELc67ELc85ELb0ELb0EddPKdPdEviT_T9_T10_S3_lS5_S3_lS4_T11_S3_li.uses_flat_scratch, 0
	.set _ZL29rocblas_internal_gemmt_kernelIlLi16ELi32ELi8ELc78ELc67ELc85ELb0ELb0EddPKdPdEviT_T9_T10_S3_lS5_S3_lS4_T11_S3_li.has_dyn_sized_stack, 0
	.set _ZL29rocblas_internal_gemmt_kernelIlLi16ELi32ELi8ELc78ELc67ELc85ELb0ELb0EddPKdPdEviT_T9_T10_S3_lS5_S3_lS4_T11_S3_li.has_recursion, 0
	.set _ZL29rocblas_internal_gemmt_kernelIlLi16ELi32ELi8ELc78ELc67ELc85ELb0ELb0EddPKdPdEviT_T9_T10_S3_lS5_S3_lS4_T11_S3_li.has_indirect_call, 0
	.section	.AMDGPU.csdata,"",@progbits
; Kernel info:
; codeLenInByte = 1596
; TotalNumSgprs: 38
; NumVgprs: 52
; ScratchSize: 0
; MemoryBound: 0
; FloatMode: 240
; IeeeMode: 1
; LDSByteSize: 4096 bytes/workgroup (compile time only)
; SGPRBlocks: 0
; VGPRBlocks: 3
; NumSGPRsForWavesPerEU: 38
; NumVGPRsForWavesPerEU: 52
; NamedBarCnt: 0
; Occupancy: 16
; WaveLimiterHint : 0
; COMPUTE_PGM_RSRC2:SCRATCH_EN: 0
; COMPUTE_PGM_RSRC2:USER_SGPR: 2
; COMPUTE_PGM_RSRC2:TRAP_HANDLER: 0
; COMPUTE_PGM_RSRC2:TGID_X_EN: 1
; COMPUTE_PGM_RSRC2:TGID_Y_EN: 1
; COMPUTE_PGM_RSRC2:TGID_Z_EN: 1
; COMPUTE_PGM_RSRC2:TIDIG_COMP_CNT: 1
	.section	.text._ZL29rocblas_internal_gemmt_kernelIlLi16ELi32ELi8ELc84ELc78ELc85ELb0ELb0EddPKdPdEviT_T9_T10_S3_lS5_S3_lS4_T11_S3_li,"axG",@progbits,_ZL29rocblas_internal_gemmt_kernelIlLi16ELi32ELi8ELc84ELc78ELc85ELb0ELb0EddPKdPdEviT_T9_T10_S3_lS5_S3_lS4_T11_S3_li,comdat
	.globl	_ZL29rocblas_internal_gemmt_kernelIlLi16ELi32ELi8ELc84ELc78ELc85ELb0ELb0EddPKdPdEviT_T9_T10_S3_lS5_S3_lS4_T11_S3_li ; -- Begin function _ZL29rocblas_internal_gemmt_kernelIlLi16ELi32ELi8ELc84ELc78ELc85ELb0ELb0EddPKdPdEviT_T9_T10_S3_lS5_S3_lS4_T11_S3_li
	.p2align	8
	.type	_ZL29rocblas_internal_gemmt_kernelIlLi16ELi32ELi8ELc84ELc78ELc85ELb0ELb0EddPKdPdEviT_T9_T10_S3_lS5_S3_lS4_T11_S3_li,@function
_ZL29rocblas_internal_gemmt_kernelIlLi16ELi32ELi8ELc84ELc78ELc85ELb0ELb0EddPKdPdEviT_T9_T10_S3_lS5_S3_lS4_T11_S3_li: ; @_ZL29rocblas_internal_gemmt_kernelIlLi16ELi32ELi8ELc84ELc78ELc85ELb0ELb0EddPKdPdEviT_T9_T10_S3_lS5_S3_lS4_T11_S3_li
; %bb.0:
	s_clause 0x1
	s_load_b256 s[24:31], s[0:1], 0x48
	s_load_b512 s[8:23], s[0:1], 0x8
	s_wait_kmcnt 0x0
	v_cmp_neq_f64_e64 s2, s[24:25], 1.0
	s_and_b32 vcc_lo, exec_lo, s2
	s_cbranch_vccnz .LBB201_2
; %bb.1:
	v_cmp_neq_f64_e64 s2, s[10:11], 0
	s_cmp_lg_u64 s[8:9], 0
	s_cselect_b32 s3, -1, 0
	s_delay_alu instid0(SALU_CYCLE_1)
	s_and_b32 s2, s3, s2
.LBB201_2:
	s_delay_alu instid0(SALU_CYCLE_1)
	s_and_not1_b32 vcc_lo, exec_lo, s2
	s_cbranch_vccnz .LBB201_35
; %bb.3:
	s_load_b32 s33, s[0:1], 0x68
	s_bfe_u32 s2, ttmp6, 0x40014
	s_lshr_b32 s3, ttmp7, 16
	s_add_co_i32 s2, s2, 1
	s_bfe_u32 s5, ttmp6, 0x40008
	s_mul_i32 s4, s3, s2
	s_getreg_b32 s2, hwreg(HW_REG_IB_STS2, 6, 4)
	s_add_co_i32 s5, s5, s4
	s_cmp_eq_u32 s2, 0
	s_mov_b32 s7, 0
	s_cselect_b32 s6, s3, s5
	s_wait_kmcnt 0x0
	s_cmp_ge_u32 s6, s33
	s_cbranch_scc1 .LBB201_35
; %bb.4:
	v_and_b32_e32 v6, 0x3ff, v0
	v_bfe_u32 v7, v0, 10, 10
	s_bfe_u32 s4, ttmp6, 0x4000c
	s_bfe_u32 s34, ttmp6, 0x40010
	s_and_b32 s5, ttmp7, 0xffff
	s_add_co_i32 s4, s4, 1
	s_add_co_i32 s34, s34, 1
	v_lshl_add_u32 v8, v7, 4, v6
	s_and_b32 s3, ttmp6, 15
	s_mul_i32 s4, ttmp9, s4
	s_mul_i32 s34, s5, s34
	s_bfe_u32 s35, ttmp6, 0x40004
	s_add_co_i32 s3, s3, s4
	s_add_co_i32 s35, s35, s34
	s_cmp_eq_u32 s2, 0
	v_dual_lshrrev_b32 v10, 3, v8 :: v_dual_bitop2_b32 v11, 31, v8 bitop3:0x40
	s_cselect_b32 s2, ttmp9, s3
	s_cselect_b32 s3, s5, s35
	s_lshl_b32 s2, s2, 5
	s_lshl_b32 s3, s3, 5
	s_delay_alu instid0(SALU_CYCLE_1) | instskip(SKIP_3) | instid1(VALU_DEP_3)
	v_dual_add_nc_u32 v14, s3, v10 :: v_dual_bitop2_b32 v12, s2, v11 bitop3:0x54
	v_add_nc_u32_e32 v16, s3, v7
	s_load_b32 s4, s[0:1], 0x0
	v_dual_lshlrev_b32 v1, 3, v6 :: v_dual_bitop2_b32 v0, 7, v0 bitop3:0x40
	v_dual_ashrrev_i32 v13, 31, v12 :: v_dual_ashrrev_i32 v15, 31, v14
	s_delay_alu instid0(VALU_DEP_3) | instskip(SKIP_1) | instid1(VALU_DEP_3)
	v_dual_add_nc_u32 v22, 16, v16 :: v_dual_add_nc_u32 v6, s2, v6
	v_lshl_add_u32 v9, v7, 6, 0x800
	v_mul_u64_e32 v[18:19], s[14:15], v[12:13]
	s_delay_alu instid0(VALU_DEP_4) | instskip(NEXT) | instid1(VALU_DEP_4)
	v_mul_u64_e32 v[20:21], s[20:21], v[14:15]
	v_dual_ashrrev_i32 v23, 31, v22 :: v_dual_ashrrev_i32 v17, 31, v16
	v_cmp_neq_f64_e64 s20, s[10:11], 0
	v_cmp_neq_f64_e64 s14, s[24:25], 0
	v_lshlrev_b32_e32 v13, 3, v0
	s_delay_alu instid0(VALU_DEP_4)
	v_mul_u64_e32 v[4:5], s[28:29], v[22:23]
	v_mul_u64_e32 v[2:3], s[28:29], v[16:17]
	v_cmp_le_i32_e32 vcc_lo, v6, v16
	v_ashrrev_i32_e32 v7, 31, v6
	v_lshl_or_b32 v13, v10, 6, v13
	v_add_nc_u32_e32 v10, 16, v6
	s_wait_kmcnt 0x0
	v_cmp_gt_i32_e64 s2, s4, v16
	v_dual_lshrrev_b32 v8, 5, v8 :: v_dual_lshlrev_b32 v11, 3, v11
	v_cmp_gt_i64_e64 s21, s[8:9], 0
	v_cmp_gt_i32_e64 s0, s4, v12
	v_cmp_gt_i32_e64 s1, s4, v14
	v_cmp_le_i32_e64 s3, v10, v16
	s_and_b32 s15, s2, vcc_lo
	v_cmp_gt_i32_e32 vcc_lo, s4, v22
	v_cmp_le_i32_e64 s4, v6, v22
	v_cmp_le_i32_e64 s5, v10, v22
	v_lshl_or_b32 v34, v8, 8, v11
	v_add_nc_u32_e32 v35, 0x800, v13
	v_dual_ashrrev_i32 v11, 31, v10 :: v_dual_mov_b32 v17, 0
	s_and_b32 s4, vcc_lo, s4
	s_and_b32 s5, vcc_lo, s5
	v_lshl_add_u64 v[12:13], v[18:19], 3, s[12:13]
	v_lshl_add_u64 v[14:15], v[20:21], 3, s[18:19]
	s_and_b32 s13, s2, s3
	s_and_b32 s12, s20, s21
	s_branch .LBB201_6
.LBB201_5:                              ;   in Loop: Header=BB201_6 Depth=1
	s_wait_xcnt 0x0
	s_or_b32 exec_lo, exec_lo, s2
	s_add_co_i32 s6, s6, 0x10000
	s_delay_alu instid0(SALU_CYCLE_1)
	s_cmp_lt_u32 s6, s33
	s_cbranch_scc0 .LBB201_35
.LBB201_6:                              ; =>This Loop Header: Depth=1
                                        ;     Child Loop BB201_9 Depth 2
	v_mov_b64_e32 v[24:25], 0
	v_mov_b64_e32 v[22:23], 0
	;; [unrolled: 1-line block ×4, first 2 shown]
	s_and_not1_b32 vcc_lo, exec_lo, s12
	s_cbranch_vccnz .LBB201_15
; %bb.7:                                ;   in Loop: Header=BB201_6 Depth=1
	s_mul_u64 s[2:3], s[22:23], s[6:7]
	s_mul_u64 s[18:19], s[16:17], s[6:7]
	v_mov_b64_e32 v[18:19], 0
	v_mov_b64_e32 v[20:21], 0
	;; [unrolled: 1-line block ×4, first 2 shown]
	v_lshl_add_u64 v[26:27], s[18:19], 3, v[12:13]
	v_lshl_add_u64 v[28:29], s[2:3], 3, v[14:15]
	s_mov_b64 s[2:3], 0
	s_branch .LBB201_9
.LBB201_8:                              ;   in Loop: Header=BB201_9 Depth=2
	s_wait_xcnt 0x0
	s_or_b32 exec_lo, exec_lo, s18
	s_wait_loadcnt 0x0
	ds_store_b64 v35, v[32:33]
	s_wait_dscnt 0x0
	s_barrier_signal -1
	s_barrier_wait -1
	ds_load_b128 v[30:33], v9
	ds_load_2addr_b64 v[36:39], v1 offset1:16
	ds_load_b128 v[40:43], v9 offset:1024
	ds_load_b128 v[44:47], v9 offset:16
	;; [unrolled: 1-line block ×3, first 2 shown]
	s_add_nc_u64 s[2:3], s[2:3], 8
	s_delay_alu instid0(SALU_CYCLE_1)
	v_cmp_gt_i64_e64 s18, s[8:9], s[2:3]
	s_and_b32 vcc_lo, exec_lo, s18
	s_wait_dscnt 0x3
	v_fmac_f64_e32 v[24:25], v[36:37], v[30:31]
	v_fmac_f64_e32 v[22:23], v[38:39], v[30:31]
	s_wait_dscnt 0x2
	v_fmac_f64_e32 v[20:21], v[36:37], v[40:41]
	v_fmac_f64_e32 v[18:19], v[38:39], v[40:41]
	ds_load_2addr_b64 v[36:39], v1 offset0:32 offset1:48
	s_wait_dscnt 0x0
	v_fmac_f64_e32 v[24:25], v[36:37], v[32:33]
	v_fmac_f64_e32 v[22:23], v[38:39], v[32:33]
	v_fmac_f64_e32 v[20:21], v[36:37], v[42:43]
	v_fmac_f64_e32 v[18:19], v[38:39], v[42:43]
	ds_load_2addr_b64 v[30:33], v1 offset0:64 offset1:80
	s_wait_dscnt 0x0
	v_fmac_f64_e32 v[24:25], v[30:31], v[44:45]
	v_fmac_f64_e32 v[22:23], v[32:33], v[44:45]
	;; [unrolled: 6-line block ×3, first 2 shown]
	v_fmac_f64_e32 v[20:21], v[30:31], v[50:51]
	v_fmac_f64_e32 v[18:19], v[32:33], v[50:51]
	ds_load_b128 v[30:33], v9 offset:32
	ds_load_2addr_b64 v[36:39], v1 offset0:128 offset1:144
	ds_load_b128 v[40:43], v9 offset:1056
	ds_load_b128 v[44:47], v9 offset:48
	ds_load_b128 v[48:51], v9 offset:1072
	s_wait_dscnt 0x3
	v_fmac_f64_e32 v[24:25], v[36:37], v[30:31]
	v_fmac_f64_e32 v[22:23], v[38:39], v[30:31]
	s_wait_dscnt 0x2
	v_fmac_f64_e32 v[20:21], v[36:37], v[40:41]
	v_fmac_f64_e32 v[18:19], v[38:39], v[40:41]
	ds_load_2addr_b64 v[36:39], v1 offset0:160 offset1:176
	s_wait_dscnt 0x0
	v_fmac_f64_e32 v[24:25], v[36:37], v[32:33]
	v_fmac_f64_e32 v[22:23], v[38:39], v[32:33]
	;; [unrolled: 1-line block ×4, first 2 shown]
	ds_load_2addr_b64 v[30:33], v1 offset0:192 offset1:208
	s_wait_dscnt 0x0
	v_fmac_f64_e32 v[24:25], v[30:31], v[44:45]
	v_fmac_f64_e32 v[22:23], v[32:33], v[44:45]
	;; [unrolled: 1-line block ×4, first 2 shown]
	ds_load_2addr_b64 v[30:33], v1 offset0:224 offset1:240
	s_wait_dscnt 0x0
	s_barrier_signal -1
	s_barrier_wait -1
	v_fmac_f64_e32 v[24:25], v[30:31], v[46:47]
	v_fmac_f64_e32 v[22:23], v[32:33], v[46:47]
	;; [unrolled: 1-line block ×4, first 2 shown]
	s_cbranch_vccz .LBB201_15
.LBB201_9:                              ;   Parent Loop BB201_6 Depth=1
                                        ; =>  This Inner Loop Header: Depth=2
	v_mov_b64_e32 v[30:31], 0
	s_and_saveexec_b32 s18, s0
	s_cbranch_execz .LBB201_13
; %bb.10:                               ;   in Loop: Header=BB201_9 Depth=2
	v_mov_b64_e32 v[30:31], 0
	v_add_nc_u32_e32 v16, s2, v8
	s_mov_b32 s19, exec_lo
	s_delay_alu instid0(VALU_DEP_1)
	v_cmpx_gt_u64_e64 s[8:9], v[16:17]
	s_cbranch_execz .LBB201_12
; %bb.11:                               ;   in Loop: Header=BB201_9 Depth=2
	v_lshl_add_u64 v[30:31], v[16:17], 3, v[26:27]
	global_load_b64 v[30:31], v[30:31], off
.LBB201_12:                             ;   in Loop: Header=BB201_9 Depth=2
	s_wait_xcnt 0x0
	s_or_b32 exec_lo, exec_lo, s19
.LBB201_13:                             ;   in Loop: Header=BB201_9 Depth=2
	s_delay_alu instid0(SALU_CYCLE_1)
	s_or_b32 exec_lo, exec_lo, s18
	v_add_nc_u32_e32 v16, s2, v0
	v_mov_b64_e32 v[32:33], 0
	s_wait_loadcnt 0x0
	ds_store_b64 v34, v[30:31]
	v_cmp_gt_u64_e32 vcc_lo, s[8:9], v[16:17]
	s_and_b32 s19, vcc_lo, s1
	s_delay_alu instid0(SALU_CYCLE_1)
	s_and_saveexec_b32 s18, s19
	s_cbranch_execz .LBB201_8
; %bb.14:                               ;   in Loop: Header=BB201_9 Depth=2
	v_lshl_add_u64 v[30:31], v[16:17], 3, v[28:29]
	global_load_b64 v[32:33], v[30:31], off
	s_branch .LBB201_8
.LBB201_15:                             ;   in Loop: Header=BB201_6 Depth=1
	s_mul_u64 s[2:3], s[30:31], s[6:7]
	s_delay_alu instid0(SALU_CYCLE_1) | instskip(NEXT) | instid1(SALU_CYCLE_1)
	s_lshl_b64 s[2:3], s[2:3], 3
	s_add_nc_u64 s[2:3], s[26:27], s[2:3]
	s_delay_alu instid0(SALU_CYCLE_1)
	v_lshl_add_u64 v[26:27], v[2:3], 3, s[2:3]
	s_and_saveexec_b32 s18, s15
	s_cbranch_execz .LBB201_19
; %bb.16:                               ;   in Loop: Header=BB201_6 Depth=1
	v_mul_f64_e32 v[24:25], s[10:11], v[24:25]
	s_delay_alu instid0(VALU_DEP_2)
	v_lshl_add_u64 v[28:29], v[6:7], 3, v[26:27]
	s_and_b32 vcc_lo, exec_lo, s14
	s_cbranch_vccz .LBB201_30
; %bb.17:                               ;   in Loop: Header=BB201_6 Depth=1
	global_load_b64 v[30:31], v[28:29], off
	s_wait_loadcnt 0x0
	v_fma_f64 v[30:31], s[24:25], v[30:31], v[24:25]
	global_store_b64 v[28:29], v[30:31], off
	s_cbranch_execnz .LBB201_19
.LBB201_18:                             ;   in Loop: Header=BB201_6 Depth=1
	global_store_b64 v[28:29], v[24:25], off
.LBB201_19:                             ;   in Loop: Header=BB201_6 Depth=1
	s_wait_xcnt 0x0
	s_or_b32 exec_lo, exec_lo, s18
	s_and_saveexec_b32 s18, s13
	s_cbranch_execz .LBB201_23
; %bb.20:                               ;   in Loop: Header=BB201_6 Depth=1
	s_delay_alu instid0(VALU_DEP_4)
	v_mul_f64_e32 v[22:23], s[10:11], v[22:23]
	v_lshl_add_u64 v[24:25], v[10:11], 3, v[26:27]
	s_and_not1_b32 vcc_lo, exec_lo, s14
	s_cbranch_vccnz .LBB201_31
; %bb.21:                               ;   in Loop: Header=BB201_6 Depth=1
	global_load_b64 v[26:27], v[24:25], off
	s_wait_loadcnt 0x0
	v_fma_f64 v[26:27], s[24:25], v[26:27], v[22:23]
	global_store_b64 v[24:25], v[26:27], off
	s_cbranch_execnz .LBB201_23
.LBB201_22:                             ;   in Loop: Header=BB201_6 Depth=1
	global_store_b64 v[24:25], v[22:23], off
.LBB201_23:                             ;   in Loop: Header=BB201_6 Depth=1
	s_wait_xcnt 0x0
	s_or_b32 exec_lo, exec_lo, s18
	v_lshl_add_u64 v[22:23], v[4:5], 3, s[2:3]
	s_and_saveexec_b32 s2, s4
	s_cbranch_execz .LBB201_27
; %bb.24:                               ;   in Loop: Header=BB201_6 Depth=1
	s_delay_alu instid0(VALU_DEP_4) | instskip(NEXT) | instid1(VALU_DEP_2)
	v_mul_f64_e32 v[20:21], s[10:11], v[20:21]
	v_lshl_add_u64 v[24:25], v[6:7], 3, v[22:23]
	s_and_not1_b32 vcc_lo, exec_lo, s14
	s_cbranch_vccnz .LBB201_32
; %bb.25:                               ;   in Loop: Header=BB201_6 Depth=1
	global_load_b64 v[26:27], v[24:25], off
	s_wait_loadcnt 0x0
	v_fma_f64 v[26:27], s[24:25], v[26:27], v[20:21]
	global_store_b64 v[24:25], v[26:27], off
	s_cbranch_execnz .LBB201_27
.LBB201_26:                             ;   in Loop: Header=BB201_6 Depth=1
	global_store_b64 v[24:25], v[20:21], off
.LBB201_27:                             ;   in Loop: Header=BB201_6 Depth=1
	s_wait_xcnt 0x0
	s_or_b32 exec_lo, exec_lo, s2
	s_and_saveexec_b32 s2, s5
	s_cbranch_execz .LBB201_5
; %bb.28:                               ;   in Loop: Header=BB201_6 Depth=1
	s_delay_alu instid0(VALU_DEP_3)
	v_mul_f64_e32 v[18:19], s[10:11], v[18:19]
	v_lshl_add_u64 v[20:21], v[10:11], 3, v[22:23]
	s_and_not1_b32 vcc_lo, exec_lo, s14
	s_cbranch_vccnz .LBB201_33
; %bb.29:                               ;   in Loop: Header=BB201_6 Depth=1
	global_load_b64 v[22:23], v[20:21], off
	s_wait_loadcnt 0x0
	v_fma_f64 v[22:23], s[24:25], v[22:23], v[18:19]
	global_store_b64 v[20:21], v[22:23], off
	s_cbranch_execnz .LBB201_5
	s_branch .LBB201_34
.LBB201_30:                             ;   in Loop: Header=BB201_6 Depth=1
	s_branch .LBB201_18
.LBB201_31:                             ;   in Loop: Header=BB201_6 Depth=1
	s_branch .LBB201_22
.LBB201_32:                             ;   in Loop: Header=BB201_6 Depth=1
	s_branch .LBB201_26
.LBB201_33:                             ;   in Loop: Header=BB201_6 Depth=1
.LBB201_34:                             ;   in Loop: Header=BB201_6 Depth=1
	global_store_b64 v[20:21], v[18:19], off
	s_branch .LBB201_5
.LBB201_35:
	s_endpgm
	.section	.rodata,"a",@progbits
	.p2align	6, 0x0
	.amdhsa_kernel _ZL29rocblas_internal_gemmt_kernelIlLi16ELi32ELi8ELc84ELc78ELc85ELb0ELb0EddPKdPdEviT_T9_T10_S3_lS5_S3_lS4_T11_S3_li
		.amdhsa_group_segment_fixed_size 4096
		.amdhsa_private_segment_fixed_size 0
		.amdhsa_kernarg_size 108
		.amdhsa_user_sgpr_count 2
		.amdhsa_user_sgpr_dispatch_ptr 0
		.amdhsa_user_sgpr_queue_ptr 0
		.amdhsa_user_sgpr_kernarg_segment_ptr 1
		.amdhsa_user_sgpr_dispatch_id 0
		.amdhsa_user_sgpr_kernarg_preload_length 0
		.amdhsa_user_sgpr_kernarg_preload_offset 0
		.amdhsa_user_sgpr_private_segment_size 0
		.amdhsa_wavefront_size32 1
		.amdhsa_uses_dynamic_stack 0
		.amdhsa_enable_private_segment 0
		.amdhsa_system_sgpr_workgroup_id_x 1
		.amdhsa_system_sgpr_workgroup_id_y 1
		.amdhsa_system_sgpr_workgroup_id_z 1
		.amdhsa_system_sgpr_workgroup_info 0
		.amdhsa_system_vgpr_workitem_id 1
		.amdhsa_next_free_vgpr 52
		.amdhsa_next_free_sgpr 36
		.amdhsa_named_barrier_count 0
		.amdhsa_reserve_vcc 1
		.amdhsa_float_round_mode_32 0
		.amdhsa_float_round_mode_16_64 0
		.amdhsa_float_denorm_mode_32 3
		.amdhsa_float_denorm_mode_16_64 3
		.amdhsa_fp16_overflow 0
		.amdhsa_memory_ordered 1
		.amdhsa_forward_progress 1
		.amdhsa_inst_pref_size 13
		.amdhsa_round_robin_scheduling 0
		.amdhsa_exception_fp_ieee_invalid_op 0
		.amdhsa_exception_fp_denorm_src 0
		.amdhsa_exception_fp_ieee_div_zero 0
		.amdhsa_exception_fp_ieee_overflow 0
		.amdhsa_exception_fp_ieee_underflow 0
		.amdhsa_exception_fp_ieee_inexact 0
		.amdhsa_exception_int_div_zero 0
	.end_amdhsa_kernel
	.section	.text._ZL29rocblas_internal_gemmt_kernelIlLi16ELi32ELi8ELc84ELc78ELc85ELb0ELb0EddPKdPdEviT_T9_T10_S3_lS5_S3_lS4_T11_S3_li,"axG",@progbits,_ZL29rocblas_internal_gemmt_kernelIlLi16ELi32ELi8ELc84ELc78ELc85ELb0ELb0EddPKdPdEviT_T9_T10_S3_lS5_S3_lS4_T11_S3_li,comdat
.Lfunc_end201:
	.size	_ZL29rocblas_internal_gemmt_kernelIlLi16ELi32ELi8ELc84ELc78ELc85ELb0ELb0EddPKdPdEviT_T9_T10_S3_lS5_S3_lS4_T11_S3_li, .Lfunc_end201-_ZL29rocblas_internal_gemmt_kernelIlLi16ELi32ELi8ELc84ELc78ELc85ELb0ELb0EddPKdPdEviT_T9_T10_S3_lS5_S3_lS4_T11_S3_li
                                        ; -- End function
	.set _ZL29rocblas_internal_gemmt_kernelIlLi16ELi32ELi8ELc84ELc78ELc85ELb0ELb0EddPKdPdEviT_T9_T10_S3_lS5_S3_lS4_T11_S3_li.num_vgpr, 52
	.set _ZL29rocblas_internal_gemmt_kernelIlLi16ELi32ELi8ELc84ELc78ELc85ELb0ELb0EddPKdPdEviT_T9_T10_S3_lS5_S3_lS4_T11_S3_li.num_agpr, 0
	.set _ZL29rocblas_internal_gemmt_kernelIlLi16ELi32ELi8ELc84ELc78ELc85ELb0ELb0EddPKdPdEviT_T9_T10_S3_lS5_S3_lS4_T11_S3_li.numbered_sgpr, 36
	.set _ZL29rocblas_internal_gemmt_kernelIlLi16ELi32ELi8ELc84ELc78ELc85ELb0ELb0EddPKdPdEviT_T9_T10_S3_lS5_S3_lS4_T11_S3_li.num_named_barrier, 0
	.set _ZL29rocblas_internal_gemmt_kernelIlLi16ELi32ELi8ELc84ELc78ELc85ELb0ELb0EddPKdPdEviT_T9_T10_S3_lS5_S3_lS4_T11_S3_li.private_seg_size, 0
	.set _ZL29rocblas_internal_gemmt_kernelIlLi16ELi32ELi8ELc84ELc78ELc85ELb0ELb0EddPKdPdEviT_T9_T10_S3_lS5_S3_lS4_T11_S3_li.uses_vcc, 1
	.set _ZL29rocblas_internal_gemmt_kernelIlLi16ELi32ELi8ELc84ELc78ELc85ELb0ELb0EddPKdPdEviT_T9_T10_S3_lS5_S3_lS4_T11_S3_li.uses_flat_scratch, 0
	.set _ZL29rocblas_internal_gemmt_kernelIlLi16ELi32ELi8ELc84ELc78ELc85ELb0ELb0EddPKdPdEviT_T9_T10_S3_lS5_S3_lS4_T11_S3_li.has_dyn_sized_stack, 0
	.set _ZL29rocblas_internal_gemmt_kernelIlLi16ELi32ELi8ELc84ELc78ELc85ELb0ELb0EddPKdPdEviT_T9_T10_S3_lS5_S3_lS4_T11_S3_li.has_recursion, 0
	.set _ZL29rocblas_internal_gemmt_kernelIlLi16ELi32ELi8ELc84ELc78ELc85ELb0ELb0EddPKdPdEviT_T9_T10_S3_lS5_S3_lS4_T11_S3_li.has_indirect_call, 0
	.section	.AMDGPU.csdata,"",@progbits
; Kernel info:
; codeLenInByte = 1580
; TotalNumSgprs: 38
; NumVgprs: 52
; ScratchSize: 0
; MemoryBound: 0
; FloatMode: 240
; IeeeMode: 1
; LDSByteSize: 4096 bytes/workgroup (compile time only)
; SGPRBlocks: 0
; VGPRBlocks: 3
; NumSGPRsForWavesPerEU: 38
; NumVGPRsForWavesPerEU: 52
; NamedBarCnt: 0
; Occupancy: 16
; WaveLimiterHint : 0
; COMPUTE_PGM_RSRC2:SCRATCH_EN: 0
; COMPUTE_PGM_RSRC2:USER_SGPR: 2
; COMPUTE_PGM_RSRC2:TRAP_HANDLER: 0
; COMPUTE_PGM_RSRC2:TGID_X_EN: 1
; COMPUTE_PGM_RSRC2:TGID_Y_EN: 1
; COMPUTE_PGM_RSRC2:TGID_Z_EN: 1
; COMPUTE_PGM_RSRC2:TIDIG_COMP_CNT: 1
	.section	.text._ZL29rocblas_internal_gemmt_kernelIlLi16ELi32ELi8ELc84ELc84ELc85ELb0ELb0EddPKdPdEviT_T9_T10_S3_lS5_S3_lS4_T11_S3_li,"axG",@progbits,_ZL29rocblas_internal_gemmt_kernelIlLi16ELi32ELi8ELc84ELc84ELc85ELb0ELb0EddPKdPdEviT_T9_T10_S3_lS5_S3_lS4_T11_S3_li,comdat
	.globl	_ZL29rocblas_internal_gemmt_kernelIlLi16ELi32ELi8ELc84ELc84ELc85ELb0ELb0EddPKdPdEviT_T9_T10_S3_lS5_S3_lS4_T11_S3_li ; -- Begin function _ZL29rocblas_internal_gemmt_kernelIlLi16ELi32ELi8ELc84ELc84ELc85ELb0ELb0EddPKdPdEviT_T9_T10_S3_lS5_S3_lS4_T11_S3_li
	.p2align	8
	.type	_ZL29rocblas_internal_gemmt_kernelIlLi16ELi32ELi8ELc84ELc84ELc85ELb0ELb0EddPKdPdEviT_T9_T10_S3_lS5_S3_lS4_T11_S3_li,@function
_ZL29rocblas_internal_gemmt_kernelIlLi16ELi32ELi8ELc84ELc84ELc85ELb0ELb0EddPKdPdEviT_T9_T10_S3_lS5_S3_lS4_T11_S3_li: ; @_ZL29rocblas_internal_gemmt_kernelIlLi16ELi32ELi8ELc84ELc84ELc85ELb0ELb0EddPKdPdEviT_T9_T10_S3_lS5_S3_lS4_T11_S3_li
; %bb.0:
	s_clause 0x1
	s_load_b256 s[24:31], s[0:1], 0x48
	s_load_b512 s[8:23], s[0:1], 0x8
	s_wait_kmcnt 0x0
	v_cmp_neq_f64_e64 s2, s[24:25], 1.0
	s_and_b32 vcc_lo, exec_lo, s2
	s_cbranch_vccnz .LBB202_2
; %bb.1:
	v_cmp_neq_f64_e64 s2, s[10:11], 0
	s_cmp_lg_u64 s[8:9], 0
	s_cselect_b32 s3, -1, 0
	s_delay_alu instid0(SALU_CYCLE_1)
	s_and_b32 s2, s3, s2
.LBB202_2:
	s_delay_alu instid0(SALU_CYCLE_1)
	s_and_not1_b32 vcc_lo, exec_lo, s2
	s_cbranch_vccnz .LBB202_35
; %bb.3:
	s_load_b32 s33, s[0:1], 0x68
	s_bfe_u32 s2, ttmp6, 0x40014
	s_lshr_b32 s3, ttmp7, 16
	s_add_co_i32 s2, s2, 1
	s_bfe_u32 s5, ttmp6, 0x40008
	s_mul_i32 s4, s3, s2
	s_getreg_b32 s2, hwreg(HW_REG_IB_STS2, 6, 4)
	s_add_co_i32 s5, s5, s4
	s_cmp_eq_u32 s2, 0
	s_mov_b32 s7, 0
	s_cselect_b32 s6, s3, s5
	s_wait_kmcnt 0x0
	s_cmp_ge_u32 s6, s33
	s_cbranch_scc1 .LBB202_35
; %bb.4:
	s_bfe_u32 s3, ttmp6, 0x4000c
	s_bfe_u32 s5, ttmp6, 0x40010
	s_add_co_i32 s3, s3, 1
	s_and_b32 s34, ttmp7, 0xffff
	s_add_co_i32 s5, s5, 1
	v_and_b32_e32 v6, 0x3ff, v0
	v_bfe_u32 v7, v0, 10, 10
	s_and_b32 s4, ttmp6, 15
	s_mul_i32 s3, ttmp9, s3
	s_mul_i32 s5, s34, s5
	s_bfe_u32 s35, ttmp6, 0x40004
	s_add_co_i32 s4, s4, s3
	s_add_co_i32 s35, s35, s5
	s_cmp_eq_u32 s2, 0
	v_lshl_add_u32 v8, v7, 4, v6
	s_cselect_b32 s3, s34, s35
	s_cselect_b32 s2, ttmp9, s4
	s_lshl_b32 s3, s3, 5
	s_lshl_b32 s2, s2, 5
	v_dual_add_nc_u32 v14, s3, v7 :: v_dual_bitop2_b32 v10, 31, v8 bitop3:0x40
	v_and_b32_e32 v0, 7, v0
	v_cmp_neq_f64_e64 s34, s[10:11], 0
	s_load_b32 s4, s[0:1], 0x0
	v_lshlrev_b32_e32 v1, 3, v6
	v_add_nc_u32_e32 v16, 16, v14
	v_or_b32_e32 v12, s2, v10
	v_dual_ashrrev_i32 v15, 31, v14 :: v_dual_lshlrev_b32 v11, 3, v0
	s_delay_alu instid0(VALU_DEP_3) | instskip(NEXT) | instid1(VALU_DEP_3)
	v_dual_add_nc_u32 v6, s2, v6 :: v_dual_ashrrev_i32 v17, 31, v16
	v_ashrrev_i32_e32 v13, 31, v12
	s_delay_alu instid0(VALU_DEP_3) | instskip(SKIP_1) | instid1(VALU_DEP_4)
	v_mul_u64_e32 v[2:3], s[28:29], v[14:15]
	v_lshl_add_u32 v9, v7, 6, 0x800
	v_cmp_le_i32_e32 vcc_lo, v6, v14
	v_mul_u64_e32 v[4:5], s[28:29], v[16:17]
	v_mul_u64_e32 v[18:19], s[14:15], v[12:13]
	v_cmp_neq_f64_e64 s14, s[24:25], 0
	v_dual_lshrrev_b32 v13, 3, v8 :: v_dual_lshrrev_b32 v8, 5, v8
	v_ashrrev_i32_e32 v7, 31, v6
	v_cmp_gt_i64_e64 s35, s[8:9], 0
	s_delay_alu instid0(VALU_DEP_3)
	v_dual_mov_b32 v17, 0 :: v_dual_add_nc_u32 v20, s3, v13
	v_lshlrev_b32_e32 v15, 3, v10
	v_add_nc_u32_e32 v10, 16, v6
	s_wait_kmcnt 0x0
	v_cmp_gt_i32_e64 s2, s4, v14
	v_lshl_or_b32 v11, v13, 6, v11
	v_ashrrev_i32_e32 v21, 31, v20
	v_cmp_gt_i32_e64 s0, s4, v12
	v_cmp_gt_i32_e64 s1, s4, v20
	v_cmp_le_i32_e64 s3, v10, v14
	v_cmp_gt_i32_e64 s4, s4, v16
	s_and_b32 s15, s2, vcc_lo
	v_cmp_le_i32_e32 vcc_lo, v6, v16
	v_cmp_le_i32_e64 s5, v10, v16
	v_lshl_or_b32 v34, v8, 8, v15
	v_add_nc_u32_e32 v35, 0x800, v11
	v_ashrrev_i32_e32 v11, 31, v10
	v_lshl_add_u64 v[12:13], v[20:21], 3, s[18:19]
	s_and_b32 s18, s4, vcc_lo
	s_and_b32 s4, s4, s5
	v_lshl_add_u64 v[14:15], v[18:19], 3, s[12:13]
	s_and_b32 s12, s34, s35
	s_and_b32 s13, s2, s3
	s_branch .LBB202_6
.LBB202_5:                              ;   in Loop: Header=BB202_6 Depth=1
	s_wait_xcnt 0x0
	s_or_b32 exec_lo, exec_lo, s2
	s_add_co_i32 s6, s6, 0x10000
	s_delay_alu instid0(SALU_CYCLE_1)
	s_cmp_lt_u32 s6, s33
	s_cbranch_scc0 .LBB202_35
.LBB202_6:                              ; =>This Loop Header: Depth=1
                                        ;     Child Loop BB202_9 Depth 2
	v_mov_b64_e32 v[24:25], 0
	v_mov_b64_e32 v[22:23], 0
	;; [unrolled: 1-line block ×4, first 2 shown]
	s_and_not1_b32 vcc_lo, exec_lo, s12
	s_cbranch_vccnz .LBB202_15
; %bb.7:                                ;   in Loop: Header=BB202_6 Depth=1
	s_mul_u64 s[2:3], s[22:23], s[6:7]
	s_mul_u64 s[28:29], s[16:17], s[6:7]
	v_mov_b64_e32 v[18:19], 0
	v_mov_b64_e32 v[20:21], 0
	;; [unrolled: 1-line block ×4, first 2 shown]
	v_lshl_add_u64 v[26:27], s[28:29], 3, v[14:15]
	v_lshl_add_u64 v[28:29], s[2:3], 3, v[12:13]
	s_mov_b64 s[2:3], 0
	s_branch .LBB202_9
.LBB202_8:                              ;   in Loop: Header=BB202_9 Depth=2
	s_wait_xcnt 0x0
	s_or_b32 exec_lo, exec_lo, s5
	s_wait_loadcnt 0x0
	ds_store_b64 v35, v[32:33]
	s_wait_dscnt 0x0
	s_barrier_signal -1
	s_barrier_wait -1
	ds_load_b128 v[30:33], v9
	ds_load_2addr_b64 v[36:39], v1 offset1:16
	ds_load_b128 v[40:43], v9 offset:1024
	ds_load_b128 v[44:47], v9 offset:16
	;; [unrolled: 1-line block ×3, first 2 shown]
	s_add_nc_u64 s[2:3], s[2:3], 8
	s_delay_alu instid0(SALU_CYCLE_1)
	v_cmp_gt_i64_e64 s5, s[8:9], s[2:3]
	s_and_b32 vcc_lo, exec_lo, s5
	s_wait_dscnt 0x3
	v_fmac_f64_e32 v[24:25], v[36:37], v[30:31]
	v_fmac_f64_e32 v[22:23], v[38:39], v[30:31]
	s_wait_dscnt 0x2
	v_fmac_f64_e32 v[20:21], v[36:37], v[40:41]
	v_fmac_f64_e32 v[18:19], v[38:39], v[40:41]
	ds_load_2addr_b64 v[36:39], v1 offset0:32 offset1:48
	s_wait_dscnt 0x0
	v_fmac_f64_e32 v[24:25], v[36:37], v[32:33]
	v_fmac_f64_e32 v[22:23], v[38:39], v[32:33]
	v_fmac_f64_e32 v[20:21], v[36:37], v[42:43]
	v_fmac_f64_e32 v[18:19], v[38:39], v[42:43]
	ds_load_2addr_b64 v[30:33], v1 offset0:64 offset1:80
	s_wait_dscnt 0x0
	v_fmac_f64_e32 v[24:25], v[30:31], v[44:45]
	v_fmac_f64_e32 v[22:23], v[32:33], v[44:45]
	;; [unrolled: 6-line block ×3, first 2 shown]
	v_fmac_f64_e32 v[20:21], v[30:31], v[50:51]
	v_fmac_f64_e32 v[18:19], v[32:33], v[50:51]
	ds_load_b128 v[30:33], v9 offset:32
	ds_load_2addr_b64 v[36:39], v1 offset0:128 offset1:144
	ds_load_b128 v[40:43], v9 offset:1056
	ds_load_b128 v[44:47], v9 offset:48
	ds_load_b128 v[48:51], v9 offset:1072
	s_wait_dscnt 0x3
	v_fmac_f64_e32 v[24:25], v[36:37], v[30:31]
	v_fmac_f64_e32 v[22:23], v[38:39], v[30:31]
	s_wait_dscnt 0x2
	v_fmac_f64_e32 v[20:21], v[36:37], v[40:41]
	v_fmac_f64_e32 v[18:19], v[38:39], v[40:41]
	ds_load_2addr_b64 v[36:39], v1 offset0:160 offset1:176
	s_wait_dscnt 0x0
	v_fmac_f64_e32 v[24:25], v[36:37], v[32:33]
	v_fmac_f64_e32 v[22:23], v[38:39], v[32:33]
	;; [unrolled: 1-line block ×4, first 2 shown]
	ds_load_2addr_b64 v[30:33], v1 offset0:192 offset1:208
	s_wait_dscnt 0x0
	v_fmac_f64_e32 v[24:25], v[30:31], v[44:45]
	v_fmac_f64_e32 v[22:23], v[32:33], v[44:45]
	;; [unrolled: 1-line block ×4, first 2 shown]
	ds_load_2addr_b64 v[30:33], v1 offset0:224 offset1:240
	s_wait_dscnt 0x0
	s_barrier_signal -1
	s_barrier_wait -1
	v_fmac_f64_e32 v[24:25], v[30:31], v[46:47]
	v_fmac_f64_e32 v[22:23], v[32:33], v[46:47]
	;; [unrolled: 1-line block ×4, first 2 shown]
	s_cbranch_vccz .LBB202_15
.LBB202_9:                              ;   Parent Loop BB202_6 Depth=1
                                        ; =>  This Inner Loop Header: Depth=2
	v_mov_b64_e32 v[30:31], 0
	s_and_saveexec_b32 s5, s0
	s_cbranch_execz .LBB202_13
; %bb.10:                               ;   in Loop: Header=BB202_9 Depth=2
	v_mov_b64_e32 v[30:31], 0
	v_add_nc_u32_e32 v16, s2, v8
	s_mov_b32 s19, exec_lo
	s_delay_alu instid0(VALU_DEP_1)
	v_cmpx_gt_u64_e64 s[8:9], v[16:17]
	s_cbranch_execz .LBB202_12
; %bb.11:                               ;   in Loop: Header=BB202_9 Depth=2
	v_lshl_add_u64 v[30:31], v[16:17], 3, v[26:27]
	global_load_b64 v[30:31], v[30:31], off
.LBB202_12:                             ;   in Loop: Header=BB202_9 Depth=2
	s_wait_xcnt 0x0
	s_or_b32 exec_lo, exec_lo, s19
.LBB202_13:                             ;   in Loop: Header=BB202_9 Depth=2
	s_delay_alu instid0(SALU_CYCLE_1)
	s_or_b32 exec_lo, exec_lo, s5
	v_add_nc_u32_e32 v16, s2, v0
	v_mov_b64_e32 v[32:33], 0
	s_wait_loadcnt 0x0
	ds_store_b64 v34, v[30:31]
	v_cmp_gt_u64_e32 vcc_lo, s[8:9], v[16:17]
	s_and_b32 s19, vcc_lo, s1
	s_delay_alu instid0(SALU_CYCLE_1)
	s_and_saveexec_b32 s5, s19
	s_cbranch_execz .LBB202_8
; %bb.14:                               ;   in Loop: Header=BB202_9 Depth=2
	v_mul_u64_e32 v[30:31], s[20:21], v[16:17]
	s_delay_alu instid0(VALU_DEP_1)
	v_lshl_add_u64 v[30:31], v[30:31], 3, v[28:29]
	global_load_b64 v[32:33], v[30:31], off
	s_branch .LBB202_8
.LBB202_15:                             ;   in Loop: Header=BB202_6 Depth=1
	s_mul_u64 s[2:3], s[30:31], s[6:7]
	s_delay_alu instid0(SALU_CYCLE_1) | instskip(NEXT) | instid1(SALU_CYCLE_1)
	s_lshl_b64 s[2:3], s[2:3], 3
	s_add_nc_u64 s[2:3], s[26:27], s[2:3]
	s_delay_alu instid0(SALU_CYCLE_1)
	v_lshl_add_u64 v[26:27], v[2:3], 3, s[2:3]
	s_and_saveexec_b32 s5, s15
	s_cbranch_execz .LBB202_19
; %bb.16:                               ;   in Loop: Header=BB202_6 Depth=1
	v_mul_f64_e32 v[24:25], s[10:11], v[24:25]
	s_delay_alu instid0(VALU_DEP_2)
	v_lshl_add_u64 v[28:29], v[6:7], 3, v[26:27]
	s_and_b32 vcc_lo, exec_lo, s14
	s_cbranch_vccz .LBB202_30
; %bb.17:                               ;   in Loop: Header=BB202_6 Depth=1
	global_load_b64 v[30:31], v[28:29], off
	s_wait_loadcnt 0x0
	v_fma_f64 v[30:31], s[24:25], v[30:31], v[24:25]
	global_store_b64 v[28:29], v[30:31], off
	s_cbranch_execnz .LBB202_19
.LBB202_18:                             ;   in Loop: Header=BB202_6 Depth=1
	global_store_b64 v[28:29], v[24:25], off
.LBB202_19:                             ;   in Loop: Header=BB202_6 Depth=1
	s_wait_xcnt 0x0
	s_or_b32 exec_lo, exec_lo, s5
	s_and_saveexec_b32 s5, s13
	s_cbranch_execz .LBB202_23
; %bb.20:                               ;   in Loop: Header=BB202_6 Depth=1
	s_delay_alu instid0(VALU_DEP_4)
	v_mul_f64_e32 v[22:23], s[10:11], v[22:23]
	v_lshl_add_u64 v[24:25], v[10:11], 3, v[26:27]
	s_and_not1_b32 vcc_lo, exec_lo, s14
	s_cbranch_vccnz .LBB202_31
; %bb.21:                               ;   in Loop: Header=BB202_6 Depth=1
	global_load_b64 v[26:27], v[24:25], off
	s_wait_loadcnt 0x0
	v_fma_f64 v[26:27], s[24:25], v[26:27], v[22:23]
	global_store_b64 v[24:25], v[26:27], off
	s_cbranch_execnz .LBB202_23
.LBB202_22:                             ;   in Loop: Header=BB202_6 Depth=1
	global_store_b64 v[24:25], v[22:23], off
.LBB202_23:                             ;   in Loop: Header=BB202_6 Depth=1
	s_wait_xcnt 0x0
	s_or_b32 exec_lo, exec_lo, s5
	v_lshl_add_u64 v[22:23], v[4:5], 3, s[2:3]
	s_and_saveexec_b32 s2, s18
	s_cbranch_execz .LBB202_27
; %bb.24:                               ;   in Loop: Header=BB202_6 Depth=1
	s_delay_alu instid0(VALU_DEP_4) | instskip(NEXT) | instid1(VALU_DEP_2)
	v_mul_f64_e32 v[20:21], s[10:11], v[20:21]
	v_lshl_add_u64 v[24:25], v[6:7], 3, v[22:23]
	s_and_not1_b32 vcc_lo, exec_lo, s14
	s_cbranch_vccnz .LBB202_32
; %bb.25:                               ;   in Loop: Header=BB202_6 Depth=1
	global_load_b64 v[26:27], v[24:25], off
	s_wait_loadcnt 0x0
	v_fma_f64 v[26:27], s[24:25], v[26:27], v[20:21]
	global_store_b64 v[24:25], v[26:27], off
	s_cbranch_execnz .LBB202_27
.LBB202_26:                             ;   in Loop: Header=BB202_6 Depth=1
	global_store_b64 v[24:25], v[20:21], off
.LBB202_27:                             ;   in Loop: Header=BB202_6 Depth=1
	s_wait_xcnt 0x0
	s_or_b32 exec_lo, exec_lo, s2
	s_and_saveexec_b32 s2, s4
	s_cbranch_execz .LBB202_5
; %bb.28:                               ;   in Loop: Header=BB202_6 Depth=1
	s_delay_alu instid0(VALU_DEP_3)
	v_mul_f64_e32 v[18:19], s[10:11], v[18:19]
	v_lshl_add_u64 v[20:21], v[10:11], 3, v[22:23]
	s_and_not1_b32 vcc_lo, exec_lo, s14
	s_cbranch_vccnz .LBB202_33
; %bb.29:                               ;   in Loop: Header=BB202_6 Depth=1
	global_load_b64 v[22:23], v[20:21], off
	s_wait_loadcnt 0x0
	v_fma_f64 v[22:23], s[24:25], v[22:23], v[18:19]
	global_store_b64 v[20:21], v[22:23], off
	s_cbranch_execnz .LBB202_5
	s_branch .LBB202_34
.LBB202_30:                             ;   in Loop: Header=BB202_6 Depth=1
	s_branch .LBB202_18
.LBB202_31:                             ;   in Loop: Header=BB202_6 Depth=1
	s_branch .LBB202_22
.LBB202_32:                             ;   in Loop: Header=BB202_6 Depth=1
	s_branch .LBB202_26
.LBB202_33:                             ;   in Loop: Header=BB202_6 Depth=1
.LBB202_34:                             ;   in Loop: Header=BB202_6 Depth=1
	global_store_b64 v[20:21], v[18:19], off
	s_branch .LBB202_5
.LBB202_35:
	s_endpgm
	.section	.rodata,"a",@progbits
	.p2align	6, 0x0
	.amdhsa_kernel _ZL29rocblas_internal_gemmt_kernelIlLi16ELi32ELi8ELc84ELc84ELc85ELb0ELb0EddPKdPdEviT_T9_T10_S3_lS5_S3_lS4_T11_S3_li
		.amdhsa_group_segment_fixed_size 4096
		.amdhsa_private_segment_fixed_size 0
		.amdhsa_kernarg_size 108
		.amdhsa_user_sgpr_count 2
		.amdhsa_user_sgpr_dispatch_ptr 0
		.amdhsa_user_sgpr_queue_ptr 0
		.amdhsa_user_sgpr_kernarg_segment_ptr 1
		.amdhsa_user_sgpr_dispatch_id 0
		.amdhsa_user_sgpr_kernarg_preload_length 0
		.amdhsa_user_sgpr_kernarg_preload_offset 0
		.amdhsa_user_sgpr_private_segment_size 0
		.amdhsa_wavefront_size32 1
		.amdhsa_uses_dynamic_stack 0
		.amdhsa_enable_private_segment 0
		.amdhsa_system_sgpr_workgroup_id_x 1
		.amdhsa_system_sgpr_workgroup_id_y 1
		.amdhsa_system_sgpr_workgroup_id_z 1
		.amdhsa_system_sgpr_workgroup_info 0
		.amdhsa_system_vgpr_workitem_id 1
		.amdhsa_next_free_vgpr 52
		.amdhsa_next_free_sgpr 36
		.amdhsa_named_barrier_count 0
		.amdhsa_reserve_vcc 1
		.amdhsa_float_round_mode_32 0
		.amdhsa_float_round_mode_16_64 0
		.amdhsa_float_denorm_mode_32 3
		.amdhsa_float_denorm_mode_16_64 3
		.amdhsa_fp16_overflow 0
		.amdhsa_memory_ordered 1
		.amdhsa_forward_progress 1
		.amdhsa_inst_pref_size 13
		.amdhsa_round_robin_scheduling 0
		.amdhsa_exception_fp_ieee_invalid_op 0
		.amdhsa_exception_fp_denorm_src 0
		.amdhsa_exception_fp_ieee_div_zero 0
		.amdhsa_exception_fp_ieee_overflow 0
		.amdhsa_exception_fp_ieee_underflow 0
		.amdhsa_exception_fp_ieee_inexact 0
		.amdhsa_exception_int_div_zero 0
	.end_amdhsa_kernel
	.section	.text._ZL29rocblas_internal_gemmt_kernelIlLi16ELi32ELi8ELc84ELc84ELc85ELb0ELb0EddPKdPdEviT_T9_T10_S3_lS5_S3_lS4_T11_S3_li,"axG",@progbits,_ZL29rocblas_internal_gemmt_kernelIlLi16ELi32ELi8ELc84ELc84ELc85ELb0ELb0EddPKdPdEviT_T9_T10_S3_lS5_S3_lS4_T11_S3_li,comdat
.Lfunc_end202:
	.size	_ZL29rocblas_internal_gemmt_kernelIlLi16ELi32ELi8ELc84ELc84ELc85ELb0ELb0EddPKdPdEviT_T9_T10_S3_lS5_S3_lS4_T11_S3_li, .Lfunc_end202-_ZL29rocblas_internal_gemmt_kernelIlLi16ELi32ELi8ELc84ELc84ELc85ELb0ELb0EddPKdPdEviT_T9_T10_S3_lS5_S3_lS4_T11_S3_li
                                        ; -- End function
	.set _ZL29rocblas_internal_gemmt_kernelIlLi16ELi32ELi8ELc84ELc84ELc85ELb0ELb0EddPKdPdEviT_T9_T10_S3_lS5_S3_lS4_T11_S3_li.num_vgpr, 52
	.set _ZL29rocblas_internal_gemmt_kernelIlLi16ELi32ELi8ELc84ELc84ELc85ELb0ELb0EddPKdPdEviT_T9_T10_S3_lS5_S3_lS4_T11_S3_li.num_agpr, 0
	.set _ZL29rocblas_internal_gemmt_kernelIlLi16ELi32ELi8ELc84ELc84ELc85ELb0ELb0EddPKdPdEviT_T9_T10_S3_lS5_S3_lS4_T11_S3_li.numbered_sgpr, 36
	.set _ZL29rocblas_internal_gemmt_kernelIlLi16ELi32ELi8ELc84ELc84ELc85ELb0ELb0EddPKdPdEviT_T9_T10_S3_lS5_S3_lS4_T11_S3_li.num_named_barrier, 0
	.set _ZL29rocblas_internal_gemmt_kernelIlLi16ELi32ELi8ELc84ELc84ELc85ELb0ELb0EddPKdPdEviT_T9_T10_S3_lS5_S3_lS4_T11_S3_li.private_seg_size, 0
	.set _ZL29rocblas_internal_gemmt_kernelIlLi16ELi32ELi8ELc84ELc84ELc85ELb0ELb0EddPKdPdEviT_T9_T10_S3_lS5_S3_lS4_T11_S3_li.uses_vcc, 1
	.set _ZL29rocblas_internal_gemmt_kernelIlLi16ELi32ELi8ELc84ELc84ELc85ELb0ELb0EddPKdPdEviT_T9_T10_S3_lS5_S3_lS4_T11_S3_li.uses_flat_scratch, 0
	.set _ZL29rocblas_internal_gemmt_kernelIlLi16ELi32ELi8ELc84ELc84ELc85ELb0ELb0EddPKdPdEviT_T9_T10_S3_lS5_S3_lS4_T11_S3_li.has_dyn_sized_stack, 0
	.set _ZL29rocblas_internal_gemmt_kernelIlLi16ELi32ELi8ELc84ELc84ELc85ELb0ELb0EddPKdPdEviT_T9_T10_S3_lS5_S3_lS4_T11_S3_li.has_recursion, 0
	.set _ZL29rocblas_internal_gemmt_kernelIlLi16ELi32ELi8ELc84ELc84ELc85ELb0ELb0EddPKdPdEviT_T9_T10_S3_lS5_S3_lS4_T11_S3_li.has_indirect_call, 0
	.section	.AMDGPU.csdata,"",@progbits
; Kernel info:
; codeLenInByte = 1564
; TotalNumSgprs: 38
; NumVgprs: 52
; ScratchSize: 0
; MemoryBound: 0
; FloatMode: 240
; IeeeMode: 1
; LDSByteSize: 4096 bytes/workgroup (compile time only)
; SGPRBlocks: 0
; VGPRBlocks: 3
; NumSGPRsForWavesPerEU: 38
; NumVGPRsForWavesPerEU: 52
; NamedBarCnt: 0
; Occupancy: 16
; WaveLimiterHint : 0
; COMPUTE_PGM_RSRC2:SCRATCH_EN: 0
; COMPUTE_PGM_RSRC2:USER_SGPR: 2
; COMPUTE_PGM_RSRC2:TRAP_HANDLER: 0
; COMPUTE_PGM_RSRC2:TGID_X_EN: 1
; COMPUTE_PGM_RSRC2:TGID_Y_EN: 1
; COMPUTE_PGM_RSRC2:TGID_Z_EN: 1
; COMPUTE_PGM_RSRC2:TIDIG_COMP_CNT: 1
	.section	.text._ZL29rocblas_internal_gemmt_kernelIlLi16ELi32ELi8ELc84ELc67ELc85ELb0ELb0EddPKdPdEviT_T9_T10_S3_lS5_S3_lS4_T11_S3_li,"axG",@progbits,_ZL29rocblas_internal_gemmt_kernelIlLi16ELi32ELi8ELc84ELc67ELc85ELb0ELb0EddPKdPdEviT_T9_T10_S3_lS5_S3_lS4_T11_S3_li,comdat
	.globl	_ZL29rocblas_internal_gemmt_kernelIlLi16ELi32ELi8ELc84ELc67ELc85ELb0ELb0EddPKdPdEviT_T9_T10_S3_lS5_S3_lS4_T11_S3_li ; -- Begin function _ZL29rocblas_internal_gemmt_kernelIlLi16ELi32ELi8ELc84ELc67ELc85ELb0ELb0EddPKdPdEviT_T9_T10_S3_lS5_S3_lS4_T11_S3_li
	.p2align	8
	.type	_ZL29rocblas_internal_gemmt_kernelIlLi16ELi32ELi8ELc84ELc67ELc85ELb0ELb0EddPKdPdEviT_T9_T10_S3_lS5_S3_lS4_T11_S3_li,@function
_ZL29rocblas_internal_gemmt_kernelIlLi16ELi32ELi8ELc84ELc67ELc85ELb0ELb0EddPKdPdEviT_T9_T10_S3_lS5_S3_lS4_T11_S3_li: ; @_ZL29rocblas_internal_gemmt_kernelIlLi16ELi32ELi8ELc84ELc67ELc85ELb0ELb0EddPKdPdEviT_T9_T10_S3_lS5_S3_lS4_T11_S3_li
; %bb.0:
	s_clause 0x1
	s_load_b256 s[24:31], s[0:1], 0x48
	s_load_b512 s[8:23], s[0:1], 0x8
	s_wait_kmcnt 0x0
	v_cmp_neq_f64_e64 s2, s[24:25], 1.0
	s_and_b32 vcc_lo, exec_lo, s2
	s_cbranch_vccnz .LBB203_2
; %bb.1:
	v_cmp_neq_f64_e64 s2, s[10:11], 0
	s_cmp_lg_u64 s[8:9], 0
	s_cselect_b32 s3, -1, 0
	s_delay_alu instid0(SALU_CYCLE_1)
	s_and_b32 s2, s3, s2
.LBB203_2:
	s_delay_alu instid0(SALU_CYCLE_1)
	s_and_not1_b32 vcc_lo, exec_lo, s2
	s_cbranch_vccnz .LBB203_35
; %bb.3:
	s_load_b32 s33, s[0:1], 0x68
	s_bfe_u32 s2, ttmp6, 0x40014
	s_lshr_b32 s3, ttmp7, 16
	s_add_co_i32 s2, s2, 1
	s_bfe_u32 s5, ttmp6, 0x40008
	s_mul_i32 s4, s3, s2
	s_getreg_b32 s2, hwreg(HW_REG_IB_STS2, 6, 4)
	s_add_co_i32 s5, s5, s4
	s_cmp_eq_u32 s2, 0
	s_mov_b32 s7, 0
	s_cselect_b32 s6, s3, s5
	s_wait_kmcnt 0x0
	s_cmp_ge_u32 s6, s33
	s_cbranch_scc1 .LBB203_35
; %bb.4:
	s_bfe_u32 s3, ttmp6, 0x4000c
	s_bfe_u32 s5, ttmp6, 0x40010
	s_add_co_i32 s3, s3, 1
	s_and_b32 s34, ttmp7, 0xffff
	s_add_co_i32 s5, s5, 1
	v_and_b32_e32 v6, 0x3ff, v0
	v_bfe_u32 v7, v0, 10, 10
	s_and_b32 s4, ttmp6, 15
	s_mul_i32 s3, ttmp9, s3
	s_mul_i32 s5, s34, s5
	s_bfe_u32 s35, ttmp6, 0x40004
	s_add_co_i32 s4, s4, s3
	s_add_co_i32 s35, s35, s5
	s_cmp_eq_u32 s2, 0
	v_lshl_add_u32 v8, v7, 4, v6
	s_cselect_b32 s3, s34, s35
	s_cselect_b32 s2, ttmp9, s4
	s_lshl_b32 s3, s3, 5
	s_lshl_b32 s2, s2, 5
	v_dual_add_nc_u32 v14, s3, v7 :: v_dual_bitop2_b32 v10, 31, v8 bitop3:0x40
	v_and_b32_e32 v0, 7, v0
	v_cmp_neq_f64_e64 s34, s[10:11], 0
	s_load_b32 s4, s[0:1], 0x0
	v_lshlrev_b32_e32 v1, 3, v6
	v_add_nc_u32_e32 v16, 16, v14
	v_or_b32_e32 v12, s2, v10
	v_dual_ashrrev_i32 v15, 31, v14 :: v_dual_lshlrev_b32 v11, 3, v0
	s_delay_alu instid0(VALU_DEP_3) | instskip(NEXT) | instid1(VALU_DEP_3)
	v_dual_add_nc_u32 v6, s2, v6 :: v_dual_ashrrev_i32 v17, 31, v16
	v_ashrrev_i32_e32 v13, 31, v12
	s_delay_alu instid0(VALU_DEP_3) | instskip(SKIP_1) | instid1(VALU_DEP_4)
	v_mul_u64_e32 v[2:3], s[28:29], v[14:15]
	v_lshl_add_u32 v9, v7, 6, 0x800
	v_cmp_le_i32_e32 vcc_lo, v6, v14
	v_mul_u64_e32 v[4:5], s[28:29], v[16:17]
	v_mul_u64_e32 v[18:19], s[14:15], v[12:13]
	v_cmp_neq_f64_e64 s14, s[24:25], 0
	v_dual_lshrrev_b32 v13, 3, v8 :: v_dual_lshrrev_b32 v8, 5, v8
	v_ashrrev_i32_e32 v7, 31, v6
	v_cmp_gt_i64_e64 s35, s[8:9], 0
	s_delay_alu instid0(VALU_DEP_3)
	v_dual_mov_b32 v17, 0 :: v_dual_add_nc_u32 v20, s3, v13
	v_lshlrev_b32_e32 v15, 3, v10
	v_add_nc_u32_e32 v10, 16, v6
	s_wait_kmcnt 0x0
	v_cmp_gt_i32_e64 s2, s4, v14
	v_lshl_or_b32 v11, v13, 6, v11
	v_ashrrev_i32_e32 v21, 31, v20
	v_cmp_gt_i32_e64 s0, s4, v12
	v_cmp_gt_i32_e64 s1, s4, v20
	v_cmp_le_i32_e64 s3, v10, v14
	v_cmp_gt_i32_e64 s4, s4, v16
	s_and_b32 s15, s2, vcc_lo
	v_cmp_le_i32_e32 vcc_lo, v6, v16
	v_cmp_le_i32_e64 s5, v10, v16
	v_lshl_or_b32 v34, v8, 8, v15
	v_add_nc_u32_e32 v35, 0x800, v11
	v_ashrrev_i32_e32 v11, 31, v10
	v_lshl_add_u64 v[12:13], v[20:21], 3, s[18:19]
	s_and_b32 s18, s4, vcc_lo
	s_and_b32 s4, s4, s5
	v_lshl_add_u64 v[14:15], v[18:19], 3, s[12:13]
	s_and_b32 s12, s34, s35
	s_and_b32 s13, s2, s3
	s_branch .LBB203_6
.LBB203_5:                              ;   in Loop: Header=BB203_6 Depth=1
	s_wait_xcnt 0x0
	s_or_b32 exec_lo, exec_lo, s2
	s_add_co_i32 s6, s6, 0x10000
	s_delay_alu instid0(SALU_CYCLE_1)
	s_cmp_lt_u32 s6, s33
	s_cbranch_scc0 .LBB203_35
.LBB203_6:                              ; =>This Loop Header: Depth=1
                                        ;     Child Loop BB203_9 Depth 2
	v_mov_b64_e32 v[24:25], 0
	v_mov_b64_e32 v[22:23], 0
	;; [unrolled: 1-line block ×4, first 2 shown]
	s_and_not1_b32 vcc_lo, exec_lo, s12
	s_cbranch_vccnz .LBB203_15
; %bb.7:                                ;   in Loop: Header=BB203_6 Depth=1
	s_mul_u64 s[2:3], s[22:23], s[6:7]
	s_mul_u64 s[28:29], s[16:17], s[6:7]
	v_mov_b64_e32 v[18:19], 0
	v_mov_b64_e32 v[20:21], 0
	;; [unrolled: 1-line block ×4, first 2 shown]
	v_lshl_add_u64 v[26:27], s[28:29], 3, v[14:15]
	v_lshl_add_u64 v[28:29], s[2:3], 3, v[12:13]
	s_mov_b64 s[2:3], 0
	s_branch .LBB203_9
.LBB203_8:                              ;   in Loop: Header=BB203_9 Depth=2
	s_wait_xcnt 0x0
	s_or_b32 exec_lo, exec_lo, s5
	s_wait_loadcnt 0x0
	ds_store_b64 v35, v[32:33]
	s_wait_dscnt 0x0
	s_barrier_signal -1
	s_barrier_wait -1
	ds_load_b128 v[30:33], v9
	ds_load_2addr_b64 v[36:39], v1 offset1:16
	ds_load_b128 v[40:43], v9 offset:1024
	ds_load_b128 v[44:47], v9 offset:16
	;; [unrolled: 1-line block ×3, first 2 shown]
	s_add_nc_u64 s[2:3], s[2:3], 8
	s_delay_alu instid0(SALU_CYCLE_1)
	v_cmp_gt_i64_e64 s5, s[8:9], s[2:3]
	s_and_b32 vcc_lo, exec_lo, s5
	s_wait_dscnt 0x3
	v_fmac_f64_e32 v[24:25], v[36:37], v[30:31]
	v_fmac_f64_e32 v[22:23], v[38:39], v[30:31]
	s_wait_dscnt 0x2
	v_fmac_f64_e32 v[20:21], v[36:37], v[40:41]
	v_fmac_f64_e32 v[18:19], v[38:39], v[40:41]
	ds_load_2addr_b64 v[36:39], v1 offset0:32 offset1:48
	s_wait_dscnt 0x0
	v_fmac_f64_e32 v[24:25], v[36:37], v[32:33]
	v_fmac_f64_e32 v[22:23], v[38:39], v[32:33]
	v_fmac_f64_e32 v[20:21], v[36:37], v[42:43]
	v_fmac_f64_e32 v[18:19], v[38:39], v[42:43]
	ds_load_2addr_b64 v[30:33], v1 offset0:64 offset1:80
	s_wait_dscnt 0x0
	v_fmac_f64_e32 v[24:25], v[30:31], v[44:45]
	v_fmac_f64_e32 v[22:23], v[32:33], v[44:45]
	;; [unrolled: 6-line block ×3, first 2 shown]
	v_fmac_f64_e32 v[20:21], v[30:31], v[50:51]
	v_fmac_f64_e32 v[18:19], v[32:33], v[50:51]
	ds_load_b128 v[30:33], v9 offset:32
	ds_load_2addr_b64 v[36:39], v1 offset0:128 offset1:144
	ds_load_b128 v[40:43], v9 offset:1056
	ds_load_b128 v[44:47], v9 offset:48
	;; [unrolled: 1-line block ×3, first 2 shown]
	s_wait_dscnt 0x3
	v_fmac_f64_e32 v[24:25], v[36:37], v[30:31]
	v_fmac_f64_e32 v[22:23], v[38:39], v[30:31]
	s_wait_dscnt 0x2
	v_fmac_f64_e32 v[20:21], v[36:37], v[40:41]
	v_fmac_f64_e32 v[18:19], v[38:39], v[40:41]
	ds_load_2addr_b64 v[36:39], v1 offset0:160 offset1:176
	s_wait_dscnt 0x0
	v_fmac_f64_e32 v[24:25], v[36:37], v[32:33]
	v_fmac_f64_e32 v[22:23], v[38:39], v[32:33]
	;; [unrolled: 1-line block ×4, first 2 shown]
	ds_load_2addr_b64 v[30:33], v1 offset0:192 offset1:208
	s_wait_dscnt 0x0
	v_fmac_f64_e32 v[24:25], v[30:31], v[44:45]
	v_fmac_f64_e32 v[22:23], v[32:33], v[44:45]
	;; [unrolled: 1-line block ×4, first 2 shown]
	ds_load_2addr_b64 v[30:33], v1 offset0:224 offset1:240
	s_wait_dscnt 0x0
	s_barrier_signal -1
	s_barrier_wait -1
	v_fmac_f64_e32 v[24:25], v[30:31], v[46:47]
	v_fmac_f64_e32 v[22:23], v[32:33], v[46:47]
	;; [unrolled: 1-line block ×4, first 2 shown]
	s_cbranch_vccz .LBB203_15
.LBB203_9:                              ;   Parent Loop BB203_6 Depth=1
                                        ; =>  This Inner Loop Header: Depth=2
	v_mov_b64_e32 v[30:31], 0
	s_and_saveexec_b32 s5, s0
	s_cbranch_execz .LBB203_13
; %bb.10:                               ;   in Loop: Header=BB203_9 Depth=2
	v_mov_b64_e32 v[30:31], 0
	v_add_nc_u32_e32 v16, s2, v8
	s_mov_b32 s19, exec_lo
	s_delay_alu instid0(VALU_DEP_1)
	v_cmpx_gt_u64_e64 s[8:9], v[16:17]
	s_cbranch_execz .LBB203_12
; %bb.11:                               ;   in Loop: Header=BB203_9 Depth=2
	v_lshl_add_u64 v[30:31], v[16:17], 3, v[26:27]
	global_load_b64 v[30:31], v[30:31], off
.LBB203_12:                             ;   in Loop: Header=BB203_9 Depth=2
	s_wait_xcnt 0x0
	s_or_b32 exec_lo, exec_lo, s19
.LBB203_13:                             ;   in Loop: Header=BB203_9 Depth=2
	s_delay_alu instid0(SALU_CYCLE_1)
	s_or_b32 exec_lo, exec_lo, s5
	v_add_nc_u32_e32 v16, s2, v0
	v_mov_b64_e32 v[32:33], 0
	s_wait_loadcnt 0x0
	ds_store_b64 v34, v[30:31]
	v_cmp_gt_u64_e32 vcc_lo, s[8:9], v[16:17]
	s_and_b32 s19, vcc_lo, s1
	s_delay_alu instid0(SALU_CYCLE_1)
	s_and_saveexec_b32 s5, s19
	s_cbranch_execz .LBB203_8
; %bb.14:                               ;   in Loop: Header=BB203_9 Depth=2
	v_mul_u64_e32 v[30:31], s[20:21], v[16:17]
	s_delay_alu instid0(VALU_DEP_1)
	v_lshl_add_u64 v[30:31], v[30:31], 3, v[28:29]
	global_load_b64 v[32:33], v[30:31], off
	s_branch .LBB203_8
.LBB203_15:                             ;   in Loop: Header=BB203_6 Depth=1
	s_mul_u64 s[2:3], s[30:31], s[6:7]
	s_delay_alu instid0(SALU_CYCLE_1) | instskip(NEXT) | instid1(SALU_CYCLE_1)
	s_lshl_b64 s[2:3], s[2:3], 3
	s_add_nc_u64 s[2:3], s[26:27], s[2:3]
	s_delay_alu instid0(SALU_CYCLE_1)
	v_lshl_add_u64 v[26:27], v[2:3], 3, s[2:3]
	s_and_saveexec_b32 s5, s15
	s_cbranch_execz .LBB203_19
; %bb.16:                               ;   in Loop: Header=BB203_6 Depth=1
	v_mul_f64_e32 v[24:25], s[10:11], v[24:25]
	s_delay_alu instid0(VALU_DEP_2)
	v_lshl_add_u64 v[28:29], v[6:7], 3, v[26:27]
	s_and_b32 vcc_lo, exec_lo, s14
	s_cbranch_vccz .LBB203_30
; %bb.17:                               ;   in Loop: Header=BB203_6 Depth=1
	global_load_b64 v[30:31], v[28:29], off
	s_wait_loadcnt 0x0
	v_fma_f64 v[30:31], s[24:25], v[30:31], v[24:25]
	global_store_b64 v[28:29], v[30:31], off
	s_cbranch_execnz .LBB203_19
.LBB203_18:                             ;   in Loop: Header=BB203_6 Depth=1
	global_store_b64 v[28:29], v[24:25], off
.LBB203_19:                             ;   in Loop: Header=BB203_6 Depth=1
	s_wait_xcnt 0x0
	s_or_b32 exec_lo, exec_lo, s5
	s_and_saveexec_b32 s5, s13
	s_cbranch_execz .LBB203_23
; %bb.20:                               ;   in Loop: Header=BB203_6 Depth=1
	s_delay_alu instid0(VALU_DEP_4)
	v_mul_f64_e32 v[22:23], s[10:11], v[22:23]
	v_lshl_add_u64 v[24:25], v[10:11], 3, v[26:27]
	s_and_not1_b32 vcc_lo, exec_lo, s14
	s_cbranch_vccnz .LBB203_31
; %bb.21:                               ;   in Loop: Header=BB203_6 Depth=1
	global_load_b64 v[26:27], v[24:25], off
	s_wait_loadcnt 0x0
	v_fma_f64 v[26:27], s[24:25], v[26:27], v[22:23]
	global_store_b64 v[24:25], v[26:27], off
	s_cbranch_execnz .LBB203_23
.LBB203_22:                             ;   in Loop: Header=BB203_6 Depth=1
	global_store_b64 v[24:25], v[22:23], off
.LBB203_23:                             ;   in Loop: Header=BB203_6 Depth=1
	s_wait_xcnt 0x0
	s_or_b32 exec_lo, exec_lo, s5
	v_lshl_add_u64 v[22:23], v[4:5], 3, s[2:3]
	s_and_saveexec_b32 s2, s18
	s_cbranch_execz .LBB203_27
; %bb.24:                               ;   in Loop: Header=BB203_6 Depth=1
	s_delay_alu instid0(VALU_DEP_4) | instskip(NEXT) | instid1(VALU_DEP_2)
	v_mul_f64_e32 v[20:21], s[10:11], v[20:21]
	v_lshl_add_u64 v[24:25], v[6:7], 3, v[22:23]
	s_and_not1_b32 vcc_lo, exec_lo, s14
	s_cbranch_vccnz .LBB203_32
; %bb.25:                               ;   in Loop: Header=BB203_6 Depth=1
	global_load_b64 v[26:27], v[24:25], off
	s_wait_loadcnt 0x0
	v_fma_f64 v[26:27], s[24:25], v[26:27], v[20:21]
	global_store_b64 v[24:25], v[26:27], off
	s_cbranch_execnz .LBB203_27
.LBB203_26:                             ;   in Loop: Header=BB203_6 Depth=1
	global_store_b64 v[24:25], v[20:21], off
.LBB203_27:                             ;   in Loop: Header=BB203_6 Depth=1
	s_wait_xcnt 0x0
	s_or_b32 exec_lo, exec_lo, s2
	s_and_saveexec_b32 s2, s4
	s_cbranch_execz .LBB203_5
; %bb.28:                               ;   in Loop: Header=BB203_6 Depth=1
	s_delay_alu instid0(VALU_DEP_3)
	v_mul_f64_e32 v[18:19], s[10:11], v[18:19]
	v_lshl_add_u64 v[20:21], v[10:11], 3, v[22:23]
	s_and_not1_b32 vcc_lo, exec_lo, s14
	s_cbranch_vccnz .LBB203_33
; %bb.29:                               ;   in Loop: Header=BB203_6 Depth=1
	global_load_b64 v[22:23], v[20:21], off
	s_wait_loadcnt 0x0
	v_fma_f64 v[22:23], s[24:25], v[22:23], v[18:19]
	global_store_b64 v[20:21], v[22:23], off
	s_cbranch_execnz .LBB203_5
	s_branch .LBB203_34
.LBB203_30:                             ;   in Loop: Header=BB203_6 Depth=1
	s_branch .LBB203_18
.LBB203_31:                             ;   in Loop: Header=BB203_6 Depth=1
	s_branch .LBB203_22
.LBB203_32:                             ;   in Loop: Header=BB203_6 Depth=1
	s_branch .LBB203_26
.LBB203_33:                             ;   in Loop: Header=BB203_6 Depth=1
.LBB203_34:                             ;   in Loop: Header=BB203_6 Depth=1
	global_store_b64 v[20:21], v[18:19], off
	s_branch .LBB203_5
.LBB203_35:
	s_endpgm
	.section	.rodata,"a",@progbits
	.p2align	6, 0x0
	.amdhsa_kernel _ZL29rocblas_internal_gemmt_kernelIlLi16ELi32ELi8ELc84ELc67ELc85ELb0ELb0EddPKdPdEviT_T9_T10_S3_lS5_S3_lS4_T11_S3_li
		.amdhsa_group_segment_fixed_size 4096
		.amdhsa_private_segment_fixed_size 0
		.amdhsa_kernarg_size 108
		.amdhsa_user_sgpr_count 2
		.amdhsa_user_sgpr_dispatch_ptr 0
		.amdhsa_user_sgpr_queue_ptr 0
		.amdhsa_user_sgpr_kernarg_segment_ptr 1
		.amdhsa_user_sgpr_dispatch_id 0
		.amdhsa_user_sgpr_kernarg_preload_length 0
		.amdhsa_user_sgpr_kernarg_preload_offset 0
		.amdhsa_user_sgpr_private_segment_size 0
		.amdhsa_wavefront_size32 1
		.amdhsa_uses_dynamic_stack 0
		.amdhsa_enable_private_segment 0
		.amdhsa_system_sgpr_workgroup_id_x 1
		.amdhsa_system_sgpr_workgroup_id_y 1
		.amdhsa_system_sgpr_workgroup_id_z 1
		.amdhsa_system_sgpr_workgroup_info 0
		.amdhsa_system_vgpr_workitem_id 1
		.amdhsa_next_free_vgpr 52
		.amdhsa_next_free_sgpr 36
		.amdhsa_named_barrier_count 0
		.amdhsa_reserve_vcc 1
		.amdhsa_float_round_mode_32 0
		.amdhsa_float_round_mode_16_64 0
		.amdhsa_float_denorm_mode_32 3
		.amdhsa_float_denorm_mode_16_64 3
		.amdhsa_fp16_overflow 0
		.amdhsa_memory_ordered 1
		.amdhsa_forward_progress 1
		.amdhsa_inst_pref_size 13
		.amdhsa_round_robin_scheduling 0
		.amdhsa_exception_fp_ieee_invalid_op 0
		.amdhsa_exception_fp_denorm_src 0
		.amdhsa_exception_fp_ieee_div_zero 0
		.amdhsa_exception_fp_ieee_overflow 0
		.amdhsa_exception_fp_ieee_underflow 0
		.amdhsa_exception_fp_ieee_inexact 0
		.amdhsa_exception_int_div_zero 0
	.end_amdhsa_kernel
	.section	.text._ZL29rocblas_internal_gemmt_kernelIlLi16ELi32ELi8ELc84ELc67ELc85ELb0ELb0EddPKdPdEviT_T9_T10_S3_lS5_S3_lS4_T11_S3_li,"axG",@progbits,_ZL29rocblas_internal_gemmt_kernelIlLi16ELi32ELi8ELc84ELc67ELc85ELb0ELb0EddPKdPdEviT_T9_T10_S3_lS5_S3_lS4_T11_S3_li,comdat
.Lfunc_end203:
	.size	_ZL29rocblas_internal_gemmt_kernelIlLi16ELi32ELi8ELc84ELc67ELc85ELb0ELb0EddPKdPdEviT_T9_T10_S3_lS5_S3_lS4_T11_S3_li, .Lfunc_end203-_ZL29rocblas_internal_gemmt_kernelIlLi16ELi32ELi8ELc84ELc67ELc85ELb0ELb0EddPKdPdEviT_T9_T10_S3_lS5_S3_lS4_T11_S3_li
                                        ; -- End function
	.set _ZL29rocblas_internal_gemmt_kernelIlLi16ELi32ELi8ELc84ELc67ELc85ELb0ELb0EddPKdPdEviT_T9_T10_S3_lS5_S3_lS4_T11_S3_li.num_vgpr, 52
	.set _ZL29rocblas_internal_gemmt_kernelIlLi16ELi32ELi8ELc84ELc67ELc85ELb0ELb0EddPKdPdEviT_T9_T10_S3_lS5_S3_lS4_T11_S3_li.num_agpr, 0
	.set _ZL29rocblas_internal_gemmt_kernelIlLi16ELi32ELi8ELc84ELc67ELc85ELb0ELb0EddPKdPdEviT_T9_T10_S3_lS5_S3_lS4_T11_S3_li.numbered_sgpr, 36
	.set _ZL29rocblas_internal_gemmt_kernelIlLi16ELi32ELi8ELc84ELc67ELc85ELb0ELb0EddPKdPdEviT_T9_T10_S3_lS5_S3_lS4_T11_S3_li.num_named_barrier, 0
	.set _ZL29rocblas_internal_gemmt_kernelIlLi16ELi32ELi8ELc84ELc67ELc85ELb0ELb0EddPKdPdEviT_T9_T10_S3_lS5_S3_lS4_T11_S3_li.private_seg_size, 0
	.set _ZL29rocblas_internal_gemmt_kernelIlLi16ELi32ELi8ELc84ELc67ELc85ELb0ELb0EddPKdPdEviT_T9_T10_S3_lS5_S3_lS4_T11_S3_li.uses_vcc, 1
	.set _ZL29rocblas_internal_gemmt_kernelIlLi16ELi32ELi8ELc84ELc67ELc85ELb0ELb0EddPKdPdEviT_T9_T10_S3_lS5_S3_lS4_T11_S3_li.uses_flat_scratch, 0
	.set _ZL29rocblas_internal_gemmt_kernelIlLi16ELi32ELi8ELc84ELc67ELc85ELb0ELb0EddPKdPdEviT_T9_T10_S3_lS5_S3_lS4_T11_S3_li.has_dyn_sized_stack, 0
	.set _ZL29rocblas_internal_gemmt_kernelIlLi16ELi32ELi8ELc84ELc67ELc85ELb0ELb0EddPKdPdEviT_T9_T10_S3_lS5_S3_lS4_T11_S3_li.has_recursion, 0
	.set _ZL29rocblas_internal_gemmt_kernelIlLi16ELi32ELi8ELc84ELc67ELc85ELb0ELb0EddPKdPdEviT_T9_T10_S3_lS5_S3_lS4_T11_S3_li.has_indirect_call, 0
	.section	.AMDGPU.csdata,"",@progbits
; Kernel info:
; codeLenInByte = 1564
; TotalNumSgprs: 38
; NumVgprs: 52
; ScratchSize: 0
; MemoryBound: 0
; FloatMode: 240
; IeeeMode: 1
; LDSByteSize: 4096 bytes/workgroup (compile time only)
; SGPRBlocks: 0
; VGPRBlocks: 3
; NumSGPRsForWavesPerEU: 38
; NumVGPRsForWavesPerEU: 52
; NamedBarCnt: 0
; Occupancy: 16
; WaveLimiterHint : 0
; COMPUTE_PGM_RSRC2:SCRATCH_EN: 0
; COMPUTE_PGM_RSRC2:USER_SGPR: 2
; COMPUTE_PGM_RSRC2:TRAP_HANDLER: 0
; COMPUTE_PGM_RSRC2:TGID_X_EN: 1
; COMPUTE_PGM_RSRC2:TGID_Y_EN: 1
; COMPUTE_PGM_RSRC2:TGID_Z_EN: 1
; COMPUTE_PGM_RSRC2:TIDIG_COMP_CNT: 1
	.section	.text._ZL29rocblas_internal_gemmt_kernelIlLi16ELi32ELi8ELc67ELc78ELc85ELb0ELb0EddPKdPdEviT_T9_T10_S3_lS5_S3_lS4_T11_S3_li,"axG",@progbits,_ZL29rocblas_internal_gemmt_kernelIlLi16ELi32ELi8ELc67ELc78ELc85ELb0ELb0EddPKdPdEviT_T9_T10_S3_lS5_S3_lS4_T11_S3_li,comdat
	.globl	_ZL29rocblas_internal_gemmt_kernelIlLi16ELi32ELi8ELc67ELc78ELc85ELb0ELb0EddPKdPdEviT_T9_T10_S3_lS5_S3_lS4_T11_S3_li ; -- Begin function _ZL29rocblas_internal_gemmt_kernelIlLi16ELi32ELi8ELc67ELc78ELc85ELb0ELb0EddPKdPdEviT_T9_T10_S3_lS5_S3_lS4_T11_S3_li
	.p2align	8
	.type	_ZL29rocblas_internal_gemmt_kernelIlLi16ELi32ELi8ELc67ELc78ELc85ELb0ELb0EddPKdPdEviT_T9_T10_S3_lS5_S3_lS4_T11_S3_li,@function
_ZL29rocblas_internal_gemmt_kernelIlLi16ELi32ELi8ELc67ELc78ELc85ELb0ELb0EddPKdPdEviT_T9_T10_S3_lS5_S3_lS4_T11_S3_li: ; @_ZL29rocblas_internal_gemmt_kernelIlLi16ELi32ELi8ELc67ELc78ELc85ELb0ELb0EddPKdPdEviT_T9_T10_S3_lS5_S3_lS4_T11_S3_li
; %bb.0:
	s_clause 0x1
	s_load_b256 s[24:31], s[0:1], 0x48
	s_load_b512 s[8:23], s[0:1], 0x8
	s_wait_kmcnt 0x0
	v_cmp_neq_f64_e64 s2, s[24:25], 1.0
	s_and_b32 vcc_lo, exec_lo, s2
	s_cbranch_vccnz .LBB204_2
; %bb.1:
	v_cmp_neq_f64_e64 s2, s[10:11], 0
	s_cmp_lg_u64 s[8:9], 0
	s_cselect_b32 s3, -1, 0
	s_delay_alu instid0(SALU_CYCLE_1)
	s_and_b32 s2, s3, s2
.LBB204_2:
	s_delay_alu instid0(SALU_CYCLE_1)
	s_and_not1_b32 vcc_lo, exec_lo, s2
	s_cbranch_vccnz .LBB204_35
; %bb.3:
	s_load_b32 s33, s[0:1], 0x68
	s_bfe_u32 s2, ttmp6, 0x40014
	s_lshr_b32 s3, ttmp7, 16
	s_add_co_i32 s2, s2, 1
	s_bfe_u32 s5, ttmp6, 0x40008
	s_mul_i32 s4, s3, s2
	s_getreg_b32 s2, hwreg(HW_REG_IB_STS2, 6, 4)
	s_add_co_i32 s5, s5, s4
	s_cmp_eq_u32 s2, 0
	s_mov_b32 s7, 0
	s_cselect_b32 s6, s3, s5
	s_wait_kmcnt 0x0
	s_cmp_ge_u32 s6, s33
	s_cbranch_scc1 .LBB204_35
; %bb.4:
	v_and_b32_e32 v6, 0x3ff, v0
	v_bfe_u32 v7, v0, 10, 10
	s_bfe_u32 s4, ttmp6, 0x4000c
	s_bfe_u32 s34, ttmp6, 0x40010
	s_and_b32 s5, ttmp7, 0xffff
	s_add_co_i32 s4, s4, 1
	s_add_co_i32 s34, s34, 1
	v_lshl_add_u32 v8, v7, 4, v6
	s_and_b32 s3, ttmp6, 15
	s_mul_i32 s4, ttmp9, s4
	s_mul_i32 s34, s5, s34
	s_bfe_u32 s35, ttmp6, 0x40004
	s_add_co_i32 s3, s3, s4
	s_add_co_i32 s35, s35, s34
	s_cmp_eq_u32 s2, 0
	v_dual_lshrrev_b32 v10, 3, v8 :: v_dual_bitop2_b32 v11, 31, v8 bitop3:0x40
	s_cselect_b32 s2, ttmp9, s3
	s_cselect_b32 s3, s5, s35
	s_lshl_b32 s2, s2, 5
	s_lshl_b32 s3, s3, 5
	s_delay_alu instid0(SALU_CYCLE_1) | instskip(SKIP_3) | instid1(VALU_DEP_3)
	v_dual_add_nc_u32 v14, s3, v10 :: v_dual_bitop2_b32 v12, s2, v11 bitop3:0x54
	v_add_nc_u32_e32 v16, s3, v7
	s_load_b32 s4, s[0:1], 0x0
	v_dual_lshlrev_b32 v1, 3, v6 :: v_dual_bitop2_b32 v0, 7, v0 bitop3:0x40
	v_dual_ashrrev_i32 v13, 31, v12 :: v_dual_ashrrev_i32 v15, 31, v14
	s_delay_alu instid0(VALU_DEP_3) | instskip(SKIP_1) | instid1(VALU_DEP_3)
	v_dual_add_nc_u32 v22, 16, v16 :: v_dual_add_nc_u32 v6, s2, v6
	v_lshl_add_u32 v9, v7, 6, 0x800
	v_mul_u64_e32 v[18:19], s[14:15], v[12:13]
	s_delay_alu instid0(VALU_DEP_4) | instskip(NEXT) | instid1(VALU_DEP_4)
	v_mul_u64_e32 v[20:21], s[20:21], v[14:15]
	v_dual_ashrrev_i32 v23, 31, v22 :: v_dual_ashrrev_i32 v17, 31, v16
	v_cmp_neq_f64_e64 s20, s[10:11], 0
	v_cmp_neq_f64_e64 s14, s[24:25], 0
	v_lshlrev_b32_e32 v13, 3, v0
	s_delay_alu instid0(VALU_DEP_4)
	v_mul_u64_e32 v[4:5], s[28:29], v[22:23]
	v_mul_u64_e32 v[2:3], s[28:29], v[16:17]
	v_cmp_le_i32_e32 vcc_lo, v6, v16
	v_ashrrev_i32_e32 v7, 31, v6
	v_lshl_or_b32 v13, v10, 6, v13
	v_add_nc_u32_e32 v10, 16, v6
	s_wait_kmcnt 0x0
	v_cmp_gt_i32_e64 s2, s4, v16
	v_dual_lshrrev_b32 v8, 5, v8 :: v_dual_lshlrev_b32 v11, 3, v11
	v_cmp_gt_i64_e64 s21, s[8:9], 0
	v_cmp_gt_i32_e64 s0, s4, v12
	v_cmp_gt_i32_e64 s1, s4, v14
	v_cmp_le_i32_e64 s3, v10, v16
	s_and_b32 s15, s2, vcc_lo
	v_cmp_gt_i32_e32 vcc_lo, s4, v22
	v_cmp_le_i32_e64 s4, v6, v22
	v_cmp_le_i32_e64 s5, v10, v22
	v_lshl_or_b32 v34, v8, 8, v11
	v_add_nc_u32_e32 v35, 0x800, v13
	v_dual_ashrrev_i32 v11, 31, v10 :: v_dual_mov_b32 v17, 0
	s_and_b32 s4, vcc_lo, s4
	s_and_b32 s5, vcc_lo, s5
	v_lshl_add_u64 v[12:13], v[18:19], 3, s[12:13]
	v_lshl_add_u64 v[14:15], v[20:21], 3, s[18:19]
	s_and_b32 s13, s2, s3
	s_and_b32 s12, s20, s21
	s_branch .LBB204_6
.LBB204_5:                              ;   in Loop: Header=BB204_6 Depth=1
	s_wait_xcnt 0x0
	s_or_b32 exec_lo, exec_lo, s2
	s_add_co_i32 s6, s6, 0x10000
	s_delay_alu instid0(SALU_CYCLE_1)
	s_cmp_lt_u32 s6, s33
	s_cbranch_scc0 .LBB204_35
.LBB204_6:                              ; =>This Loop Header: Depth=1
                                        ;     Child Loop BB204_9 Depth 2
	v_mov_b64_e32 v[24:25], 0
	v_mov_b64_e32 v[22:23], 0
	;; [unrolled: 1-line block ×4, first 2 shown]
	s_and_not1_b32 vcc_lo, exec_lo, s12
	s_cbranch_vccnz .LBB204_15
; %bb.7:                                ;   in Loop: Header=BB204_6 Depth=1
	s_mul_u64 s[2:3], s[22:23], s[6:7]
	s_mul_u64 s[18:19], s[16:17], s[6:7]
	v_mov_b64_e32 v[18:19], 0
	v_mov_b64_e32 v[20:21], 0
	;; [unrolled: 1-line block ×4, first 2 shown]
	v_lshl_add_u64 v[26:27], s[18:19], 3, v[12:13]
	v_lshl_add_u64 v[28:29], s[2:3], 3, v[14:15]
	s_mov_b64 s[2:3], 0
	s_branch .LBB204_9
.LBB204_8:                              ;   in Loop: Header=BB204_9 Depth=2
	s_wait_xcnt 0x0
	s_or_b32 exec_lo, exec_lo, s18
	s_wait_loadcnt 0x0
	ds_store_b64 v35, v[32:33]
	s_wait_dscnt 0x0
	s_barrier_signal -1
	s_barrier_wait -1
	ds_load_b128 v[30:33], v9
	ds_load_2addr_b64 v[36:39], v1 offset1:16
	ds_load_b128 v[40:43], v9 offset:1024
	ds_load_b128 v[44:47], v9 offset:16
	;; [unrolled: 1-line block ×3, first 2 shown]
	s_add_nc_u64 s[2:3], s[2:3], 8
	s_delay_alu instid0(SALU_CYCLE_1)
	v_cmp_gt_i64_e64 s18, s[8:9], s[2:3]
	s_and_b32 vcc_lo, exec_lo, s18
	s_wait_dscnt 0x3
	v_fmac_f64_e32 v[24:25], v[36:37], v[30:31]
	v_fmac_f64_e32 v[22:23], v[38:39], v[30:31]
	s_wait_dscnt 0x2
	v_fmac_f64_e32 v[20:21], v[36:37], v[40:41]
	v_fmac_f64_e32 v[18:19], v[38:39], v[40:41]
	ds_load_2addr_b64 v[36:39], v1 offset0:32 offset1:48
	s_wait_dscnt 0x0
	v_fmac_f64_e32 v[24:25], v[36:37], v[32:33]
	v_fmac_f64_e32 v[22:23], v[38:39], v[32:33]
	v_fmac_f64_e32 v[20:21], v[36:37], v[42:43]
	v_fmac_f64_e32 v[18:19], v[38:39], v[42:43]
	ds_load_2addr_b64 v[30:33], v1 offset0:64 offset1:80
	s_wait_dscnt 0x0
	v_fmac_f64_e32 v[24:25], v[30:31], v[44:45]
	v_fmac_f64_e32 v[22:23], v[32:33], v[44:45]
	;; [unrolled: 6-line block ×3, first 2 shown]
	v_fmac_f64_e32 v[20:21], v[30:31], v[50:51]
	v_fmac_f64_e32 v[18:19], v[32:33], v[50:51]
	ds_load_b128 v[30:33], v9 offset:32
	ds_load_2addr_b64 v[36:39], v1 offset0:128 offset1:144
	ds_load_b128 v[40:43], v9 offset:1056
	ds_load_b128 v[44:47], v9 offset:48
	;; [unrolled: 1-line block ×3, first 2 shown]
	s_wait_dscnt 0x3
	v_fmac_f64_e32 v[24:25], v[36:37], v[30:31]
	v_fmac_f64_e32 v[22:23], v[38:39], v[30:31]
	s_wait_dscnt 0x2
	v_fmac_f64_e32 v[20:21], v[36:37], v[40:41]
	v_fmac_f64_e32 v[18:19], v[38:39], v[40:41]
	ds_load_2addr_b64 v[36:39], v1 offset0:160 offset1:176
	s_wait_dscnt 0x0
	v_fmac_f64_e32 v[24:25], v[36:37], v[32:33]
	v_fmac_f64_e32 v[22:23], v[38:39], v[32:33]
	;; [unrolled: 1-line block ×4, first 2 shown]
	ds_load_2addr_b64 v[30:33], v1 offset0:192 offset1:208
	s_wait_dscnt 0x0
	v_fmac_f64_e32 v[24:25], v[30:31], v[44:45]
	v_fmac_f64_e32 v[22:23], v[32:33], v[44:45]
	v_fmac_f64_e32 v[20:21], v[30:31], v[48:49]
	v_fmac_f64_e32 v[18:19], v[32:33], v[48:49]
	ds_load_2addr_b64 v[30:33], v1 offset0:224 offset1:240
	s_wait_dscnt 0x0
	s_barrier_signal -1
	s_barrier_wait -1
	v_fmac_f64_e32 v[24:25], v[30:31], v[46:47]
	v_fmac_f64_e32 v[22:23], v[32:33], v[46:47]
	v_fmac_f64_e32 v[20:21], v[30:31], v[50:51]
	v_fmac_f64_e32 v[18:19], v[32:33], v[50:51]
	s_cbranch_vccz .LBB204_15
.LBB204_9:                              ;   Parent Loop BB204_6 Depth=1
                                        ; =>  This Inner Loop Header: Depth=2
	v_mov_b64_e32 v[30:31], 0
	s_and_saveexec_b32 s18, s0
	s_cbranch_execz .LBB204_13
; %bb.10:                               ;   in Loop: Header=BB204_9 Depth=2
	v_mov_b64_e32 v[30:31], 0
	v_add_nc_u32_e32 v16, s2, v8
	s_mov_b32 s19, exec_lo
	s_delay_alu instid0(VALU_DEP_1)
	v_cmpx_gt_u64_e64 s[8:9], v[16:17]
	s_cbranch_execz .LBB204_12
; %bb.11:                               ;   in Loop: Header=BB204_9 Depth=2
	v_lshl_add_u64 v[30:31], v[16:17], 3, v[26:27]
	global_load_b64 v[30:31], v[30:31], off
.LBB204_12:                             ;   in Loop: Header=BB204_9 Depth=2
	s_wait_xcnt 0x0
	s_or_b32 exec_lo, exec_lo, s19
.LBB204_13:                             ;   in Loop: Header=BB204_9 Depth=2
	s_delay_alu instid0(SALU_CYCLE_1)
	s_or_b32 exec_lo, exec_lo, s18
	v_add_nc_u32_e32 v16, s2, v0
	v_mov_b64_e32 v[32:33], 0
	s_wait_loadcnt 0x0
	ds_store_b64 v34, v[30:31]
	v_cmp_gt_u64_e32 vcc_lo, s[8:9], v[16:17]
	s_and_b32 s19, vcc_lo, s1
	s_delay_alu instid0(SALU_CYCLE_1)
	s_and_saveexec_b32 s18, s19
	s_cbranch_execz .LBB204_8
; %bb.14:                               ;   in Loop: Header=BB204_9 Depth=2
	v_lshl_add_u64 v[30:31], v[16:17], 3, v[28:29]
	global_load_b64 v[32:33], v[30:31], off
	s_branch .LBB204_8
.LBB204_15:                             ;   in Loop: Header=BB204_6 Depth=1
	s_mul_u64 s[2:3], s[30:31], s[6:7]
	s_delay_alu instid0(SALU_CYCLE_1) | instskip(NEXT) | instid1(SALU_CYCLE_1)
	s_lshl_b64 s[2:3], s[2:3], 3
	s_add_nc_u64 s[2:3], s[26:27], s[2:3]
	s_delay_alu instid0(SALU_CYCLE_1)
	v_lshl_add_u64 v[26:27], v[2:3], 3, s[2:3]
	s_and_saveexec_b32 s18, s15
	s_cbranch_execz .LBB204_19
; %bb.16:                               ;   in Loop: Header=BB204_6 Depth=1
	v_mul_f64_e32 v[24:25], s[10:11], v[24:25]
	s_delay_alu instid0(VALU_DEP_2)
	v_lshl_add_u64 v[28:29], v[6:7], 3, v[26:27]
	s_and_b32 vcc_lo, exec_lo, s14
	s_cbranch_vccz .LBB204_30
; %bb.17:                               ;   in Loop: Header=BB204_6 Depth=1
	global_load_b64 v[30:31], v[28:29], off
	s_wait_loadcnt 0x0
	v_fma_f64 v[30:31], s[24:25], v[30:31], v[24:25]
	global_store_b64 v[28:29], v[30:31], off
	s_cbranch_execnz .LBB204_19
.LBB204_18:                             ;   in Loop: Header=BB204_6 Depth=1
	global_store_b64 v[28:29], v[24:25], off
.LBB204_19:                             ;   in Loop: Header=BB204_6 Depth=1
	s_wait_xcnt 0x0
	s_or_b32 exec_lo, exec_lo, s18
	s_and_saveexec_b32 s18, s13
	s_cbranch_execz .LBB204_23
; %bb.20:                               ;   in Loop: Header=BB204_6 Depth=1
	s_delay_alu instid0(VALU_DEP_4)
	v_mul_f64_e32 v[22:23], s[10:11], v[22:23]
	v_lshl_add_u64 v[24:25], v[10:11], 3, v[26:27]
	s_and_not1_b32 vcc_lo, exec_lo, s14
	s_cbranch_vccnz .LBB204_31
; %bb.21:                               ;   in Loop: Header=BB204_6 Depth=1
	global_load_b64 v[26:27], v[24:25], off
	s_wait_loadcnt 0x0
	v_fma_f64 v[26:27], s[24:25], v[26:27], v[22:23]
	global_store_b64 v[24:25], v[26:27], off
	s_cbranch_execnz .LBB204_23
.LBB204_22:                             ;   in Loop: Header=BB204_6 Depth=1
	global_store_b64 v[24:25], v[22:23], off
.LBB204_23:                             ;   in Loop: Header=BB204_6 Depth=1
	s_wait_xcnt 0x0
	s_or_b32 exec_lo, exec_lo, s18
	v_lshl_add_u64 v[22:23], v[4:5], 3, s[2:3]
	s_and_saveexec_b32 s2, s4
	s_cbranch_execz .LBB204_27
; %bb.24:                               ;   in Loop: Header=BB204_6 Depth=1
	s_delay_alu instid0(VALU_DEP_4) | instskip(NEXT) | instid1(VALU_DEP_2)
	v_mul_f64_e32 v[20:21], s[10:11], v[20:21]
	v_lshl_add_u64 v[24:25], v[6:7], 3, v[22:23]
	s_and_not1_b32 vcc_lo, exec_lo, s14
	s_cbranch_vccnz .LBB204_32
; %bb.25:                               ;   in Loop: Header=BB204_6 Depth=1
	global_load_b64 v[26:27], v[24:25], off
	s_wait_loadcnt 0x0
	v_fma_f64 v[26:27], s[24:25], v[26:27], v[20:21]
	global_store_b64 v[24:25], v[26:27], off
	s_cbranch_execnz .LBB204_27
.LBB204_26:                             ;   in Loop: Header=BB204_6 Depth=1
	global_store_b64 v[24:25], v[20:21], off
.LBB204_27:                             ;   in Loop: Header=BB204_6 Depth=1
	s_wait_xcnt 0x0
	s_or_b32 exec_lo, exec_lo, s2
	s_and_saveexec_b32 s2, s5
	s_cbranch_execz .LBB204_5
; %bb.28:                               ;   in Loop: Header=BB204_6 Depth=1
	s_delay_alu instid0(VALU_DEP_3)
	v_mul_f64_e32 v[18:19], s[10:11], v[18:19]
	v_lshl_add_u64 v[20:21], v[10:11], 3, v[22:23]
	s_and_not1_b32 vcc_lo, exec_lo, s14
	s_cbranch_vccnz .LBB204_33
; %bb.29:                               ;   in Loop: Header=BB204_6 Depth=1
	global_load_b64 v[22:23], v[20:21], off
	s_wait_loadcnt 0x0
	v_fma_f64 v[22:23], s[24:25], v[22:23], v[18:19]
	global_store_b64 v[20:21], v[22:23], off
	s_cbranch_execnz .LBB204_5
	s_branch .LBB204_34
.LBB204_30:                             ;   in Loop: Header=BB204_6 Depth=1
	s_branch .LBB204_18
.LBB204_31:                             ;   in Loop: Header=BB204_6 Depth=1
	s_branch .LBB204_22
.LBB204_32:                             ;   in Loop: Header=BB204_6 Depth=1
	s_branch .LBB204_26
.LBB204_33:                             ;   in Loop: Header=BB204_6 Depth=1
.LBB204_34:                             ;   in Loop: Header=BB204_6 Depth=1
	global_store_b64 v[20:21], v[18:19], off
	s_branch .LBB204_5
.LBB204_35:
	s_endpgm
	.section	.rodata,"a",@progbits
	.p2align	6, 0x0
	.amdhsa_kernel _ZL29rocblas_internal_gemmt_kernelIlLi16ELi32ELi8ELc67ELc78ELc85ELb0ELb0EddPKdPdEviT_T9_T10_S3_lS5_S3_lS4_T11_S3_li
		.amdhsa_group_segment_fixed_size 4096
		.amdhsa_private_segment_fixed_size 0
		.amdhsa_kernarg_size 108
		.amdhsa_user_sgpr_count 2
		.amdhsa_user_sgpr_dispatch_ptr 0
		.amdhsa_user_sgpr_queue_ptr 0
		.amdhsa_user_sgpr_kernarg_segment_ptr 1
		.amdhsa_user_sgpr_dispatch_id 0
		.amdhsa_user_sgpr_kernarg_preload_length 0
		.amdhsa_user_sgpr_kernarg_preload_offset 0
		.amdhsa_user_sgpr_private_segment_size 0
		.amdhsa_wavefront_size32 1
		.amdhsa_uses_dynamic_stack 0
		.amdhsa_enable_private_segment 0
		.amdhsa_system_sgpr_workgroup_id_x 1
		.amdhsa_system_sgpr_workgroup_id_y 1
		.amdhsa_system_sgpr_workgroup_id_z 1
		.amdhsa_system_sgpr_workgroup_info 0
		.amdhsa_system_vgpr_workitem_id 1
		.amdhsa_next_free_vgpr 52
		.amdhsa_next_free_sgpr 36
		.amdhsa_named_barrier_count 0
		.amdhsa_reserve_vcc 1
		.amdhsa_float_round_mode_32 0
		.amdhsa_float_round_mode_16_64 0
		.amdhsa_float_denorm_mode_32 3
		.amdhsa_float_denorm_mode_16_64 3
		.amdhsa_fp16_overflow 0
		.amdhsa_memory_ordered 1
		.amdhsa_forward_progress 1
		.amdhsa_inst_pref_size 13
		.amdhsa_round_robin_scheduling 0
		.amdhsa_exception_fp_ieee_invalid_op 0
		.amdhsa_exception_fp_denorm_src 0
		.amdhsa_exception_fp_ieee_div_zero 0
		.amdhsa_exception_fp_ieee_overflow 0
		.amdhsa_exception_fp_ieee_underflow 0
		.amdhsa_exception_fp_ieee_inexact 0
		.amdhsa_exception_int_div_zero 0
	.end_amdhsa_kernel
	.section	.text._ZL29rocblas_internal_gemmt_kernelIlLi16ELi32ELi8ELc67ELc78ELc85ELb0ELb0EddPKdPdEviT_T9_T10_S3_lS5_S3_lS4_T11_S3_li,"axG",@progbits,_ZL29rocblas_internal_gemmt_kernelIlLi16ELi32ELi8ELc67ELc78ELc85ELb0ELb0EddPKdPdEviT_T9_T10_S3_lS5_S3_lS4_T11_S3_li,comdat
.Lfunc_end204:
	.size	_ZL29rocblas_internal_gemmt_kernelIlLi16ELi32ELi8ELc67ELc78ELc85ELb0ELb0EddPKdPdEviT_T9_T10_S3_lS5_S3_lS4_T11_S3_li, .Lfunc_end204-_ZL29rocblas_internal_gemmt_kernelIlLi16ELi32ELi8ELc67ELc78ELc85ELb0ELb0EddPKdPdEviT_T9_T10_S3_lS5_S3_lS4_T11_S3_li
                                        ; -- End function
	.set _ZL29rocblas_internal_gemmt_kernelIlLi16ELi32ELi8ELc67ELc78ELc85ELb0ELb0EddPKdPdEviT_T9_T10_S3_lS5_S3_lS4_T11_S3_li.num_vgpr, 52
	.set _ZL29rocblas_internal_gemmt_kernelIlLi16ELi32ELi8ELc67ELc78ELc85ELb0ELb0EddPKdPdEviT_T9_T10_S3_lS5_S3_lS4_T11_S3_li.num_agpr, 0
	.set _ZL29rocblas_internal_gemmt_kernelIlLi16ELi32ELi8ELc67ELc78ELc85ELb0ELb0EddPKdPdEviT_T9_T10_S3_lS5_S3_lS4_T11_S3_li.numbered_sgpr, 36
	.set _ZL29rocblas_internal_gemmt_kernelIlLi16ELi32ELi8ELc67ELc78ELc85ELb0ELb0EddPKdPdEviT_T9_T10_S3_lS5_S3_lS4_T11_S3_li.num_named_barrier, 0
	.set _ZL29rocblas_internal_gemmt_kernelIlLi16ELi32ELi8ELc67ELc78ELc85ELb0ELb0EddPKdPdEviT_T9_T10_S3_lS5_S3_lS4_T11_S3_li.private_seg_size, 0
	.set _ZL29rocblas_internal_gemmt_kernelIlLi16ELi32ELi8ELc67ELc78ELc85ELb0ELb0EddPKdPdEviT_T9_T10_S3_lS5_S3_lS4_T11_S3_li.uses_vcc, 1
	.set _ZL29rocblas_internal_gemmt_kernelIlLi16ELi32ELi8ELc67ELc78ELc85ELb0ELb0EddPKdPdEviT_T9_T10_S3_lS5_S3_lS4_T11_S3_li.uses_flat_scratch, 0
	.set _ZL29rocblas_internal_gemmt_kernelIlLi16ELi32ELi8ELc67ELc78ELc85ELb0ELb0EddPKdPdEviT_T9_T10_S3_lS5_S3_lS4_T11_S3_li.has_dyn_sized_stack, 0
	.set _ZL29rocblas_internal_gemmt_kernelIlLi16ELi32ELi8ELc67ELc78ELc85ELb0ELb0EddPKdPdEviT_T9_T10_S3_lS5_S3_lS4_T11_S3_li.has_recursion, 0
	.set _ZL29rocblas_internal_gemmt_kernelIlLi16ELi32ELi8ELc67ELc78ELc85ELb0ELb0EddPKdPdEviT_T9_T10_S3_lS5_S3_lS4_T11_S3_li.has_indirect_call, 0
	.section	.AMDGPU.csdata,"",@progbits
; Kernel info:
; codeLenInByte = 1580
; TotalNumSgprs: 38
; NumVgprs: 52
; ScratchSize: 0
; MemoryBound: 0
; FloatMode: 240
; IeeeMode: 1
; LDSByteSize: 4096 bytes/workgroup (compile time only)
; SGPRBlocks: 0
; VGPRBlocks: 3
; NumSGPRsForWavesPerEU: 38
; NumVGPRsForWavesPerEU: 52
; NamedBarCnt: 0
; Occupancy: 16
; WaveLimiterHint : 0
; COMPUTE_PGM_RSRC2:SCRATCH_EN: 0
; COMPUTE_PGM_RSRC2:USER_SGPR: 2
; COMPUTE_PGM_RSRC2:TRAP_HANDLER: 0
; COMPUTE_PGM_RSRC2:TGID_X_EN: 1
; COMPUTE_PGM_RSRC2:TGID_Y_EN: 1
; COMPUTE_PGM_RSRC2:TGID_Z_EN: 1
; COMPUTE_PGM_RSRC2:TIDIG_COMP_CNT: 1
	.section	.text._ZL29rocblas_internal_gemmt_kernelIlLi16ELi32ELi8ELc67ELc84ELc85ELb0ELb0EddPKdPdEviT_T9_T10_S3_lS5_S3_lS4_T11_S3_li,"axG",@progbits,_ZL29rocblas_internal_gemmt_kernelIlLi16ELi32ELi8ELc67ELc84ELc85ELb0ELb0EddPKdPdEviT_T9_T10_S3_lS5_S3_lS4_T11_S3_li,comdat
	.globl	_ZL29rocblas_internal_gemmt_kernelIlLi16ELi32ELi8ELc67ELc84ELc85ELb0ELb0EddPKdPdEviT_T9_T10_S3_lS5_S3_lS4_T11_S3_li ; -- Begin function _ZL29rocblas_internal_gemmt_kernelIlLi16ELi32ELi8ELc67ELc84ELc85ELb0ELb0EddPKdPdEviT_T9_T10_S3_lS5_S3_lS4_T11_S3_li
	.p2align	8
	.type	_ZL29rocblas_internal_gemmt_kernelIlLi16ELi32ELi8ELc67ELc84ELc85ELb0ELb0EddPKdPdEviT_T9_T10_S3_lS5_S3_lS4_T11_S3_li,@function
_ZL29rocblas_internal_gemmt_kernelIlLi16ELi32ELi8ELc67ELc84ELc85ELb0ELb0EddPKdPdEviT_T9_T10_S3_lS5_S3_lS4_T11_S3_li: ; @_ZL29rocblas_internal_gemmt_kernelIlLi16ELi32ELi8ELc67ELc84ELc85ELb0ELb0EddPKdPdEviT_T9_T10_S3_lS5_S3_lS4_T11_S3_li
; %bb.0:
	s_clause 0x1
	s_load_b256 s[24:31], s[0:1], 0x48
	s_load_b512 s[8:23], s[0:1], 0x8
	s_wait_kmcnt 0x0
	v_cmp_neq_f64_e64 s2, s[24:25], 1.0
	s_and_b32 vcc_lo, exec_lo, s2
	s_cbranch_vccnz .LBB205_2
; %bb.1:
	v_cmp_neq_f64_e64 s2, s[10:11], 0
	s_cmp_lg_u64 s[8:9], 0
	s_cselect_b32 s3, -1, 0
	s_delay_alu instid0(SALU_CYCLE_1)
	s_and_b32 s2, s3, s2
.LBB205_2:
	s_delay_alu instid0(SALU_CYCLE_1)
	s_and_not1_b32 vcc_lo, exec_lo, s2
	s_cbranch_vccnz .LBB205_35
; %bb.3:
	s_load_b32 s33, s[0:1], 0x68
	s_bfe_u32 s2, ttmp6, 0x40014
	s_lshr_b32 s3, ttmp7, 16
	s_add_co_i32 s2, s2, 1
	s_bfe_u32 s5, ttmp6, 0x40008
	s_mul_i32 s4, s3, s2
	s_getreg_b32 s2, hwreg(HW_REG_IB_STS2, 6, 4)
	s_add_co_i32 s5, s5, s4
	s_cmp_eq_u32 s2, 0
	s_mov_b32 s7, 0
	s_cselect_b32 s6, s3, s5
	s_wait_kmcnt 0x0
	s_cmp_ge_u32 s6, s33
	s_cbranch_scc1 .LBB205_35
; %bb.4:
	s_bfe_u32 s3, ttmp6, 0x4000c
	s_bfe_u32 s5, ttmp6, 0x40010
	s_add_co_i32 s3, s3, 1
	s_and_b32 s34, ttmp7, 0xffff
	s_add_co_i32 s5, s5, 1
	v_and_b32_e32 v6, 0x3ff, v0
	v_bfe_u32 v7, v0, 10, 10
	s_and_b32 s4, ttmp6, 15
	s_mul_i32 s3, ttmp9, s3
	s_mul_i32 s5, s34, s5
	s_bfe_u32 s35, ttmp6, 0x40004
	s_add_co_i32 s4, s4, s3
	s_add_co_i32 s35, s35, s5
	s_cmp_eq_u32 s2, 0
	v_lshl_add_u32 v8, v7, 4, v6
	s_cselect_b32 s3, s34, s35
	s_cselect_b32 s2, ttmp9, s4
	s_lshl_b32 s3, s3, 5
	s_lshl_b32 s2, s2, 5
	v_dual_add_nc_u32 v14, s3, v7 :: v_dual_bitop2_b32 v10, 31, v8 bitop3:0x40
	v_and_b32_e32 v0, 7, v0
	v_cmp_neq_f64_e64 s34, s[10:11], 0
	s_load_b32 s4, s[0:1], 0x0
	v_lshlrev_b32_e32 v1, 3, v6
	v_add_nc_u32_e32 v16, 16, v14
	v_or_b32_e32 v12, s2, v10
	v_dual_ashrrev_i32 v15, 31, v14 :: v_dual_lshlrev_b32 v11, 3, v0
	s_delay_alu instid0(VALU_DEP_3) | instskip(NEXT) | instid1(VALU_DEP_3)
	v_dual_add_nc_u32 v6, s2, v6 :: v_dual_ashrrev_i32 v17, 31, v16
	v_ashrrev_i32_e32 v13, 31, v12
	s_delay_alu instid0(VALU_DEP_3) | instskip(SKIP_1) | instid1(VALU_DEP_4)
	v_mul_u64_e32 v[2:3], s[28:29], v[14:15]
	v_lshl_add_u32 v9, v7, 6, 0x800
	v_cmp_le_i32_e32 vcc_lo, v6, v14
	v_mul_u64_e32 v[4:5], s[28:29], v[16:17]
	v_mul_u64_e32 v[18:19], s[14:15], v[12:13]
	v_cmp_neq_f64_e64 s14, s[24:25], 0
	v_dual_lshrrev_b32 v13, 3, v8 :: v_dual_lshrrev_b32 v8, 5, v8
	v_ashrrev_i32_e32 v7, 31, v6
	v_cmp_gt_i64_e64 s35, s[8:9], 0
	s_delay_alu instid0(VALU_DEP_3)
	v_dual_mov_b32 v17, 0 :: v_dual_add_nc_u32 v20, s3, v13
	v_lshlrev_b32_e32 v15, 3, v10
	v_add_nc_u32_e32 v10, 16, v6
	s_wait_kmcnt 0x0
	v_cmp_gt_i32_e64 s2, s4, v14
	v_lshl_or_b32 v11, v13, 6, v11
	v_ashrrev_i32_e32 v21, 31, v20
	v_cmp_gt_i32_e64 s0, s4, v12
	v_cmp_gt_i32_e64 s1, s4, v20
	v_cmp_le_i32_e64 s3, v10, v14
	v_cmp_gt_i32_e64 s4, s4, v16
	s_and_b32 s15, s2, vcc_lo
	v_cmp_le_i32_e32 vcc_lo, v6, v16
	v_cmp_le_i32_e64 s5, v10, v16
	v_lshl_or_b32 v34, v8, 8, v15
	v_add_nc_u32_e32 v35, 0x800, v11
	v_ashrrev_i32_e32 v11, 31, v10
	v_lshl_add_u64 v[12:13], v[20:21], 3, s[18:19]
	s_and_b32 s18, s4, vcc_lo
	s_and_b32 s4, s4, s5
	v_lshl_add_u64 v[14:15], v[18:19], 3, s[12:13]
	s_and_b32 s12, s34, s35
	s_and_b32 s13, s2, s3
	s_branch .LBB205_6
.LBB205_5:                              ;   in Loop: Header=BB205_6 Depth=1
	s_wait_xcnt 0x0
	s_or_b32 exec_lo, exec_lo, s2
	s_add_co_i32 s6, s6, 0x10000
	s_delay_alu instid0(SALU_CYCLE_1)
	s_cmp_lt_u32 s6, s33
	s_cbranch_scc0 .LBB205_35
.LBB205_6:                              ; =>This Loop Header: Depth=1
                                        ;     Child Loop BB205_9 Depth 2
	v_mov_b64_e32 v[24:25], 0
	v_mov_b64_e32 v[22:23], 0
	;; [unrolled: 1-line block ×4, first 2 shown]
	s_and_not1_b32 vcc_lo, exec_lo, s12
	s_cbranch_vccnz .LBB205_15
; %bb.7:                                ;   in Loop: Header=BB205_6 Depth=1
	s_mul_u64 s[2:3], s[22:23], s[6:7]
	s_mul_u64 s[28:29], s[16:17], s[6:7]
	v_mov_b64_e32 v[18:19], 0
	v_mov_b64_e32 v[20:21], 0
	;; [unrolled: 1-line block ×4, first 2 shown]
	v_lshl_add_u64 v[26:27], s[28:29], 3, v[14:15]
	v_lshl_add_u64 v[28:29], s[2:3], 3, v[12:13]
	s_mov_b64 s[2:3], 0
	s_branch .LBB205_9
.LBB205_8:                              ;   in Loop: Header=BB205_9 Depth=2
	s_wait_xcnt 0x0
	s_or_b32 exec_lo, exec_lo, s5
	s_wait_loadcnt 0x0
	ds_store_b64 v35, v[32:33]
	s_wait_dscnt 0x0
	s_barrier_signal -1
	s_barrier_wait -1
	ds_load_b128 v[30:33], v9
	ds_load_2addr_b64 v[36:39], v1 offset1:16
	ds_load_b128 v[40:43], v9 offset:1024
	ds_load_b128 v[44:47], v9 offset:16
	;; [unrolled: 1-line block ×3, first 2 shown]
	s_add_nc_u64 s[2:3], s[2:3], 8
	s_delay_alu instid0(SALU_CYCLE_1)
	v_cmp_gt_i64_e64 s5, s[8:9], s[2:3]
	s_and_b32 vcc_lo, exec_lo, s5
	s_wait_dscnt 0x3
	v_fmac_f64_e32 v[24:25], v[36:37], v[30:31]
	v_fmac_f64_e32 v[22:23], v[38:39], v[30:31]
	s_wait_dscnt 0x2
	v_fmac_f64_e32 v[20:21], v[36:37], v[40:41]
	v_fmac_f64_e32 v[18:19], v[38:39], v[40:41]
	ds_load_2addr_b64 v[36:39], v1 offset0:32 offset1:48
	s_wait_dscnt 0x0
	v_fmac_f64_e32 v[24:25], v[36:37], v[32:33]
	v_fmac_f64_e32 v[22:23], v[38:39], v[32:33]
	v_fmac_f64_e32 v[20:21], v[36:37], v[42:43]
	v_fmac_f64_e32 v[18:19], v[38:39], v[42:43]
	ds_load_2addr_b64 v[30:33], v1 offset0:64 offset1:80
	s_wait_dscnt 0x0
	v_fmac_f64_e32 v[24:25], v[30:31], v[44:45]
	v_fmac_f64_e32 v[22:23], v[32:33], v[44:45]
	;; [unrolled: 6-line block ×3, first 2 shown]
	v_fmac_f64_e32 v[20:21], v[30:31], v[50:51]
	v_fmac_f64_e32 v[18:19], v[32:33], v[50:51]
	ds_load_b128 v[30:33], v9 offset:32
	ds_load_2addr_b64 v[36:39], v1 offset0:128 offset1:144
	ds_load_b128 v[40:43], v9 offset:1056
	ds_load_b128 v[44:47], v9 offset:48
	;; [unrolled: 1-line block ×3, first 2 shown]
	s_wait_dscnt 0x3
	v_fmac_f64_e32 v[24:25], v[36:37], v[30:31]
	v_fmac_f64_e32 v[22:23], v[38:39], v[30:31]
	s_wait_dscnt 0x2
	v_fmac_f64_e32 v[20:21], v[36:37], v[40:41]
	v_fmac_f64_e32 v[18:19], v[38:39], v[40:41]
	ds_load_2addr_b64 v[36:39], v1 offset0:160 offset1:176
	s_wait_dscnt 0x0
	v_fmac_f64_e32 v[24:25], v[36:37], v[32:33]
	v_fmac_f64_e32 v[22:23], v[38:39], v[32:33]
	;; [unrolled: 1-line block ×4, first 2 shown]
	ds_load_2addr_b64 v[30:33], v1 offset0:192 offset1:208
	s_wait_dscnt 0x0
	v_fmac_f64_e32 v[24:25], v[30:31], v[44:45]
	v_fmac_f64_e32 v[22:23], v[32:33], v[44:45]
	;; [unrolled: 1-line block ×4, first 2 shown]
	ds_load_2addr_b64 v[30:33], v1 offset0:224 offset1:240
	s_wait_dscnt 0x0
	s_barrier_signal -1
	s_barrier_wait -1
	v_fmac_f64_e32 v[24:25], v[30:31], v[46:47]
	v_fmac_f64_e32 v[22:23], v[32:33], v[46:47]
	;; [unrolled: 1-line block ×4, first 2 shown]
	s_cbranch_vccz .LBB205_15
.LBB205_9:                              ;   Parent Loop BB205_6 Depth=1
                                        ; =>  This Inner Loop Header: Depth=2
	v_mov_b64_e32 v[30:31], 0
	s_and_saveexec_b32 s5, s0
	s_cbranch_execz .LBB205_13
; %bb.10:                               ;   in Loop: Header=BB205_9 Depth=2
	v_mov_b64_e32 v[30:31], 0
	v_add_nc_u32_e32 v16, s2, v8
	s_mov_b32 s19, exec_lo
	s_delay_alu instid0(VALU_DEP_1)
	v_cmpx_gt_u64_e64 s[8:9], v[16:17]
	s_cbranch_execz .LBB205_12
; %bb.11:                               ;   in Loop: Header=BB205_9 Depth=2
	v_lshl_add_u64 v[30:31], v[16:17], 3, v[26:27]
	global_load_b64 v[30:31], v[30:31], off
.LBB205_12:                             ;   in Loop: Header=BB205_9 Depth=2
	s_wait_xcnt 0x0
	s_or_b32 exec_lo, exec_lo, s19
.LBB205_13:                             ;   in Loop: Header=BB205_9 Depth=2
	s_delay_alu instid0(SALU_CYCLE_1)
	s_or_b32 exec_lo, exec_lo, s5
	v_add_nc_u32_e32 v16, s2, v0
	v_mov_b64_e32 v[32:33], 0
	s_wait_loadcnt 0x0
	ds_store_b64 v34, v[30:31]
	v_cmp_gt_u64_e32 vcc_lo, s[8:9], v[16:17]
	s_and_b32 s19, vcc_lo, s1
	s_delay_alu instid0(SALU_CYCLE_1)
	s_and_saveexec_b32 s5, s19
	s_cbranch_execz .LBB205_8
; %bb.14:                               ;   in Loop: Header=BB205_9 Depth=2
	v_mul_u64_e32 v[30:31], s[20:21], v[16:17]
	s_delay_alu instid0(VALU_DEP_1)
	v_lshl_add_u64 v[30:31], v[30:31], 3, v[28:29]
	global_load_b64 v[32:33], v[30:31], off
	s_branch .LBB205_8
.LBB205_15:                             ;   in Loop: Header=BB205_6 Depth=1
	s_mul_u64 s[2:3], s[30:31], s[6:7]
	s_delay_alu instid0(SALU_CYCLE_1) | instskip(NEXT) | instid1(SALU_CYCLE_1)
	s_lshl_b64 s[2:3], s[2:3], 3
	s_add_nc_u64 s[2:3], s[26:27], s[2:3]
	s_delay_alu instid0(SALU_CYCLE_1)
	v_lshl_add_u64 v[26:27], v[2:3], 3, s[2:3]
	s_and_saveexec_b32 s5, s15
	s_cbranch_execz .LBB205_19
; %bb.16:                               ;   in Loop: Header=BB205_6 Depth=1
	v_mul_f64_e32 v[24:25], s[10:11], v[24:25]
	s_delay_alu instid0(VALU_DEP_2)
	v_lshl_add_u64 v[28:29], v[6:7], 3, v[26:27]
	s_and_b32 vcc_lo, exec_lo, s14
	s_cbranch_vccz .LBB205_30
; %bb.17:                               ;   in Loop: Header=BB205_6 Depth=1
	global_load_b64 v[30:31], v[28:29], off
	s_wait_loadcnt 0x0
	v_fma_f64 v[30:31], s[24:25], v[30:31], v[24:25]
	global_store_b64 v[28:29], v[30:31], off
	s_cbranch_execnz .LBB205_19
.LBB205_18:                             ;   in Loop: Header=BB205_6 Depth=1
	global_store_b64 v[28:29], v[24:25], off
.LBB205_19:                             ;   in Loop: Header=BB205_6 Depth=1
	s_wait_xcnt 0x0
	s_or_b32 exec_lo, exec_lo, s5
	s_and_saveexec_b32 s5, s13
	s_cbranch_execz .LBB205_23
; %bb.20:                               ;   in Loop: Header=BB205_6 Depth=1
	s_delay_alu instid0(VALU_DEP_4)
	v_mul_f64_e32 v[22:23], s[10:11], v[22:23]
	v_lshl_add_u64 v[24:25], v[10:11], 3, v[26:27]
	s_and_not1_b32 vcc_lo, exec_lo, s14
	s_cbranch_vccnz .LBB205_31
; %bb.21:                               ;   in Loop: Header=BB205_6 Depth=1
	global_load_b64 v[26:27], v[24:25], off
	s_wait_loadcnt 0x0
	v_fma_f64 v[26:27], s[24:25], v[26:27], v[22:23]
	global_store_b64 v[24:25], v[26:27], off
	s_cbranch_execnz .LBB205_23
.LBB205_22:                             ;   in Loop: Header=BB205_6 Depth=1
	global_store_b64 v[24:25], v[22:23], off
.LBB205_23:                             ;   in Loop: Header=BB205_6 Depth=1
	s_wait_xcnt 0x0
	s_or_b32 exec_lo, exec_lo, s5
	v_lshl_add_u64 v[22:23], v[4:5], 3, s[2:3]
	s_and_saveexec_b32 s2, s18
	s_cbranch_execz .LBB205_27
; %bb.24:                               ;   in Loop: Header=BB205_6 Depth=1
	s_delay_alu instid0(VALU_DEP_4) | instskip(NEXT) | instid1(VALU_DEP_2)
	v_mul_f64_e32 v[20:21], s[10:11], v[20:21]
	v_lshl_add_u64 v[24:25], v[6:7], 3, v[22:23]
	s_and_not1_b32 vcc_lo, exec_lo, s14
	s_cbranch_vccnz .LBB205_32
; %bb.25:                               ;   in Loop: Header=BB205_6 Depth=1
	global_load_b64 v[26:27], v[24:25], off
	s_wait_loadcnt 0x0
	v_fma_f64 v[26:27], s[24:25], v[26:27], v[20:21]
	global_store_b64 v[24:25], v[26:27], off
	s_cbranch_execnz .LBB205_27
.LBB205_26:                             ;   in Loop: Header=BB205_6 Depth=1
	global_store_b64 v[24:25], v[20:21], off
.LBB205_27:                             ;   in Loop: Header=BB205_6 Depth=1
	s_wait_xcnt 0x0
	s_or_b32 exec_lo, exec_lo, s2
	s_and_saveexec_b32 s2, s4
	s_cbranch_execz .LBB205_5
; %bb.28:                               ;   in Loop: Header=BB205_6 Depth=1
	s_delay_alu instid0(VALU_DEP_3)
	v_mul_f64_e32 v[18:19], s[10:11], v[18:19]
	v_lshl_add_u64 v[20:21], v[10:11], 3, v[22:23]
	s_and_not1_b32 vcc_lo, exec_lo, s14
	s_cbranch_vccnz .LBB205_33
; %bb.29:                               ;   in Loop: Header=BB205_6 Depth=1
	global_load_b64 v[22:23], v[20:21], off
	s_wait_loadcnt 0x0
	v_fma_f64 v[22:23], s[24:25], v[22:23], v[18:19]
	global_store_b64 v[20:21], v[22:23], off
	s_cbranch_execnz .LBB205_5
	s_branch .LBB205_34
.LBB205_30:                             ;   in Loop: Header=BB205_6 Depth=1
	s_branch .LBB205_18
.LBB205_31:                             ;   in Loop: Header=BB205_6 Depth=1
	s_branch .LBB205_22
.LBB205_32:                             ;   in Loop: Header=BB205_6 Depth=1
	s_branch .LBB205_26
.LBB205_33:                             ;   in Loop: Header=BB205_6 Depth=1
.LBB205_34:                             ;   in Loop: Header=BB205_6 Depth=1
	global_store_b64 v[20:21], v[18:19], off
	s_branch .LBB205_5
.LBB205_35:
	s_endpgm
	.section	.rodata,"a",@progbits
	.p2align	6, 0x0
	.amdhsa_kernel _ZL29rocblas_internal_gemmt_kernelIlLi16ELi32ELi8ELc67ELc84ELc85ELb0ELb0EddPKdPdEviT_T9_T10_S3_lS5_S3_lS4_T11_S3_li
		.amdhsa_group_segment_fixed_size 4096
		.amdhsa_private_segment_fixed_size 0
		.amdhsa_kernarg_size 108
		.amdhsa_user_sgpr_count 2
		.amdhsa_user_sgpr_dispatch_ptr 0
		.amdhsa_user_sgpr_queue_ptr 0
		.amdhsa_user_sgpr_kernarg_segment_ptr 1
		.amdhsa_user_sgpr_dispatch_id 0
		.amdhsa_user_sgpr_kernarg_preload_length 0
		.amdhsa_user_sgpr_kernarg_preload_offset 0
		.amdhsa_user_sgpr_private_segment_size 0
		.amdhsa_wavefront_size32 1
		.amdhsa_uses_dynamic_stack 0
		.amdhsa_enable_private_segment 0
		.amdhsa_system_sgpr_workgroup_id_x 1
		.amdhsa_system_sgpr_workgroup_id_y 1
		.amdhsa_system_sgpr_workgroup_id_z 1
		.amdhsa_system_sgpr_workgroup_info 0
		.amdhsa_system_vgpr_workitem_id 1
		.amdhsa_next_free_vgpr 52
		.amdhsa_next_free_sgpr 36
		.amdhsa_named_barrier_count 0
		.amdhsa_reserve_vcc 1
		.amdhsa_float_round_mode_32 0
		.amdhsa_float_round_mode_16_64 0
		.amdhsa_float_denorm_mode_32 3
		.amdhsa_float_denorm_mode_16_64 3
		.amdhsa_fp16_overflow 0
		.amdhsa_memory_ordered 1
		.amdhsa_forward_progress 1
		.amdhsa_inst_pref_size 13
		.amdhsa_round_robin_scheduling 0
		.amdhsa_exception_fp_ieee_invalid_op 0
		.amdhsa_exception_fp_denorm_src 0
		.amdhsa_exception_fp_ieee_div_zero 0
		.amdhsa_exception_fp_ieee_overflow 0
		.amdhsa_exception_fp_ieee_underflow 0
		.amdhsa_exception_fp_ieee_inexact 0
		.amdhsa_exception_int_div_zero 0
	.end_amdhsa_kernel
	.section	.text._ZL29rocblas_internal_gemmt_kernelIlLi16ELi32ELi8ELc67ELc84ELc85ELb0ELb0EddPKdPdEviT_T9_T10_S3_lS5_S3_lS4_T11_S3_li,"axG",@progbits,_ZL29rocblas_internal_gemmt_kernelIlLi16ELi32ELi8ELc67ELc84ELc85ELb0ELb0EddPKdPdEviT_T9_T10_S3_lS5_S3_lS4_T11_S3_li,comdat
.Lfunc_end205:
	.size	_ZL29rocblas_internal_gemmt_kernelIlLi16ELi32ELi8ELc67ELc84ELc85ELb0ELb0EddPKdPdEviT_T9_T10_S3_lS5_S3_lS4_T11_S3_li, .Lfunc_end205-_ZL29rocblas_internal_gemmt_kernelIlLi16ELi32ELi8ELc67ELc84ELc85ELb0ELb0EddPKdPdEviT_T9_T10_S3_lS5_S3_lS4_T11_S3_li
                                        ; -- End function
	.set _ZL29rocblas_internal_gemmt_kernelIlLi16ELi32ELi8ELc67ELc84ELc85ELb0ELb0EddPKdPdEviT_T9_T10_S3_lS5_S3_lS4_T11_S3_li.num_vgpr, 52
	.set _ZL29rocblas_internal_gemmt_kernelIlLi16ELi32ELi8ELc67ELc84ELc85ELb0ELb0EddPKdPdEviT_T9_T10_S3_lS5_S3_lS4_T11_S3_li.num_agpr, 0
	.set _ZL29rocblas_internal_gemmt_kernelIlLi16ELi32ELi8ELc67ELc84ELc85ELb0ELb0EddPKdPdEviT_T9_T10_S3_lS5_S3_lS4_T11_S3_li.numbered_sgpr, 36
	.set _ZL29rocblas_internal_gemmt_kernelIlLi16ELi32ELi8ELc67ELc84ELc85ELb0ELb0EddPKdPdEviT_T9_T10_S3_lS5_S3_lS4_T11_S3_li.num_named_barrier, 0
	.set _ZL29rocblas_internal_gemmt_kernelIlLi16ELi32ELi8ELc67ELc84ELc85ELb0ELb0EddPKdPdEviT_T9_T10_S3_lS5_S3_lS4_T11_S3_li.private_seg_size, 0
	.set _ZL29rocblas_internal_gemmt_kernelIlLi16ELi32ELi8ELc67ELc84ELc85ELb0ELb0EddPKdPdEviT_T9_T10_S3_lS5_S3_lS4_T11_S3_li.uses_vcc, 1
	.set _ZL29rocblas_internal_gemmt_kernelIlLi16ELi32ELi8ELc67ELc84ELc85ELb0ELb0EddPKdPdEviT_T9_T10_S3_lS5_S3_lS4_T11_S3_li.uses_flat_scratch, 0
	.set _ZL29rocblas_internal_gemmt_kernelIlLi16ELi32ELi8ELc67ELc84ELc85ELb0ELb0EddPKdPdEviT_T9_T10_S3_lS5_S3_lS4_T11_S3_li.has_dyn_sized_stack, 0
	.set _ZL29rocblas_internal_gemmt_kernelIlLi16ELi32ELi8ELc67ELc84ELc85ELb0ELb0EddPKdPdEviT_T9_T10_S3_lS5_S3_lS4_T11_S3_li.has_recursion, 0
	.set _ZL29rocblas_internal_gemmt_kernelIlLi16ELi32ELi8ELc67ELc84ELc85ELb0ELb0EddPKdPdEviT_T9_T10_S3_lS5_S3_lS4_T11_S3_li.has_indirect_call, 0
	.section	.AMDGPU.csdata,"",@progbits
; Kernel info:
; codeLenInByte = 1564
; TotalNumSgprs: 38
; NumVgprs: 52
; ScratchSize: 0
; MemoryBound: 0
; FloatMode: 240
; IeeeMode: 1
; LDSByteSize: 4096 bytes/workgroup (compile time only)
; SGPRBlocks: 0
; VGPRBlocks: 3
; NumSGPRsForWavesPerEU: 38
; NumVGPRsForWavesPerEU: 52
; NamedBarCnt: 0
; Occupancy: 16
; WaveLimiterHint : 0
; COMPUTE_PGM_RSRC2:SCRATCH_EN: 0
; COMPUTE_PGM_RSRC2:USER_SGPR: 2
; COMPUTE_PGM_RSRC2:TRAP_HANDLER: 0
; COMPUTE_PGM_RSRC2:TGID_X_EN: 1
; COMPUTE_PGM_RSRC2:TGID_Y_EN: 1
; COMPUTE_PGM_RSRC2:TGID_Z_EN: 1
; COMPUTE_PGM_RSRC2:TIDIG_COMP_CNT: 1
	.section	.text._ZL29rocblas_internal_gemmt_kernelIlLi16ELi32ELi8ELc67ELc67ELc85ELb0ELb0EddPKdPdEviT_T9_T10_S3_lS5_S3_lS4_T11_S3_li,"axG",@progbits,_ZL29rocblas_internal_gemmt_kernelIlLi16ELi32ELi8ELc67ELc67ELc85ELb0ELb0EddPKdPdEviT_T9_T10_S3_lS5_S3_lS4_T11_S3_li,comdat
	.globl	_ZL29rocblas_internal_gemmt_kernelIlLi16ELi32ELi8ELc67ELc67ELc85ELb0ELb0EddPKdPdEviT_T9_T10_S3_lS5_S3_lS4_T11_S3_li ; -- Begin function _ZL29rocblas_internal_gemmt_kernelIlLi16ELi32ELi8ELc67ELc67ELc85ELb0ELb0EddPKdPdEviT_T9_T10_S3_lS5_S3_lS4_T11_S3_li
	.p2align	8
	.type	_ZL29rocblas_internal_gemmt_kernelIlLi16ELi32ELi8ELc67ELc67ELc85ELb0ELb0EddPKdPdEviT_T9_T10_S3_lS5_S3_lS4_T11_S3_li,@function
_ZL29rocblas_internal_gemmt_kernelIlLi16ELi32ELi8ELc67ELc67ELc85ELb0ELb0EddPKdPdEviT_T9_T10_S3_lS5_S3_lS4_T11_S3_li: ; @_ZL29rocblas_internal_gemmt_kernelIlLi16ELi32ELi8ELc67ELc67ELc85ELb0ELb0EddPKdPdEviT_T9_T10_S3_lS5_S3_lS4_T11_S3_li
; %bb.0:
	s_clause 0x1
	s_load_b256 s[24:31], s[0:1], 0x48
	s_load_b512 s[8:23], s[0:1], 0x8
	s_wait_kmcnt 0x0
	v_cmp_neq_f64_e64 s2, s[24:25], 1.0
	s_and_b32 vcc_lo, exec_lo, s2
	s_cbranch_vccnz .LBB206_2
; %bb.1:
	v_cmp_neq_f64_e64 s2, s[10:11], 0
	s_cmp_lg_u64 s[8:9], 0
	s_cselect_b32 s3, -1, 0
	s_delay_alu instid0(SALU_CYCLE_1)
	s_and_b32 s2, s3, s2
.LBB206_2:
	s_delay_alu instid0(SALU_CYCLE_1)
	s_and_not1_b32 vcc_lo, exec_lo, s2
	s_cbranch_vccnz .LBB206_35
; %bb.3:
	s_load_b32 s33, s[0:1], 0x68
	s_bfe_u32 s2, ttmp6, 0x40014
	s_lshr_b32 s3, ttmp7, 16
	s_add_co_i32 s2, s2, 1
	s_bfe_u32 s5, ttmp6, 0x40008
	s_mul_i32 s4, s3, s2
	s_getreg_b32 s2, hwreg(HW_REG_IB_STS2, 6, 4)
	s_add_co_i32 s5, s5, s4
	s_cmp_eq_u32 s2, 0
	s_mov_b32 s7, 0
	s_cselect_b32 s6, s3, s5
	s_wait_kmcnt 0x0
	s_cmp_ge_u32 s6, s33
	s_cbranch_scc1 .LBB206_35
; %bb.4:
	s_bfe_u32 s3, ttmp6, 0x4000c
	s_bfe_u32 s5, ttmp6, 0x40010
	s_add_co_i32 s3, s3, 1
	s_and_b32 s34, ttmp7, 0xffff
	s_add_co_i32 s5, s5, 1
	v_and_b32_e32 v6, 0x3ff, v0
	v_bfe_u32 v7, v0, 10, 10
	s_and_b32 s4, ttmp6, 15
	s_mul_i32 s3, ttmp9, s3
	s_mul_i32 s5, s34, s5
	s_bfe_u32 s35, ttmp6, 0x40004
	s_add_co_i32 s4, s4, s3
	s_add_co_i32 s35, s35, s5
	s_cmp_eq_u32 s2, 0
	v_lshl_add_u32 v8, v7, 4, v6
	s_cselect_b32 s3, s34, s35
	s_cselect_b32 s2, ttmp9, s4
	s_lshl_b32 s3, s3, 5
	s_lshl_b32 s2, s2, 5
	v_dual_add_nc_u32 v14, s3, v7 :: v_dual_bitop2_b32 v10, 31, v8 bitop3:0x40
	v_and_b32_e32 v0, 7, v0
	v_cmp_neq_f64_e64 s34, s[10:11], 0
	s_load_b32 s4, s[0:1], 0x0
	v_lshlrev_b32_e32 v1, 3, v6
	v_add_nc_u32_e32 v16, 16, v14
	v_or_b32_e32 v12, s2, v10
	v_dual_ashrrev_i32 v15, 31, v14 :: v_dual_lshlrev_b32 v11, 3, v0
	s_delay_alu instid0(VALU_DEP_3) | instskip(NEXT) | instid1(VALU_DEP_3)
	v_dual_add_nc_u32 v6, s2, v6 :: v_dual_ashrrev_i32 v17, 31, v16
	v_ashrrev_i32_e32 v13, 31, v12
	s_delay_alu instid0(VALU_DEP_3) | instskip(SKIP_1) | instid1(VALU_DEP_4)
	v_mul_u64_e32 v[2:3], s[28:29], v[14:15]
	v_lshl_add_u32 v9, v7, 6, 0x800
	v_cmp_le_i32_e32 vcc_lo, v6, v14
	v_mul_u64_e32 v[4:5], s[28:29], v[16:17]
	v_mul_u64_e32 v[18:19], s[14:15], v[12:13]
	v_cmp_neq_f64_e64 s14, s[24:25], 0
	v_dual_lshrrev_b32 v13, 3, v8 :: v_dual_lshrrev_b32 v8, 5, v8
	v_ashrrev_i32_e32 v7, 31, v6
	v_cmp_gt_i64_e64 s35, s[8:9], 0
	s_delay_alu instid0(VALU_DEP_3)
	v_dual_mov_b32 v17, 0 :: v_dual_add_nc_u32 v20, s3, v13
	v_lshlrev_b32_e32 v15, 3, v10
	v_add_nc_u32_e32 v10, 16, v6
	s_wait_kmcnt 0x0
	v_cmp_gt_i32_e64 s2, s4, v14
	v_lshl_or_b32 v11, v13, 6, v11
	v_ashrrev_i32_e32 v21, 31, v20
	v_cmp_gt_i32_e64 s0, s4, v12
	v_cmp_gt_i32_e64 s1, s4, v20
	v_cmp_le_i32_e64 s3, v10, v14
	v_cmp_gt_i32_e64 s4, s4, v16
	s_and_b32 s15, s2, vcc_lo
	v_cmp_le_i32_e32 vcc_lo, v6, v16
	v_cmp_le_i32_e64 s5, v10, v16
	v_lshl_or_b32 v34, v8, 8, v15
	v_add_nc_u32_e32 v35, 0x800, v11
	v_ashrrev_i32_e32 v11, 31, v10
	v_lshl_add_u64 v[12:13], v[20:21], 3, s[18:19]
	s_and_b32 s18, s4, vcc_lo
	s_and_b32 s4, s4, s5
	v_lshl_add_u64 v[14:15], v[18:19], 3, s[12:13]
	s_and_b32 s12, s34, s35
	s_and_b32 s13, s2, s3
	s_branch .LBB206_6
.LBB206_5:                              ;   in Loop: Header=BB206_6 Depth=1
	s_wait_xcnt 0x0
	s_or_b32 exec_lo, exec_lo, s2
	s_add_co_i32 s6, s6, 0x10000
	s_delay_alu instid0(SALU_CYCLE_1)
	s_cmp_lt_u32 s6, s33
	s_cbranch_scc0 .LBB206_35
.LBB206_6:                              ; =>This Loop Header: Depth=1
                                        ;     Child Loop BB206_9 Depth 2
	v_mov_b64_e32 v[24:25], 0
	v_mov_b64_e32 v[22:23], 0
	;; [unrolled: 1-line block ×4, first 2 shown]
	s_and_not1_b32 vcc_lo, exec_lo, s12
	s_cbranch_vccnz .LBB206_15
; %bb.7:                                ;   in Loop: Header=BB206_6 Depth=1
	s_mul_u64 s[2:3], s[22:23], s[6:7]
	s_mul_u64 s[28:29], s[16:17], s[6:7]
	v_mov_b64_e32 v[18:19], 0
	v_mov_b64_e32 v[20:21], 0
	v_mov_b64_e32 v[22:23], 0
	v_mov_b64_e32 v[24:25], 0
	v_lshl_add_u64 v[26:27], s[28:29], 3, v[14:15]
	v_lshl_add_u64 v[28:29], s[2:3], 3, v[12:13]
	s_mov_b64 s[2:3], 0
	s_branch .LBB206_9
.LBB206_8:                              ;   in Loop: Header=BB206_9 Depth=2
	s_wait_xcnt 0x0
	s_or_b32 exec_lo, exec_lo, s5
	s_wait_loadcnt 0x0
	ds_store_b64 v35, v[32:33]
	s_wait_dscnt 0x0
	s_barrier_signal -1
	s_barrier_wait -1
	ds_load_b128 v[30:33], v9
	ds_load_2addr_b64 v[36:39], v1 offset1:16
	ds_load_b128 v[40:43], v9 offset:1024
	ds_load_b128 v[44:47], v9 offset:16
	;; [unrolled: 1-line block ×3, first 2 shown]
	s_add_nc_u64 s[2:3], s[2:3], 8
	s_delay_alu instid0(SALU_CYCLE_1)
	v_cmp_gt_i64_e64 s5, s[8:9], s[2:3]
	s_and_b32 vcc_lo, exec_lo, s5
	s_wait_dscnt 0x3
	v_fmac_f64_e32 v[24:25], v[36:37], v[30:31]
	v_fmac_f64_e32 v[22:23], v[38:39], v[30:31]
	s_wait_dscnt 0x2
	v_fmac_f64_e32 v[20:21], v[36:37], v[40:41]
	v_fmac_f64_e32 v[18:19], v[38:39], v[40:41]
	ds_load_2addr_b64 v[36:39], v1 offset0:32 offset1:48
	s_wait_dscnt 0x0
	v_fmac_f64_e32 v[24:25], v[36:37], v[32:33]
	v_fmac_f64_e32 v[22:23], v[38:39], v[32:33]
	v_fmac_f64_e32 v[20:21], v[36:37], v[42:43]
	v_fmac_f64_e32 v[18:19], v[38:39], v[42:43]
	ds_load_2addr_b64 v[30:33], v1 offset0:64 offset1:80
	s_wait_dscnt 0x0
	v_fmac_f64_e32 v[24:25], v[30:31], v[44:45]
	v_fmac_f64_e32 v[22:23], v[32:33], v[44:45]
	v_fmac_f64_e32 v[20:21], v[30:31], v[48:49]
	v_fmac_f64_e32 v[18:19], v[32:33], v[48:49]
	ds_load_2addr_b64 v[30:33], v1 offset0:96 offset1:112
	s_wait_dscnt 0x0
	v_fmac_f64_e32 v[24:25], v[30:31], v[46:47]
	v_fmac_f64_e32 v[22:23], v[32:33], v[46:47]
	v_fmac_f64_e32 v[20:21], v[30:31], v[50:51]
	v_fmac_f64_e32 v[18:19], v[32:33], v[50:51]
	ds_load_b128 v[30:33], v9 offset:32
	ds_load_2addr_b64 v[36:39], v1 offset0:128 offset1:144
	ds_load_b128 v[40:43], v9 offset:1056
	ds_load_b128 v[44:47], v9 offset:48
	;; [unrolled: 1-line block ×3, first 2 shown]
	s_wait_dscnt 0x3
	v_fmac_f64_e32 v[24:25], v[36:37], v[30:31]
	v_fmac_f64_e32 v[22:23], v[38:39], v[30:31]
	s_wait_dscnt 0x2
	v_fmac_f64_e32 v[20:21], v[36:37], v[40:41]
	v_fmac_f64_e32 v[18:19], v[38:39], v[40:41]
	ds_load_2addr_b64 v[36:39], v1 offset0:160 offset1:176
	s_wait_dscnt 0x0
	v_fmac_f64_e32 v[24:25], v[36:37], v[32:33]
	v_fmac_f64_e32 v[22:23], v[38:39], v[32:33]
	;; [unrolled: 1-line block ×4, first 2 shown]
	ds_load_2addr_b64 v[30:33], v1 offset0:192 offset1:208
	s_wait_dscnt 0x0
	v_fmac_f64_e32 v[24:25], v[30:31], v[44:45]
	v_fmac_f64_e32 v[22:23], v[32:33], v[44:45]
	;; [unrolled: 1-line block ×4, first 2 shown]
	ds_load_2addr_b64 v[30:33], v1 offset0:224 offset1:240
	s_wait_dscnt 0x0
	s_barrier_signal -1
	s_barrier_wait -1
	v_fmac_f64_e32 v[24:25], v[30:31], v[46:47]
	v_fmac_f64_e32 v[22:23], v[32:33], v[46:47]
	v_fmac_f64_e32 v[20:21], v[30:31], v[50:51]
	v_fmac_f64_e32 v[18:19], v[32:33], v[50:51]
	s_cbranch_vccz .LBB206_15
.LBB206_9:                              ;   Parent Loop BB206_6 Depth=1
                                        ; =>  This Inner Loop Header: Depth=2
	v_mov_b64_e32 v[30:31], 0
	s_and_saveexec_b32 s5, s0
	s_cbranch_execz .LBB206_13
; %bb.10:                               ;   in Loop: Header=BB206_9 Depth=2
	v_mov_b64_e32 v[30:31], 0
	v_add_nc_u32_e32 v16, s2, v8
	s_mov_b32 s19, exec_lo
	s_delay_alu instid0(VALU_DEP_1)
	v_cmpx_gt_u64_e64 s[8:9], v[16:17]
	s_cbranch_execz .LBB206_12
; %bb.11:                               ;   in Loop: Header=BB206_9 Depth=2
	v_lshl_add_u64 v[30:31], v[16:17], 3, v[26:27]
	global_load_b64 v[30:31], v[30:31], off
.LBB206_12:                             ;   in Loop: Header=BB206_9 Depth=2
	s_wait_xcnt 0x0
	s_or_b32 exec_lo, exec_lo, s19
.LBB206_13:                             ;   in Loop: Header=BB206_9 Depth=2
	s_delay_alu instid0(SALU_CYCLE_1)
	s_or_b32 exec_lo, exec_lo, s5
	v_add_nc_u32_e32 v16, s2, v0
	v_mov_b64_e32 v[32:33], 0
	s_wait_loadcnt 0x0
	ds_store_b64 v34, v[30:31]
	v_cmp_gt_u64_e32 vcc_lo, s[8:9], v[16:17]
	s_and_b32 s19, vcc_lo, s1
	s_delay_alu instid0(SALU_CYCLE_1)
	s_and_saveexec_b32 s5, s19
	s_cbranch_execz .LBB206_8
; %bb.14:                               ;   in Loop: Header=BB206_9 Depth=2
	v_mul_u64_e32 v[30:31], s[20:21], v[16:17]
	s_delay_alu instid0(VALU_DEP_1)
	v_lshl_add_u64 v[30:31], v[30:31], 3, v[28:29]
	global_load_b64 v[32:33], v[30:31], off
	s_branch .LBB206_8
.LBB206_15:                             ;   in Loop: Header=BB206_6 Depth=1
	s_mul_u64 s[2:3], s[30:31], s[6:7]
	s_delay_alu instid0(SALU_CYCLE_1) | instskip(NEXT) | instid1(SALU_CYCLE_1)
	s_lshl_b64 s[2:3], s[2:3], 3
	s_add_nc_u64 s[2:3], s[26:27], s[2:3]
	s_delay_alu instid0(SALU_CYCLE_1)
	v_lshl_add_u64 v[26:27], v[2:3], 3, s[2:3]
	s_and_saveexec_b32 s5, s15
	s_cbranch_execz .LBB206_19
; %bb.16:                               ;   in Loop: Header=BB206_6 Depth=1
	v_mul_f64_e32 v[24:25], s[10:11], v[24:25]
	s_delay_alu instid0(VALU_DEP_2)
	v_lshl_add_u64 v[28:29], v[6:7], 3, v[26:27]
	s_and_b32 vcc_lo, exec_lo, s14
	s_cbranch_vccz .LBB206_30
; %bb.17:                               ;   in Loop: Header=BB206_6 Depth=1
	global_load_b64 v[30:31], v[28:29], off
	s_wait_loadcnt 0x0
	v_fma_f64 v[30:31], s[24:25], v[30:31], v[24:25]
	global_store_b64 v[28:29], v[30:31], off
	s_cbranch_execnz .LBB206_19
.LBB206_18:                             ;   in Loop: Header=BB206_6 Depth=1
	global_store_b64 v[28:29], v[24:25], off
.LBB206_19:                             ;   in Loop: Header=BB206_6 Depth=1
	s_wait_xcnt 0x0
	s_or_b32 exec_lo, exec_lo, s5
	s_and_saveexec_b32 s5, s13
	s_cbranch_execz .LBB206_23
; %bb.20:                               ;   in Loop: Header=BB206_6 Depth=1
	s_delay_alu instid0(VALU_DEP_4)
	v_mul_f64_e32 v[22:23], s[10:11], v[22:23]
	v_lshl_add_u64 v[24:25], v[10:11], 3, v[26:27]
	s_and_not1_b32 vcc_lo, exec_lo, s14
	s_cbranch_vccnz .LBB206_31
; %bb.21:                               ;   in Loop: Header=BB206_6 Depth=1
	global_load_b64 v[26:27], v[24:25], off
	s_wait_loadcnt 0x0
	v_fma_f64 v[26:27], s[24:25], v[26:27], v[22:23]
	global_store_b64 v[24:25], v[26:27], off
	s_cbranch_execnz .LBB206_23
.LBB206_22:                             ;   in Loop: Header=BB206_6 Depth=1
	global_store_b64 v[24:25], v[22:23], off
.LBB206_23:                             ;   in Loop: Header=BB206_6 Depth=1
	s_wait_xcnt 0x0
	s_or_b32 exec_lo, exec_lo, s5
	v_lshl_add_u64 v[22:23], v[4:5], 3, s[2:3]
	s_and_saveexec_b32 s2, s18
	s_cbranch_execz .LBB206_27
; %bb.24:                               ;   in Loop: Header=BB206_6 Depth=1
	s_delay_alu instid0(VALU_DEP_4) | instskip(NEXT) | instid1(VALU_DEP_2)
	v_mul_f64_e32 v[20:21], s[10:11], v[20:21]
	v_lshl_add_u64 v[24:25], v[6:7], 3, v[22:23]
	s_and_not1_b32 vcc_lo, exec_lo, s14
	s_cbranch_vccnz .LBB206_32
; %bb.25:                               ;   in Loop: Header=BB206_6 Depth=1
	global_load_b64 v[26:27], v[24:25], off
	s_wait_loadcnt 0x0
	v_fma_f64 v[26:27], s[24:25], v[26:27], v[20:21]
	global_store_b64 v[24:25], v[26:27], off
	s_cbranch_execnz .LBB206_27
.LBB206_26:                             ;   in Loop: Header=BB206_6 Depth=1
	global_store_b64 v[24:25], v[20:21], off
.LBB206_27:                             ;   in Loop: Header=BB206_6 Depth=1
	s_wait_xcnt 0x0
	s_or_b32 exec_lo, exec_lo, s2
	s_and_saveexec_b32 s2, s4
	s_cbranch_execz .LBB206_5
; %bb.28:                               ;   in Loop: Header=BB206_6 Depth=1
	s_delay_alu instid0(VALU_DEP_3)
	v_mul_f64_e32 v[18:19], s[10:11], v[18:19]
	v_lshl_add_u64 v[20:21], v[10:11], 3, v[22:23]
	s_and_not1_b32 vcc_lo, exec_lo, s14
	s_cbranch_vccnz .LBB206_33
; %bb.29:                               ;   in Loop: Header=BB206_6 Depth=1
	global_load_b64 v[22:23], v[20:21], off
	s_wait_loadcnt 0x0
	v_fma_f64 v[22:23], s[24:25], v[22:23], v[18:19]
	global_store_b64 v[20:21], v[22:23], off
	s_cbranch_execnz .LBB206_5
	s_branch .LBB206_34
.LBB206_30:                             ;   in Loop: Header=BB206_6 Depth=1
	s_branch .LBB206_18
.LBB206_31:                             ;   in Loop: Header=BB206_6 Depth=1
	s_branch .LBB206_22
.LBB206_32:                             ;   in Loop: Header=BB206_6 Depth=1
	s_branch .LBB206_26
.LBB206_33:                             ;   in Loop: Header=BB206_6 Depth=1
.LBB206_34:                             ;   in Loop: Header=BB206_6 Depth=1
	global_store_b64 v[20:21], v[18:19], off
	s_branch .LBB206_5
.LBB206_35:
	s_endpgm
	.section	.rodata,"a",@progbits
	.p2align	6, 0x0
	.amdhsa_kernel _ZL29rocblas_internal_gemmt_kernelIlLi16ELi32ELi8ELc67ELc67ELc85ELb0ELb0EddPKdPdEviT_T9_T10_S3_lS5_S3_lS4_T11_S3_li
		.amdhsa_group_segment_fixed_size 4096
		.amdhsa_private_segment_fixed_size 0
		.amdhsa_kernarg_size 108
		.amdhsa_user_sgpr_count 2
		.amdhsa_user_sgpr_dispatch_ptr 0
		.amdhsa_user_sgpr_queue_ptr 0
		.amdhsa_user_sgpr_kernarg_segment_ptr 1
		.amdhsa_user_sgpr_dispatch_id 0
		.amdhsa_user_sgpr_kernarg_preload_length 0
		.amdhsa_user_sgpr_kernarg_preload_offset 0
		.amdhsa_user_sgpr_private_segment_size 0
		.amdhsa_wavefront_size32 1
		.amdhsa_uses_dynamic_stack 0
		.amdhsa_enable_private_segment 0
		.amdhsa_system_sgpr_workgroup_id_x 1
		.amdhsa_system_sgpr_workgroup_id_y 1
		.amdhsa_system_sgpr_workgroup_id_z 1
		.amdhsa_system_sgpr_workgroup_info 0
		.amdhsa_system_vgpr_workitem_id 1
		.amdhsa_next_free_vgpr 52
		.amdhsa_next_free_sgpr 36
		.amdhsa_named_barrier_count 0
		.amdhsa_reserve_vcc 1
		.amdhsa_float_round_mode_32 0
		.amdhsa_float_round_mode_16_64 0
		.amdhsa_float_denorm_mode_32 3
		.amdhsa_float_denorm_mode_16_64 3
		.amdhsa_fp16_overflow 0
		.amdhsa_memory_ordered 1
		.amdhsa_forward_progress 1
		.amdhsa_inst_pref_size 13
		.amdhsa_round_robin_scheduling 0
		.amdhsa_exception_fp_ieee_invalid_op 0
		.amdhsa_exception_fp_denorm_src 0
		.amdhsa_exception_fp_ieee_div_zero 0
		.amdhsa_exception_fp_ieee_overflow 0
		.amdhsa_exception_fp_ieee_underflow 0
		.amdhsa_exception_fp_ieee_inexact 0
		.amdhsa_exception_int_div_zero 0
	.end_amdhsa_kernel
	.section	.text._ZL29rocblas_internal_gemmt_kernelIlLi16ELi32ELi8ELc67ELc67ELc85ELb0ELb0EddPKdPdEviT_T9_T10_S3_lS5_S3_lS4_T11_S3_li,"axG",@progbits,_ZL29rocblas_internal_gemmt_kernelIlLi16ELi32ELi8ELc67ELc67ELc85ELb0ELb0EddPKdPdEviT_T9_T10_S3_lS5_S3_lS4_T11_S3_li,comdat
.Lfunc_end206:
	.size	_ZL29rocblas_internal_gemmt_kernelIlLi16ELi32ELi8ELc67ELc67ELc85ELb0ELb0EddPKdPdEviT_T9_T10_S3_lS5_S3_lS4_T11_S3_li, .Lfunc_end206-_ZL29rocblas_internal_gemmt_kernelIlLi16ELi32ELi8ELc67ELc67ELc85ELb0ELb0EddPKdPdEviT_T9_T10_S3_lS5_S3_lS4_T11_S3_li
                                        ; -- End function
	.set _ZL29rocblas_internal_gemmt_kernelIlLi16ELi32ELi8ELc67ELc67ELc85ELb0ELb0EddPKdPdEviT_T9_T10_S3_lS5_S3_lS4_T11_S3_li.num_vgpr, 52
	.set _ZL29rocblas_internal_gemmt_kernelIlLi16ELi32ELi8ELc67ELc67ELc85ELb0ELb0EddPKdPdEviT_T9_T10_S3_lS5_S3_lS4_T11_S3_li.num_agpr, 0
	.set _ZL29rocblas_internal_gemmt_kernelIlLi16ELi32ELi8ELc67ELc67ELc85ELb0ELb0EddPKdPdEviT_T9_T10_S3_lS5_S3_lS4_T11_S3_li.numbered_sgpr, 36
	.set _ZL29rocblas_internal_gemmt_kernelIlLi16ELi32ELi8ELc67ELc67ELc85ELb0ELb0EddPKdPdEviT_T9_T10_S3_lS5_S3_lS4_T11_S3_li.num_named_barrier, 0
	.set _ZL29rocblas_internal_gemmt_kernelIlLi16ELi32ELi8ELc67ELc67ELc85ELb0ELb0EddPKdPdEviT_T9_T10_S3_lS5_S3_lS4_T11_S3_li.private_seg_size, 0
	.set _ZL29rocblas_internal_gemmt_kernelIlLi16ELi32ELi8ELc67ELc67ELc85ELb0ELb0EddPKdPdEviT_T9_T10_S3_lS5_S3_lS4_T11_S3_li.uses_vcc, 1
	.set _ZL29rocblas_internal_gemmt_kernelIlLi16ELi32ELi8ELc67ELc67ELc85ELb0ELb0EddPKdPdEviT_T9_T10_S3_lS5_S3_lS4_T11_S3_li.uses_flat_scratch, 0
	.set _ZL29rocblas_internal_gemmt_kernelIlLi16ELi32ELi8ELc67ELc67ELc85ELb0ELb0EddPKdPdEviT_T9_T10_S3_lS5_S3_lS4_T11_S3_li.has_dyn_sized_stack, 0
	.set _ZL29rocblas_internal_gemmt_kernelIlLi16ELi32ELi8ELc67ELc67ELc85ELb0ELb0EddPKdPdEviT_T9_T10_S3_lS5_S3_lS4_T11_S3_li.has_recursion, 0
	.set _ZL29rocblas_internal_gemmt_kernelIlLi16ELi32ELi8ELc67ELc67ELc85ELb0ELb0EddPKdPdEviT_T9_T10_S3_lS5_S3_lS4_T11_S3_li.has_indirect_call, 0
	.section	.AMDGPU.csdata,"",@progbits
; Kernel info:
; codeLenInByte = 1564
; TotalNumSgprs: 38
; NumVgprs: 52
; ScratchSize: 0
; MemoryBound: 0
; FloatMode: 240
; IeeeMode: 1
; LDSByteSize: 4096 bytes/workgroup (compile time only)
; SGPRBlocks: 0
; VGPRBlocks: 3
; NumSGPRsForWavesPerEU: 38
; NumVGPRsForWavesPerEU: 52
; NamedBarCnt: 0
; Occupancy: 16
; WaveLimiterHint : 0
; COMPUTE_PGM_RSRC2:SCRATCH_EN: 0
; COMPUTE_PGM_RSRC2:USER_SGPR: 2
; COMPUTE_PGM_RSRC2:TRAP_HANDLER: 0
; COMPUTE_PGM_RSRC2:TGID_X_EN: 1
; COMPUTE_PGM_RSRC2:TGID_Y_EN: 1
; COMPUTE_PGM_RSRC2:TGID_Z_EN: 1
; COMPUTE_PGM_RSRC2:TIDIG_COMP_CNT: 1
	.section	.text._ZL29rocblas_internal_gemmt_kernelIlLi16ELi32ELi8ELc78ELc78ELc76ELb0ELb0EddPKdPdEviT_T9_T10_S3_lS5_S3_lS4_T11_S3_li,"axG",@progbits,_ZL29rocblas_internal_gemmt_kernelIlLi16ELi32ELi8ELc78ELc78ELc76ELb0ELb0EddPKdPdEviT_T9_T10_S3_lS5_S3_lS4_T11_S3_li,comdat
	.globl	_ZL29rocblas_internal_gemmt_kernelIlLi16ELi32ELi8ELc78ELc78ELc76ELb0ELb0EddPKdPdEviT_T9_T10_S3_lS5_S3_lS4_T11_S3_li ; -- Begin function _ZL29rocblas_internal_gemmt_kernelIlLi16ELi32ELi8ELc78ELc78ELc76ELb0ELb0EddPKdPdEviT_T9_T10_S3_lS5_S3_lS4_T11_S3_li
	.p2align	8
	.type	_ZL29rocblas_internal_gemmt_kernelIlLi16ELi32ELi8ELc78ELc78ELc76ELb0ELb0EddPKdPdEviT_T9_T10_S3_lS5_S3_lS4_T11_S3_li,@function
_ZL29rocblas_internal_gemmt_kernelIlLi16ELi32ELi8ELc78ELc78ELc76ELb0ELb0EddPKdPdEviT_T9_T10_S3_lS5_S3_lS4_T11_S3_li: ; @_ZL29rocblas_internal_gemmt_kernelIlLi16ELi32ELi8ELc78ELc78ELc76ELb0ELb0EddPKdPdEviT_T9_T10_S3_lS5_S3_lS4_T11_S3_li
; %bb.0:
	s_clause 0x1
	s_load_b256 s[24:31], s[0:1], 0x48
	s_load_b512 s[8:23], s[0:1], 0x8
	s_wait_kmcnt 0x0
	v_cmp_neq_f64_e64 s2, s[24:25], 1.0
	s_and_b32 vcc_lo, exec_lo, s2
	s_cbranch_vccnz .LBB207_2
; %bb.1:
	v_cmp_neq_f64_e64 s2, s[10:11], 0
	s_cmp_lg_u64 s[8:9], 0
	s_cselect_b32 s3, -1, 0
	s_delay_alu instid0(SALU_CYCLE_1)
	s_and_b32 s2, s3, s2
.LBB207_2:
	s_delay_alu instid0(SALU_CYCLE_1)
	s_and_not1_b32 vcc_lo, exec_lo, s2
	s_cbranch_vccnz .LBB207_35
; %bb.3:
	s_load_b32 s33, s[0:1], 0x68
	s_bfe_u32 s2, ttmp6, 0x40014
	s_lshr_b32 s3, ttmp7, 16
	s_add_co_i32 s2, s2, 1
	s_bfe_u32 s5, ttmp6, 0x40008
	s_mul_i32 s4, s3, s2
	s_getreg_b32 s2, hwreg(HW_REG_IB_STS2, 6, 4)
	s_add_co_i32 s5, s5, s4
	s_cmp_eq_u32 s2, 0
	s_mov_b32 s7, 0
	s_cselect_b32 s6, s3, s5
	s_wait_kmcnt 0x0
	s_cmp_ge_u32 s6, s33
	s_cbranch_scc1 .LBB207_35
; %bb.4:
	s_bfe_u32 s3, ttmp6, 0x4000c
	s_bfe_u32 s5, ttmp6, 0x40010
	v_and_b32_e32 v6, 0x3ff, v0
	v_bfe_u32 v7, v0, 10, 10
	s_add_co_i32 s3, s3, 1
	s_and_b32 s34, ttmp7, 0xffff
	s_add_co_i32 s5, s5, 1
	s_and_b32 s4, ttmp6, 15
	s_mul_i32 s3, ttmp9, s3
	s_mul_i32 s5, s34, s5
	s_bfe_u32 s35, ttmp6, 0x40004
	v_lshl_add_u32 v8, v7, 4, v6
	s_add_co_i32 s4, s4, s3
	s_add_co_i32 s35, s35, s5
	s_cmp_eq_u32 s2, 0
	v_lshl_add_u32 v9, v7, 6, 0x800
	s_cselect_b32 s2, s34, s35
	s_cselect_b32 s3, ttmp9, s4
	s_lshl_b32 s2, s2, 5
	s_delay_alu instid0(SALU_CYCLE_1)
	v_dual_lshrrev_b32 v10, 3, v8 :: v_dual_add_nc_u32 v14, s2, v7
	v_and_b32_e32 v0, 7, v0
	s_load_b32 s4, s[0:1], 0x0
	s_wait_xcnt 0x0
	s_lshl_b32 s0, s3, 5
	v_add_nc_u32_e32 v12, s2, v10
	v_dual_add_nc_u32 v16, 16, v14 :: v_dual_ashrrev_i32 v15, 31, v14
	v_dual_lshlrev_b32 v11, 3, v0 :: v_dual_lshlrev_b32 v1, 3, v6
	s_delay_alu instid0(VALU_DEP_3) | instskip(NEXT) | instid1(VALU_DEP_3)
	v_ashrrev_i32_e32 v13, 31, v12
	v_ashrrev_i32_e32 v17, 31, v16
	s_delay_alu instid0(VALU_DEP_4)
	v_mul_u64_e32 v[2:3], s[28:29], v[14:15]
	v_add_nc_u32_e32 v6, s0, v6
	v_lshl_or_b32 v11, v10, 6, v11
	v_mul_u64_e32 v[18:19], s[20:21], v[12:13]
	v_cmp_neq_f64_e64 s21, s[10:11], 0
	v_cmp_neq_f64_e64 s20, s[24:25], 0
	v_mul_u64_e32 v[4:5], s[28:29], v[16:17]
	v_dual_lshrrev_b32 v8, 5, v8 :: v_dual_bitop2_b32 v13, 31, v8 bitop3:0x40
	v_cmp_le_i32_e32 vcc_lo, v14, v6
	v_cmp_gt_i64_e64 s34, s[8:9], 0
	s_wait_kmcnt 0x0
	v_cmp_gt_i32_e64 s2, s4, v6
	v_dual_lshlrev_b32 v13, 3, v13 :: v_dual_bitop2_b32 v20, s0, v13 bitop3:0x54
	v_dual_ashrrev_i32 v7, 31, v6 :: v_dual_add_nc_u32 v10, 16, v6
	v_cmp_gt_i32_e64 s1, s4, v12
	s_delay_alu instid0(VALU_DEP_3)
	v_ashrrev_i32_e32 v21, 31, v20
	v_cmp_gt_i32_e64 s0, s4, v20
	v_lshl_or_b32 v34, v8, 8, v13
	v_cmp_le_i32_e64 s3, v14, v10
	v_cmp_gt_i32_e64 s4, s4, v10
	v_lshl_add_u64 v[12:13], v[20:21], 3, s[12:13]
	s_and_b32 s12, vcc_lo, s2
	v_cmp_le_i32_e32 vcc_lo, v16, v6
	v_cmp_le_i32_e64 s5, v16, v10
	v_add_nc_u32_e32 v35, 0x800, v11
	v_dual_ashrrev_i32 v11, 31, v10 :: v_dual_mov_b32 v17, 0
	v_lshl_add_u64 v[14:15], v[18:19], 3, s[18:19]
	s_and_b32 s13, s21, s34
	s_and_b32 s18, s3, s4
	s_and_b32 s19, vcc_lo, s2
	s_and_b32 s4, s5, s4
	s_branch .LBB207_6
.LBB207_5:                              ;   in Loop: Header=BB207_6 Depth=1
	s_wait_xcnt 0x0
	s_or_b32 exec_lo, exec_lo, s2
	s_add_co_i32 s6, s6, 0x10000
	s_delay_alu instid0(SALU_CYCLE_1)
	s_cmp_lt_u32 s6, s33
	s_cbranch_scc0 .LBB207_35
.LBB207_6:                              ; =>This Loop Header: Depth=1
                                        ;     Child Loop BB207_9 Depth 2
	v_mov_b64_e32 v[24:25], 0
	v_mov_b64_e32 v[22:23], 0
	;; [unrolled: 1-line block ×4, first 2 shown]
	s_and_not1_b32 vcc_lo, exec_lo, s13
	s_cbranch_vccnz .LBB207_15
; %bb.7:                                ;   in Loop: Header=BB207_6 Depth=1
	s_mul_u64 s[2:3], s[22:23], s[6:7]
	s_mul_u64 s[28:29], s[16:17], s[6:7]
	v_mov_b64_e32 v[18:19], 0
	v_mov_b64_e32 v[20:21], 0
	;; [unrolled: 1-line block ×4, first 2 shown]
	v_lshl_add_u64 v[26:27], s[28:29], 3, v[12:13]
	v_lshl_add_u64 v[28:29], s[2:3], 3, v[14:15]
	s_mov_b64 s[2:3], 0
	s_branch .LBB207_9
.LBB207_8:                              ;   in Loop: Header=BB207_9 Depth=2
	s_wait_xcnt 0x0
	s_or_b32 exec_lo, exec_lo, s5
	s_wait_loadcnt 0x0
	ds_store_b64 v35, v[32:33]
	s_wait_dscnt 0x0
	s_barrier_signal -1
	s_barrier_wait -1
	ds_load_b128 v[30:33], v9
	ds_load_2addr_b64 v[36:39], v1 offset1:16
	ds_load_b128 v[40:43], v9 offset:1024
	ds_load_b128 v[44:47], v9 offset:16
	;; [unrolled: 1-line block ×3, first 2 shown]
	s_add_nc_u64 s[2:3], s[2:3], 8
	s_delay_alu instid0(SALU_CYCLE_1)
	v_cmp_gt_i64_e64 s5, s[8:9], s[2:3]
	s_and_b32 vcc_lo, exec_lo, s5
	s_wait_dscnt 0x3
	v_fmac_f64_e32 v[24:25], v[36:37], v[30:31]
	v_fmac_f64_e32 v[22:23], v[38:39], v[30:31]
	s_wait_dscnt 0x2
	v_fmac_f64_e32 v[20:21], v[36:37], v[40:41]
	v_fmac_f64_e32 v[18:19], v[38:39], v[40:41]
	ds_load_2addr_b64 v[36:39], v1 offset0:32 offset1:48
	s_wait_dscnt 0x0
	v_fmac_f64_e32 v[24:25], v[36:37], v[32:33]
	v_fmac_f64_e32 v[22:23], v[38:39], v[32:33]
	v_fmac_f64_e32 v[20:21], v[36:37], v[42:43]
	v_fmac_f64_e32 v[18:19], v[38:39], v[42:43]
	ds_load_2addr_b64 v[30:33], v1 offset0:64 offset1:80
	s_wait_dscnt 0x0
	v_fmac_f64_e32 v[24:25], v[30:31], v[44:45]
	v_fmac_f64_e32 v[22:23], v[32:33], v[44:45]
	v_fmac_f64_e32 v[20:21], v[30:31], v[48:49]
	v_fmac_f64_e32 v[18:19], v[32:33], v[48:49]
	ds_load_2addr_b64 v[30:33], v1 offset0:96 offset1:112
	s_wait_dscnt 0x0
	v_fmac_f64_e32 v[24:25], v[30:31], v[46:47]
	v_fmac_f64_e32 v[22:23], v[32:33], v[46:47]
	v_fmac_f64_e32 v[20:21], v[30:31], v[50:51]
	v_fmac_f64_e32 v[18:19], v[32:33], v[50:51]
	ds_load_b128 v[30:33], v9 offset:32
	ds_load_2addr_b64 v[36:39], v1 offset0:128 offset1:144
	ds_load_b128 v[40:43], v9 offset:1056
	ds_load_b128 v[44:47], v9 offset:48
	ds_load_b128 v[48:51], v9 offset:1072
	s_wait_dscnt 0x3
	v_fmac_f64_e32 v[24:25], v[36:37], v[30:31]
	v_fmac_f64_e32 v[22:23], v[38:39], v[30:31]
	s_wait_dscnt 0x2
	v_fmac_f64_e32 v[20:21], v[36:37], v[40:41]
	v_fmac_f64_e32 v[18:19], v[38:39], v[40:41]
	ds_load_2addr_b64 v[36:39], v1 offset0:160 offset1:176
	s_wait_dscnt 0x0
	v_fmac_f64_e32 v[24:25], v[36:37], v[32:33]
	v_fmac_f64_e32 v[22:23], v[38:39], v[32:33]
	;; [unrolled: 1-line block ×4, first 2 shown]
	ds_load_2addr_b64 v[30:33], v1 offset0:192 offset1:208
	s_wait_dscnt 0x0
	v_fmac_f64_e32 v[24:25], v[30:31], v[44:45]
	v_fmac_f64_e32 v[22:23], v[32:33], v[44:45]
	;; [unrolled: 1-line block ×4, first 2 shown]
	ds_load_2addr_b64 v[30:33], v1 offset0:224 offset1:240
	s_wait_dscnt 0x0
	s_barrier_signal -1
	s_barrier_wait -1
	v_fmac_f64_e32 v[24:25], v[30:31], v[46:47]
	v_fmac_f64_e32 v[22:23], v[32:33], v[46:47]
	;; [unrolled: 1-line block ×4, first 2 shown]
	s_cbranch_vccz .LBB207_15
.LBB207_9:                              ;   Parent Loop BB207_6 Depth=1
                                        ; =>  This Inner Loop Header: Depth=2
	v_mov_b64_e32 v[30:31], 0
	s_and_saveexec_b32 s5, s0
	s_cbranch_execz .LBB207_13
; %bb.10:                               ;   in Loop: Header=BB207_9 Depth=2
	v_mov_b64_e32 v[30:31], 0
	v_add_nc_u32_e32 v16, s2, v8
	s_mov_b32 s21, exec_lo
	s_delay_alu instid0(VALU_DEP_1)
	v_cmpx_gt_u64_e64 s[8:9], v[16:17]
	s_cbranch_execz .LBB207_12
; %bb.11:                               ;   in Loop: Header=BB207_9 Depth=2
	v_mul_u64_e32 v[30:31], s[14:15], v[16:17]
	s_delay_alu instid0(VALU_DEP_1)
	v_lshl_add_u64 v[30:31], v[30:31], 3, v[26:27]
	global_load_b64 v[30:31], v[30:31], off
.LBB207_12:                             ;   in Loop: Header=BB207_9 Depth=2
	s_wait_xcnt 0x0
	s_or_b32 exec_lo, exec_lo, s21
.LBB207_13:                             ;   in Loop: Header=BB207_9 Depth=2
	s_delay_alu instid0(SALU_CYCLE_1)
	s_or_b32 exec_lo, exec_lo, s5
	v_add_nc_u32_e32 v16, s2, v0
	v_mov_b64_e32 v[32:33], 0
	s_wait_loadcnt 0x0
	ds_store_b64 v34, v[30:31]
	v_cmp_gt_u64_e32 vcc_lo, s[8:9], v[16:17]
	s_and_b32 s21, vcc_lo, s1
	s_delay_alu instid0(SALU_CYCLE_1)
	s_and_saveexec_b32 s5, s21
	s_cbranch_execz .LBB207_8
; %bb.14:                               ;   in Loop: Header=BB207_9 Depth=2
	v_lshl_add_u64 v[30:31], v[16:17], 3, v[28:29]
	global_load_b64 v[32:33], v[30:31], off
	s_branch .LBB207_8
.LBB207_15:                             ;   in Loop: Header=BB207_6 Depth=1
	s_mul_u64 s[2:3], s[30:31], s[6:7]
	s_delay_alu instid0(SALU_CYCLE_1) | instskip(NEXT) | instid1(SALU_CYCLE_1)
	s_lshl_b64 s[2:3], s[2:3], 3
	s_add_nc_u64 s[2:3], s[26:27], s[2:3]
	s_delay_alu instid0(SALU_CYCLE_1)
	v_lshl_add_u64 v[26:27], v[2:3], 3, s[2:3]
	s_and_saveexec_b32 s5, s12
	s_cbranch_execz .LBB207_19
; %bb.16:                               ;   in Loop: Header=BB207_6 Depth=1
	v_mul_f64_e32 v[24:25], s[10:11], v[24:25]
	s_delay_alu instid0(VALU_DEP_2)
	v_lshl_add_u64 v[28:29], v[6:7], 3, v[26:27]
	s_and_b32 vcc_lo, exec_lo, s20
	s_cbranch_vccz .LBB207_30
; %bb.17:                               ;   in Loop: Header=BB207_6 Depth=1
	global_load_b64 v[30:31], v[28:29], off
	s_wait_loadcnt 0x0
	v_fma_f64 v[30:31], s[24:25], v[30:31], v[24:25]
	global_store_b64 v[28:29], v[30:31], off
	s_cbranch_execnz .LBB207_19
.LBB207_18:                             ;   in Loop: Header=BB207_6 Depth=1
	global_store_b64 v[28:29], v[24:25], off
.LBB207_19:                             ;   in Loop: Header=BB207_6 Depth=1
	s_wait_xcnt 0x0
	s_or_b32 exec_lo, exec_lo, s5
	s_and_saveexec_b32 s5, s18
	s_cbranch_execz .LBB207_23
; %bb.20:                               ;   in Loop: Header=BB207_6 Depth=1
	s_delay_alu instid0(VALU_DEP_4)
	v_mul_f64_e32 v[22:23], s[10:11], v[22:23]
	v_lshl_add_u64 v[24:25], v[10:11], 3, v[26:27]
	s_and_not1_b32 vcc_lo, exec_lo, s20
	s_cbranch_vccnz .LBB207_31
; %bb.21:                               ;   in Loop: Header=BB207_6 Depth=1
	global_load_b64 v[26:27], v[24:25], off
	s_wait_loadcnt 0x0
	v_fma_f64 v[26:27], s[24:25], v[26:27], v[22:23]
	global_store_b64 v[24:25], v[26:27], off
	s_cbranch_execnz .LBB207_23
.LBB207_22:                             ;   in Loop: Header=BB207_6 Depth=1
	global_store_b64 v[24:25], v[22:23], off
.LBB207_23:                             ;   in Loop: Header=BB207_6 Depth=1
	s_wait_xcnt 0x0
	s_or_b32 exec_lo, exec_lo, s5
	v_lshl_add_u64 v[22:23], v[4:5], 3, s[2:3]
	s_and_saveexec_b32 s2, s19
	s_cbranch_execz .LBB207_27
; %bb.24:                               ;   in Loop: Header=BB207_6 Depth=1
	s_delay_alu instid0(VALU_DEP_4) | instskip(NEXT) | instid1(VALU_DEP_2)
	v_mul_f64_e32 v[20:21], s[10:11], v[20:21]
	v_lshl_add_u64 v[24:25], v[6:7], 3, v[22:23]
	s_and_not1_b32 vcc_lo, exec_lo, s20
	s_cbranch_vccnz .LBB207_32
; %bb.25:                               ;   in Loop: Header=BB207_6 Depth=1
	global_load_b64 v[26:27], v[24:25], off
	s_wait_loadcnt 0x0
	v_fma_f64 v[26:27], s[24:25], v[26:27], v[20:21]
	global_store_b64 v[24:25], v[26:27], off
	s_cbranch_execnz .LBB207_27
.LBB207_26:                             ;   in Loop: Header=BB207_6 Depth=1
	global_store_b64 v[24:25], v[20:21], off
.LBB207_27:                             ;   in Loop: Header=BB207_6 Depth=1
	s_wait_xcnt 0x0
	s_or_b32 exec_lo, exec_lo, s2
	s_and_saveexec_b32 s2, s4
	s_cbranch_execz .LBB207_5
; %bb.28:                               ;   in Loop: Header=BB207_6 Depth=1
	s_delay_alu instid0(VALU_DEP_3)
	v_mul_f64_e32 v[18:19], s[10:11], v[18:19]
	v_lshl_add_u64 v[20:21], v[10:11], 3, v[22:23]
	s_and_not1_b32 vcc_lo, exec_lo, s20
	s_cbranch_vccnz .LBB207_33
; %bb.29:                               ;   in Loop: Header=BB207_6 Depth=1
	global_load_b64 v[22:23], v[20:21], off
	s_wait_loadcnt 0x0
	v_fma_f64 v[22:23], s[24:25], v[22:23], v[18:19]
	global_store_b64 v[20:21], v[22:23], off
	s_cbranch_execnz .LBB207_5
	s_branch .LBB207_34
.LBB207_30:                             ;   in Loop: Header=BB207_6 Depth=1
	s_branch .LBB207_18
.LBB207_31:                             ;   in Loop: Header=BB207_6 Depth=1
	s_branch .LBB207_22
.LBB207_32:                             ;   in Loop: Header=BB207_6 Depth=1
	s_branch .LBB207_26
.LBB207_33:                             ;   in Loop: Header=BB207_6 Depth=1
.LBB207_34:                             ;   in Loop: Header=BB207_6 Depth=1
	global_store_b64 v[20:21], v[18:19], off
	s_branch .LBB207_5
.LBB207_35:
	s_endpgm
	.section	.rodata,"a",@progbits
	.p2align	6, 0x0
	.amdhsa_kernel _ZL29rocblas_internal_gemmt_kernelIlLi16ELi32ELi8ELc78ELc78ELc76ELb0ELb0EddPKdPdEviT_T9_T10_S3_lS5_S3_lS4_T11_S3_li
		.amdhsa_group_segment_fixed_size 4096
		.amdhsa_private_segment_fixed_size 0
		.amdhsa_kernarg_size 108
		.amdhsa_user_sgpr_count 2
		.amdhsa_user_sgpr_dispatch_ptr 0
		.amdhsa_user_sgpr_queue_ptr 0
		.amdhsa_user_sgpr_kernarg_segment_ptr 1
		.amdhsa_user_sgpr_dispatch_id 0
		.amdhsa_user_sgpr_kernarg_preload_length 0
		.amdhsa_user_sgpr_kernarg_preload_offset 0
		.amdhsa_user_sgpr_private_segment_size 0
		.amdhsa_wavefront_size32 1
		.amdhsa_uses_dynamic_stack 0
		.amdhsa_enable_private_segment 0
		.amdhsa_system_sgpr_workgroup_id_x 1
		.amdhsa_system_sgpr_workgroup_id_y 1
		.amdhsa_system_sgpr_workgroup_id_z 1
		.amdhsa_system_sgpr_workgroup_info 0
		.amdhsa_system_vgpr_workitem_id 1
		.amdhsa_next_free_vgpr 52
		.amdhsa_next_free_sgpr 36
		.amdhsa_named_barrier_count 0
		.amdhsa_reserve_vcc 1
		.amdhsa_float_round_mode_32 0
		.amdhsa_float_round_mode_16_64 0
		.amdhsa_float_denorm_mode_32 3
		.amdhsa_float_denorm_mode_16_64 3
		.amdhsa_fp16_overflow 0
		.amdhsa_memory_ordered 1
		.amdhsa_forward_progress 1
		.amdhsa_inst_pref_size 13
		.amdhsa_round_robin_scheduling 0
		.amdhsa_exception_fp_ieee_invalid_op 0
		.amdhsa_exception_fp_denorm_src 0
		.amdhsa_exception_fp_ieee_div_zero 0
		.amdhsa_exception_fp_ieee_overflow 0
		.amdhsa_exception_fp_ieee_underflow 0
		.amdhsa_exception_fp_ieee_inexact 0
		.amdhsa_exception_int_div_zero 0
	.end_amdhsa_kernel
	.section	.text._ZL29rocblas_internal_gemmt_kernelIlLi16ELi32ELi8ELc78ELc78ELc76ELb0ELb0EddPKdPdEviT_T9_T10_S3_lS5_S3_lS4_T11_S3_li,"axG",@progbits,_ZL29rocblas_internal_gemmt_kernelIlLi16ELi32ELi8ELc78ELc78ELc76ELb0ELb0EddPKdPdEviT_T9_T10_S3_lS5_S3_lS4_T11_S3_li,comdat
.Lfunc_end207:
	.size	_ZL29rocblas_internal_gemmt_kernelIlLi16ELi32ELi8ELc78ELc78ELc76ELb0ELb0EddPKdPdEviT_T9_T10_S3_lS5_S3_lS4_T11_S3_li, .Lfunc_end207-_ZL29rocblas_internal_gemmt_kernelIlLi16ELi32ELi8ELc78ELc78ELc76ELb0ELb0EddPKdPdEviT_T9_T10_S3_lS5_S3_lS4_T11_S3_li
                                        ; -- End function
	.set _ZL29rocblas_internal_gemmt_kernelIlLi16ELi32ELi8ELc78ELc78ELc76ELb0ELb0EddPKdPdEviT_T9_T10_S3_lS5_S3_lS4_T11_S3_li.num_vgpr, 52
	.set _ZL29rocblas_internal_gemmt_kernelIlLi16ELi32ELi8ELc78ELc78ELc76ELb0ELb0EddPKdPdEviT_T9_T10_S3_lS5_S3_lS4_T11_S3_li.num_agpr, 0
	.set _ZL29rocblas_internal_gemmt_kernelIlLi16ELi32ELi8ELc78ELc78ELc76ELb0ELb0EddPKdPdEviT_T9_T10_S3_lS5_S3_lS4_T11_S3_li.numbered_sgpr, 36
	.set _ZL29rocblas_internal_gemmt_kernelIlLi16ELi32ELi8ELc78ELc78ELc76ELb0ELb0EddPKdPdEviT_T9_T10_S3_lS5_S3_lS4_T11_S3_li.num_named_barrier, 0
	.set _ZL29rocblas_internal_gemmt_kernelIlLi16ELi32ELi8ELc78ELc78ELc76ELb0ELb0EddPKdPdEviT_T9_T10_S3_lS5_S3_lS4_T11_S3_li.private_seg_size, 0
	.set _ZL29rocblas_internal_gemmt_kernelIlLi16ELi32ELi8ELc78ELc78ELc76ELb0ELb0EddPKdPdEviT_T9_T10_S3_lS5_S3_lS4_T11_S3_li.uses_vcc, 1
	.set _ZL29rocblas_internal_gemmt_kernelIlLi16ELi32ELi8ELc78ELc78ELc76ELb0ELb0EddPKdPdEviT_T9_T10_S3_lS5_S3_lS4_T11_S3_li.uses_flat_scratch, 0
	.set _ZL29rocblas_internal_gemmt_kernelIlLi16ELi32ELi8ELc78ELc78ELc76ELb0ELb0EddPKdPdEviT_T9_T10_S3_lS5_S3_lS4_T11_S3_li.has_dyn_sized_stack, 0
	.set _ZL29rocblas_internal_gemmt_kernelIlLi16ELi32ELi8ELc78ELc78ELc76ELb0ELb0EddPKdPdEviT_T9_T10_S3_lS5_S3_lS4_T11_S3_li.has_recursion, 0
	.set _ZL29rocblas_internal_gemmt_kernelIlLi16ELi32ELi8ELc78ELc78ELc76ELb0ELb0EddPKdPdEviT_T9_T10_S3_lS5_S3_lS4_T11_S3_li.has_indirect_call, 0
	.section	.AMDGPU.csdata,"",@progbits
; Kernel info:
; codeLenInByte = 1584
; TotalNumSgprs: 38
; NumVgprs: 52
; ScratchSize: 0
; MemoryBound: 0
; FloatMode: 240
; IeeeMode: 1
; LDSByteSize: 4096 bytes/workgroup (compile time only)
; SGPRBlocks: 0
; VGPRBlocks: 3
; NumSGPRsForWavesPerEU: 38
; NumVGPRsForWavesPerEU: 52
; NamedBarCnt: 0
; Occupancy: 16
; WaveLimiterHint : 0
; COMPUTE_PGM_RSRC2:SCRATCH_EN: 0
; COMPUTE_PGM_RSRC2:USER_SGPR: 2
; COMPUTE_PGM_RSRC2:TRAP_HANDLER: 0
; COMPUTE_PGM_RSRC2:TGID_X_EN: 1
; COMPUTE_PGM_RSRC2:TGID_Y_EN: 1
; COMPUTE_PGM_RSRC2:TGID_Z_EN: 1
; COMPUTE_PGM_RSRC2:TIDIG_COMP_CNT: 1
	.section	.text._ZL29rocblas_internal_gemmt_kernelIlLi16ELi32ELi8ELc78ELc84ELc76ELb0ELb0EddPKdPdEviT_T9_T10_S3_lS5_S3_lS4_T11_S3_li,"axG",@progbits,_ZL29rocblas_internal_gemmt_kernelIlLi16ELi32ELi8ELc78ELc84ELc76ELb0ELb0EddPKdPdEviT_T9_T10_S3_lS5_S3_lS4_T11_S3_li,comdat
	.globl	_ZL29rocblas_internal_gemmt_kernelIlLi16ELi32ELi8ELc78ELc84ELc76ELb0ELb0EddPKdPdEviT_T9_T10_S3_lS5_S3_lS4_T11_S3_li ; -- Begin function _ZL29rocblas_internal_gemmt_kernelIlLi16ELi32ELi8ELc78ELc84ELc76ELb0ELb0EddPKdPdEviT_T9_T10_S3_lS5_S3_lS4_T11_S3_li
	.p2align	8
	.type	_ZL29rocblas_internal_gemmt_kernelIlLi16ELi32ELi8ELc78ELc84ELc76ELb0ELb0EddPKdPdEviT_T9_T10_S3_lS5_S3_lS4_T11_S3_li,@function
_ZL29rocblas_internal_gemmt_kernelIlLi16ELi32ELi8ELc78ELc84ELc76ELb0ELb0EddPKdPdEviT_T9_T10_S3_lS5_S3_lS4_T11_S3_li: ; @_ZL29rocblas_internal_gemmt_kernelIlLi16ELi32ELi8ELc78ELc84ELc76ELb0ELb0EddPKdPdEviT_T9_T10_S3_lS5_S3_lS4_T11_S3_li
; %bb.0:
	s_clause 0x1
	s_load_b256 s[24:31], s[0:1], 0x48
	s_load_b512 s[8:23], s[0:1], 0x8
	s_wait_kmcnt 0x0
	v_cmp_neq_f64_e64 s2, s[24:25], 1.0
	s_and_b32 vcc_lo, exec_lo, s2
	s_cbranch_vccnz .LBB208_2
; %bb.1:
	v_cmp_neq_f64_e64 s2, s[10:11], 0
	s_cmp_lg_u64 s[8:9], 0
	s_cselect_b32 s3, -1, 0
	s_delay_alu instid0(SALU_CYCLE_1)
	s_and_b32 s2, s3, s2
.LBB208_2:
	s_delay_alu instid0(SALU_CYCLE_1)
	s_and_not1_b32 vcc_lo, exec_lo, s2
	s_cbranch_vccnz .LBB208_35
; %bb.3:
	s_load_b32 s33, s[0:1], 0x68
	s_bfe_u32 s2, ttmp6, 0x40014
	s_lshr_b32 s3, ttmp7, 16
	s_add_co_i32 s2, s2, 1
	s_bfe_u32 s5, ttmp6, 0x40008
	s_mul_i32 s4, s3, s2
	s_getreg_b32 s2, hwreg(HW_REG_IB_STS2, 6, 4)
	s_add_co_i32 s5, s5, s4
	s_cmp_eq_u32 s2, 0
	s_mov_b32 s7, 0
	s_cselect_b32 s6, s3, s5
	s_wait_kmcnt 0x0
	s_cmp_ge_u32 s6, s33
	s_cbranch_scc1 .LBB208_35
; %bb.4:
	s_bfe_u32 s3, ttmp6, 0x4000c
	s_bfe_u32 s5, ttmp6, 0x40010
	s_add_co_i32 s3, s3, 1
	s_and_b32 s34, ttmp7, 0xffff
	s_add_co_i32 s5, s5, 1
	s_and_b32 s4, ttmp6, 15
	s_mul_i32 s3, ttmp9, s3
	s_mul_i32 s5, s34, s5
	s_bfe_u32 s35, ttmp6, 0x40004
	s_add_co_i32 s4, s4, s3
	s_add_co_i32 s35, s35, s5
	s_cmp_eq_u32 s2, 0
	v_and_b32_e32 v9, 0x3ff, v0
	v_bfe_u32 v15, v0, 10, 10
	s_cselect_b32 s2, s34, s35
	s_cselect_b32 s3, ttmp9, s4
	s_lshl_b32 s2, s2, 5
	s_load_b32 s4, s[0:1], 0x0
	v_lshl_add_u32 v1, v15, 4, v9
	v_add_nc_u32_e32 v16, s2, v15
	s_wait_xcnt 0x0
	s_lshl_b32 s1, s3, 5
	v_and_b32_e32 v0, 7, v0
	v_cmp_neq_f64_e64 s35, s[10:11], 0
	v_dual_lshrrev_b32 v2, 5, v1 :: v_dual_bitop2_b32 v3, 31, v1 bitop3:0x40
	v_dual_add_nc_u32 v18, 16, v16 :: v_dual_lshrrev_b32 v8, 3, v1
	v_ashrrev_i32_e32 v17, 31, v16
	v_cmp_neq_f64_e64 s34, s[24:25], 0
	s_delay_alu instid0(VALU_DEP_3) | instskip(NEXT) | instid1(VALU_DEP_4)
	v_dual_ashrrev_i32 v19, 31, v18 :: v_dual_bitop2_b32 v10, s1, v3 bitop3:0x54
	v_add_nc_u32_e32 v12, s2, v8
	s_delay_alu instid0(VALU_DEP_4) | instskip(SKIP_1) | instid1(VALU_DEP_4)
	v_mul_u64_e32 v[4:5], s[28:29], v[16:17]
	v_dual_lshlrev_b32 v1, 3, v3 :: v_dual_lshlrev_b32 v3, 3, v0
	v_mul_u64_e32 v[6:7], s[28:29], v[18:19]
	s_delay_alu instid0(VALU_DEP_4) | instskip(SKIP_1) | instid1(VALU_DEP_4)
	v_dual_ashrrev_i32 v11, 31, v10 :: v_dual_ashrrev_i32 v13, 31, v12
	v_lshlrev_b32_e32 v34, 3, v9
	v_lshl_or_b32 v3, v8, 6, v3
	v_add_nc_u32_e32 v8, s1, v9
	v_cmp_gt_i64_e64 s28, s[8:9], 0
	s_wait_kmcnt 0x0
	v_cmp_gt_i32_e64 s0, s4, v10
	v_lshl_add_u64 v[10:11], v[10:11], 3, s[12:13]
	v_cmp_gt_i32_e64 s1, s4, v12
	v_cmp_le_i32_e32 vcc_lo, v16, v8
	v_cmp_gt_i32_e64 s2, s4, v8
	v_dual_add_nc_u32 v14, 16, v8 :: v_dual_ashrrev_i32 v9, 31, v8
	v_lshl_or_b32 v1, v2, 8, v1
	v_add_nc_u32_e32 v3, 0x800, v3
	s_and_b32 s12, vcc_lo, s2
	s_delay_alu instid0(VALU_DEP_3)
	v_cmp_le_i32_e32 vcc_lo, v16, v14
	v_cmp_gt_i32_e64 s3, s4, v14
	v_cmp_le_i32_e64 s4, v18, v8
	v_cmp_le_i32_e64 s5, v18, v14
	v_lshl_add_u64 v[12:13], v[12:13], 3, s[18:19]
	v_lshl_add_u32 v35, v15, 6, 0x800
	v_dual_ashrrev_i32 v15, 31, v14 :: v_dual_mov_b32 v17, 0
	s_and_b32 s13, s35, s28
	s_and_b32 s18, vcc_lo, s3
	s_and_b32 s4, s4, s2
	s_and_b32 s5, s5, s3
	s_branch .LBB208_6
.LBB208_5:                              ;   in Loop: Header=BB208_6 Depth=1
	s_wait_xcnt 0x0
	s_or_b32 exec_lo, exec_lo, s2
	s_add_co_i32 s6, s6, 0x10000
	s_delay_alu instid0(SALU_CYCLE_1)
	s_cmp_lt_u32 s6, s33
	s_cbranch_scc0 .LBB208_35
.LBB208_6:                              ; =>This Loop Header: Depth=1
                                        ;     Child Loop BB208_9 Depth 2
	v_mov_b64_e32 v[24:25], 0
	v_mov_b64_e32 v[22:23], 0
	;; [unrolled: 1-line block ×4, first 2 shown]
	s_and_not1_b32 vcc_lo, exec_lo, s13
	s_cbranch_vccnz .LBB208_15
; %bb.7:                                ;   in Loop: Header=BB208_6 Depth=1
	s_mul_u64 s[2:3], s[22:23], s[6:7]
	s_mul_u64 s[28:29], s[16:17], s[6:7]
	v_mov_b64_e32 v[18:19], 0
	v_mov_b64_e32 v[20:21], 0
	;; [unrolled: 1-line block ×4, first 2 shown]
	v_lshl_add_u64 v[26:27], s[28:29], 3, v[10:11]
	v_lshl_add_u64 v[28:29], s[2:3], 3, v[12:13]
	s_mov_b64 s[2:3], 0
	s_branch .LBB208_9
.LBB208_8:                              ;   in Loop: Header=BB208_9 Depth=2
	s_wait_xcnt 0x0
	s_or_b32 exec_lo, exec_lo, s19
	s_wait_loadcnt 0x0
	ds_store_b64 v3, v[32:33]
	s_wait_dscnt 0x0
	s_barrier_signal -1
	s_barrier_wait -1
	ds_load_b128 v[30:33], v35
	ds_load_2addr_b64 v[36:39], v34 offset1:16
	ds_load_b128 v[40:43], v35 offset:1024
	ds_load_b128 v[44:47], v35 offset:16
	;; [unrolled: 1-line block ×3, first 2 shown]
	s_add_nc_u64 s[2:3], s[2:3], 8
	s_delay_alu instid0(SALU_CYCLE_1)
	v_cmp_gt_i64_e64 s19, s[8:9], s[2:3]
	s_and_b32 vcc_lo, exec_lo, s19
	s_wait_dscnt 0x3
	v_fmac_f64_e32 v[24:25], v[36:37], v[30:31]
	v_fmac_f64_e32 v[22:23], v[38:39], v[30:31]
	s_wait_dscnt 0x2
	v_fmac_f64_e32 v[20:21], v[36:37], v[40:41]
	v_fmac_f64_e32 v[18:19], v[38:39], v[40:41]
	ds_load_2addr_b64 v[36:39], v34 offset0:32 offset1:48
	s_wait_dscnt 0x0
	v_fmac_f64_e32 v[24:25], v[36:37], v[32:33]
	v_fmac_f64_e32 v[22:23], v[38:39], v[32:33]
	v_fmac_f64_e32 v[20:21], v[36:37], v[42:43]
	v_fmac_f64_e32 v[18:19], v[38:39], v[42:43]
	ds_load_2addr_b64 v[30:33], v34 offset0:64 offset1:80
	s_wait_dscnt 0x0
	v_fmac_f64_e32 v[24:25], v[30:31], v[44:45]
	v_fmac_f64_e32 v[22:23], v[32:33], v[44:45]
	;; [unrolled: 6-line block ×3, first 2 shown]
	v_fmac_f64_e32 v[20:21], v[30:31], v[50:51]
	v_fmac_f64_e32 v[18:19], v[32:33], v[50:51]
	ds_load_b128 v[30:33], v35 offset:32
	ds_load_2addr_b64 v[36:39], v34 offset0:128 offset1:144
	ds_load_b128 v[40:43], v35 offset:1056
	ds_load_b128 v[44:47], v35 offset:48
	ds_load_b128 v[48:51], v35 offset:1072
	s_wait_dscnt 0x3
	v_fmac_f64_e32 v[24:25], v[36:37], v[30:31]
	v_fmac_f64_e32 v[22:23], v[38:39], v[30:31]
	s_wait_dscnt 0x2
	v_fmac_f64_e32 v[20:21], v[36:37], v[40:41]
	v_fmac_f64_e32 v[18:19], v[38:39], v[40:41]
	ds_load_2addr_b64 v[36:39], v34 offset0:160 offset1:176
	s_wait_dscnt 0x0
	v_fmac_f64_e32 v[24:25], v[36:37], v[32:33]
	v_fmac_f64_e32 v[22:23], v[38:39], v[32:33]
	;; [unrolled: 1-line block ×4, first 2 shown]
	ds_load_2addr_b64 v[30:33], v34 offset0:192 offset1:208
	s_wait_dscnt 0x0
	v_fmac_f64_e32 v[24:25], v[30:31], v[44:45]
	v_fmac_f64_e32 v[22:23], v[32:33], v[44:45]
	;; [unrolled: 1-line block ×4, first 2 shown]
	ds_load_2addr_b64 v[30:33], v34 offset0:224 offset1:240
	s_wait_dscnt 0x0
	s_barrier_signal -1
	s_barrier_wait -1
	v_fmac_f64_e32 v[24:25], v[30:31], v[46:47]
	v_fmac_f64_e32 v[22:23], v[32:33], v[46:47]
	;; [unrolled: 1-line block ×4, first 2 shown]
	s_cbranch_vccz .LBB208_15
.LBB208_9:                              ;   Parent Loop BB208_6 Depth=1
                                        ; =>  This Inner Loop Header: Depth=2
	v_mov_b64_e32 v[30:31], 0
	s_and_saveexec_b32 s19, s0
	s_cbranch_execz .LBB208_13
; %bb.10:                               ;   in Loop: Header=BB208_9 Depth=2
	v_mov_b64_e32 v[30:31], 0
	v_add_nc_u32_e32 v16, s2, v2
	s_mov_b32 s28, exec_lo
	s_delay_alu instid0(VALU_DEP_1)
	v_cmpx_gt_u64_e64 s[8:9], v[16:17]
	s_cbranch_execz .LBB208_12
; %bb.11:                               ;   in Loop: Header=BB208_9 Depth=2
	v_mul_u64_e32 v[30:31], s[14:15], v[16:17]
	s_delay_alu instid0(VALU_DEP_1)
	v_lshl_add_u64 v[30:31], v[30:31], 3, v[26:27]
	global_load_b64 v[30:31], v[30:31], off
.LBB208_12:                             ;   in Loop: Header=BB208_9 Depth=2
	s_wait_xcnt 0x0
	s_or_b32 exec_lo, exec_lo, s28
.LBB208_13:                             ;   in Loop: Header=BB208_9 Depth=2
	s_delay_alu instid0(SALU_CYCLE_1)
	s_or_b32 exec_lo, exec_lo, s19
	v_add_nc_u32_e32 v16, s2, v0
	v_mov_b64_e32 v[32:33], 0
	s_wait_loadcnt 0x0
	ds_store_b64 v1, v[30:31]
	v_cmp_gt_u64_e32 vcc_lo, s[8:9], v[16:17]
	s_and_b32 s28, vcc_lo, s1
	s_delay_alu instid0(SALU_CYCLE_1)
	s_and_saveexec_b32 s19, s28
	s_cbranch_execz .LBB208_8
; %bb.14:                               ;   in Loop: Header=BB208_9 Depth=2
	v_mul_u64_e32 v[30:31], s[20:21], v[16:17]
	s_delay_alu instid0(VALU_DEP_1)
	v_lshl_add_u64 v[30:31], v[30:31], 3, v[28:29]
	global_load_b64 v[32:33], v[30:31], off
	s_branch .LBB208_8
.LBB208_15:                             ;   in Loop: Header=BB208_6 Depth=1
	s_mul_u64 s[2:3], s[30:31], s[6:7]
	s_delay_alu instid0(SALU_CYCLE_1) | instskip(NEXT) | instid1(SALU_CYCLE_1)
	s_lshl_b64 s[2:3], s[2:3], 3
	s_add_nc_u64 s[2:3], s[26:27], s[2:3]
	s_delay_alu instid0(SALU_CYCLE_1)
	v_lshl_add_u64 v[26:27], v[4:5], 3, s[2:3]
	s_and_saveexec_b32 s19, s12
	s_cbranch_execz .LBB208_19
; %bb.16:                               ;   in Loop: Header=BB208_6 Depth=1
	v_mul_f64_e32 v[24:25], s[10:11], v[24:25]
	s_delay_alu instid0(VALU_DEP_2)
	v_lshl_add_u64 v[28:29], v[8:9], 3, v[26:27]
	s_and_b32 vcc_lo, exec_lo, s34
	s_cbranch_vccz .LBB208_30
; %bb.17:                               ;   in Loop: Header=BB208_6 Depth=1
	global_load_b64 v[30:31], v[28:29], off
	s_wait_loadcnt 0x0
	v_fma_f64 v[30:31], s[24:25], v[30:31], v[24:25]
	global_store_b64 v[28:29], v[30:31], off
	s_cbranch_execnz .LBB208_19
.LBB208_18:                             ;   in Loop: Header=BB208_6 Depth=1
	global_store_b64 v[28:29], v[24:25], off
.LBB208_19:                             ;   in Loop: Header=BB208_6 Depth=1
	s_wait_xcnt 0x0
	s_or_b32 exec_lo, exec_lo, s19
	s_and_saveexec_b32 s19, s18
	s_cbranch_execz .LBB208_23
; %bb.20:                               ;   in Loop: Header=BB208_6 Depth=1
	s_delay_alu instid0(VALU_DEP_4)
	v_mul_f64_e32 v[22:23], s[10:11], v[22:23]
	v_lshl_add_u64 v[24:25], v[14:15], 3, v[26:27]
	s_and_not1_b32 vcc_lo, exec_lo, s34
	s_cbranch_vccnz .LBB208_31
; %bb.21:                               ;   in Loop: Header=BB208_6 Depth=1
	global_load_b64 v[26:27], v[24:25], off
	s_wait_loadcnt 0x0
	v_fma_f64 v[26:27], s[24:25], v[26:27], v[22:23]
	global_store_b64 v[24:25], v[26:27], off
	s_cbranch_execnz .LBB208_23
.LBB208_22:                             ;   in Loop: Header=BB208_6 Depth=1
	global_store_b64 v[24:25], v[22:23], off
.LBB208_23:                             ;   in Loop: Header=BB208_6 Depth=1
	s_wait_xcnt 0x0
	s_or_b32 exec_lo, exec_lo, s19
	v_lshl_add_u64 v[22:23], v[6:7], 3, s[2:3]
	s_and_saveexec_b32 s2, s4
	s_cbranch_execz .LBB208_27
; %bb.24:                               ;   in Loop: Header=BB208_6 Depth=1
	s_delay_alu instid0(VALU_DEP_4) | instskip(NEXT) | instid1(VALU_DEP_2)
	v_mul_f64_e32 v[20:21], s[10:11], v[20:21]
	v_lshl_add_u64 v[24:25], v[8:9], 3, v[22:23]
	s_and_not1_b32 vcc_lo, exec_lo, s34
	s_cbranch_vccnz .LBB208_32
; %bb.25:                               ;   in Loop: Header=BB208_6 Depth=1
	global_load_b64 v[26:27], v[24:25], off
	s_wait_loadcnt 0x0
	v_fma_f64 v[26:27], s[24:25], v[26:27], v[20:21]
	global_store_b64 v[24:25], v[26:27], off
	s_cbranch_execnz .LBB208_27
.LBB208_26:                             ;   in Loop: Header=BB208_6 Depth=1
	global_store_b64 v[24:25], v[20:21], off
.LBB208_27:                             ;   in Loop: Header=BB208_6 Depth=1
	s_wait_xcnt 0x0
	s_or_b32 exec_lo, exec_lo, s2
	s_and_saveexec_b32 s2, s5
	s_cbranch_execz .LBB208_5
; %bb.28:                               ;   in Loop: Header=BB208_6 Depth=1
	s_delay_alu instid0(VALU_DEP_3)
	v_mul_f64_e32 v[18:19], s[10:11], v[18:19]
	v_lshl_add_u64 v[20:21], v[14:15], 3, v[22:23]
	s_and_not1_b32 vcc_lo, exec_lo, s34
	s_cbranch_vccnz .LBB208_33
; %bb.29:                               ;   in Loop: Header=BB208_6 Depth=1
	global_load_b64 v[22:23], v[20:21], off
	s_wait_loadcnt 0x0
	v_fma_f64 v[22:23], s[24:25], v[22:23], v[18:19]
	global_store_b64 v[20:21], v[22:23], off
	s_cbranch_execnz .LBB208_5
	s_branch .LBB208_34
.LBB208_30:                             ;   in Loop: Header=BB208_6 Depth=1
	s_branch .LBB208_18
.LBB208_31:                             ;   in Loop: Header=BB208_6 Depth=1
	s_branch .LBB208_22
.LBB208_32:                             ;   in Loop: Header=BB208_6 Depth=1
	s_branch .LBB208_26
.LBB208_33:                             ;   in Loop: Header=BB208_6 Depth=1
.LBB208_34:                             ;   in Loop: Header=BB208_6 Depth=1
	global_store_b64 v[20:21], v[18:19], off
	s_branch .LBB208_5
.LBB208_35:
	s_endpgm
	.section	.rodata,"a",@progbits
	.p2align	6, 0x0
	.amdhsa_kernel _ZL29rocblas_internal_gemmt_kernelIlLi16ELi32ELi8ELc78ELc84ELc76ELb0ELb0EddPKdPdEviT_T9_T10_S3_lS5_S3_lS4_T11_S3_li
		.amdhsa_group_segment_fixed_size 4096
		.amdhsa_private_segment_fixed_size 0
		.amdhsa_kernarg_size 108
		.amdhsa_user_sgpr_count 2
		.amdhsa_user_sgpr_dispatch_ptr 0
		.amdhsa_user_sgpr_queue_ptr 0
		.amdhsa_user_sgpr_kernarg_segment_ptr 1
		.amdhsa_user_sgpr_dispatch_id 0
		.amdhsa_user_sgpr_kernarg_preload_length 0
		.amdhsa_user_sgpr_kernarg_preload_offset 0
		.amdhsa_user_sgpr_private_segment_size 0
		.amdhsa_wavefront_size32 1
		.amdhsa_uses_dynamic_stack 0
		.amdhsa_enable_private_segment 0
		.amdhsa_system_sgpr_workgroup_id_x 1
		.amdhsa_system_sgpr_workgroup_id_y 1
		.amdhsa_system_sgpr_workgroup_id_z 1
		.amdhsa_system_sgpr_workgroup_info 0
		.amdhsa_system_vgpr_workitem_id 1
		.amdhsa_next_free_vgpr 52
		.amdhsa_next_free_sgpr 36
		.amdhsa_named_barrier_count 0
		.amdhsa_reserve_vcc 1
		.amdhsa_float_round_mode_32 0
		.amdhsa_float_round_mode_16_64 0
		.amdhsa_float_denorm_mode_32 3
		.amdhsa_float_denorm_mode_16_64 3
		.amdhsa_fp16_overflow 0
		.amdhsa_memory_ordered 1
		.amdhsa_forward_progress 1
		.amdhsa_inst_pref_size 13
		.amdhsa_round_robin_scheduling 0
		.amdhsa_exception_fp_ieee_invalid_op 0
		.amdhsa_exception_fp_denorm_src 0
		.amdhsa_exception_fp_ieee_div_zero 0
		.amdhsa_exception_fp_ieee_overflow 0
		.amdhsa_exception_fp_ieee_underflow 0
		.amdhsa_exception_fp_ieee_inexact 0
		.amdhsa_exception_int_div_zero 0
	.end_amdhsa_kernel
	.section	.text._ZL29rocblas_internal_gemmt_kernelIlLi16ELi32ELi8ELc78ELc84ELc76ELb0ELb0EddPKdPdEviT_T9_T10_S3_lS5_S3_lS4_T11_S3_li,"axG",@progbits,_ZL29rocblas_internal_gemmt_kernelIlLi16ELi32ELi8ELc78ELc84ELc76ELb0ELb0EddPKdPdEviT_T9_T10_S3_lS5_S3_lS4_T11_S3_li,comdat
.Lfunc_end208:
	.size	_ZL29rocblas_internal_gemmt_kernelIlLi16ELi32ELi8ELc78ELc84ELc76ELb0ELb0EddPKdPdEviT_T9_T10_S3_lS5_S3_lS4_T11_S3_li, .Lfunc_end208-_ZL29rocblas_internal_gemmt_kernelIlLi16ELi32ELi8ELc78ELc84ELc76ELb0ELb0EddPKdPdEviT_T9_T10_S3_lS5_S3_lS4_T11_S3_li
                                        ; -- End function
	.set _ZL29rocblas_internal_gemmt_kernelIlLi16ELi32ELi8ELc78ELc84ELc76ELb0ELb0EddPKdPdEviT_T9_T10_S3_lS5_S3_lS4_T11_S3_li.num_vgpr, 52
	.set _ZL29rocblas_internal_gemmt_kernelIlLi16ELi32ELi8ELc78ELc84ELc76ELb0ELb0EddPKdPdEviT_T9_T10_S3_lS5_S3_lS4_T11_S3_li.num_agpr, 0
	.set _ZL29rocblas_internal_gemmt_kernelIlLi16ELi32ELi8ELc78ELc84ELc76ELb0ELb0EddPKdPdEviT_T9_T10_S3_lS5_S3_lS4_T11_S3_li.numbered_sgpr, 36
	.set _ZL29rocblas_internal_gemmt_kernelIlLi16ELi32ELi8ELc78ELc84ELc76ELb0ELb0EddPKdPdEviT_T9_T10_S3_lS5_S3_lS4_T11_S3_li.num_named_barrier, 0
	.set _ZL29rocblas_internal_gemmt_kernelIlLi16ELi32ELi8ELc78ELc84ELc76ELb0ELb0EddPKdPdEviT_T9_T10_S3_lS5_S3_lS4_T11_S3_li.private_seg_size, 0
	.set _ZL29rocblas_internal_gemmt_kernelIlLi16ELi32ELi8ELc78ELc84ELc76ELb0ELb0EddPKdPdEviT_T9_T10_S3_lS5_S3_lS4_T11_S3_li.uses_vcc, 1
	.set _ZL29rocblas_internal_gemmt_kernelIlLi16ELi32ELi8ELc78ELc84ELc76ELb0ELb0EddPKdPdEviT_T9_T10_S3_lS5_S3_lS4_T11_S3_li.uses_flat_scratch, 0
	.set _ZL29rocblas_internal_gemmt_kernelIlLi16ELi32ELi8ELc78ELc84ELc76ELb0ELb0EddPKdPdEviT_T9_T10_S3_lS5_S3_lS4_T11_S3_li.has_dyn_sized_stack, 0
	.set _ZL29rocblas_internal_gemmt_kernelIlLi16ELi32ELi8ELc78ELc84ELc76ELb0ELb0EddPKdPdEviT_T9_T10_S3_lS5_S3_lS4_T11_S3_li.has_recursion, 0
	.set _ZL29rocblas_internal_gemmt_kernelIlLi16ELi32ELi8ELc78ELc84ELc76ELb0ELb0EddPKdPdEviT_T9_T10_S3_lS5_S3_lS4_T11_S3_li.has_indirect_call, 0
	.section	.AMDGPU.csdata,"",@progbits
; Kernel info:
; codeLenInByte = 1588
; TotalNumSgprs: 38
; NumVgprs: 52
; ScratchSize: 0
; MemoryBound: 0
; FloatMode: 240
; IeeeMode: 1
; LDSByteSize: 4096 bytes/workgroup (compile time only)
; SGPRBlocks: 0
; VGPRBlocks: 3
; NumSGPRsForWavesPerEU: 38
; NumVGPRsForWavesPerEU: 52
; NamedBarCnt: 0
; Occupancy: 16
; WaveLimiterHint : 0
; COMPUTE_PGM_RSRC2:SCRATCH_EN: 0
; COMPUTE_PGM_RSRC2:USER_SGPR: 2
; COMPUTE_PGM_RSRC2:TRAP_HANDLER: 0
; COMPUTE_PGM_RSRC2:TGID_X_EN: 1
; COMPUTE_PGM_RSRC2:TGID_Y_EN: 1
; COMPUTE_PGM_RSRC2:TGID_Z_EN: 1
; COMPUTE_PGM_RSRC2:TIDIG_COMP_CNT: 1
	.section	.text._ZL29rocblas_internal_gemmt_kernelIlLi16ELi32ELi8ELc78ELc67ELc76ELb0ELb0EddPKdPdEviT_T9_T10_S3_lS5_S3_lS4_T11_S3_li,"axG",@progbits,_ZL29rocblas_internal_gemmt_kernelIlLi16ELi32ELi8ELc78ELc67ELc76ELb0ELb0EddPKdPdEviT_T9_T10_S3_lS5_S3_lS4_T11_S3_li,comdat
	.globl	_ZL29rocblas_internal_gemmt_kernelIlLi16ELi32ELi8ELc78ELc67ELc76ELb0ELb0EddPKdPdEviT_T9_T10_S3_lS5_S3_lS4_T11_S3_li ; -- Begin function _ZL29rocblas_internal_gemmt_kernelIlLi16ELi32ELi8ELc78ELc67ELc76ELb0ELb0EddPKdPdEviT_T9_T10_S3_lS5_S3_lS4_T11_S3_li
	.p2align	8
	.type	_ZL29rocblas_internal_gemmt_kernelIlLi16ELi32ELi8ELc78ELc67ELc76ELb0ELb0EddPKdPdEviT_T9_T10_S3_lS5_S3_lS4_T11_S3_li,@function
_ZL29rocblas_internal_gemmt_kernelIlLi16ELi32ELi8ELc78ELc67ELc76ELb0ELb0EddPKdPdEviT_T9_T10_S3_lS5_S3_lS4_T11_S3_li: ; @_ZL29rocblas_internal_gemmt_kernelIlLi16ELi32ELi8ELc78ELc67ELc76ELb0ELb0EddPKdPdEviT_T9_T10_S3_lS5_S3_lS4_T11_S3_li
; %bb.0:
	s_clause 0x1
	s_load_b256 s[24:31], s[0:1], 0x48
	s_load_b512 s[8:23], s[0:1], 0x8
	s_wait_kmcnt 0x0
	v_cmp_neq_f64_e64 s2, s[24:25], 1.0
	s_and_b32 vcc_lo, exec_lo, s2
	s_cbranch_vccnz .LBB209_2
; %bb.1:
	v_cmp_neq_f64_e64 s2, s[10:11], 0
	s_cmp_lg_u64 s[8:9], 0
	s_cselect_b32 s3, -1, 0
	s_delay_alu instid0(SALU_CYCLE_1)
	s_and_b32 s2, s3, s2
.LBB209_2:
	s_delay_alu instid0(SALU_CYCLE_1)
	s_and_not1_b32 vcc_lo, exec_lo, s2
	s_cbranch_vccnz .LBB209_35
; %bb.3:
	s_load_b32 s33, s[0:1], 0x68
	s_bfe_u32 s2, ttmp6, 0x40014
	s_lshr_b32 s3, ttmp7, 16
	s_add_co_i32 s2, s2, 1
	s_bfe_u32 s5, ttmp6, 0x40008
	s_mul_i32 s4, s3, s2
	s_getreg_b32 s2, hwreg(HW_REG_IB_STS2, 6, 4)
	s_add_co_i32 s5, s5, s4
	s_cmp_eq_u32 s2, 0
	s_mov_b32 s7, 0
	s_cselect_b32 s6, s3, s5
	s_wait_kmcnt 0x0
	s_cmp_ge_u32 s6, s33
	s_cbranch_scc1 .LBB209_35
; %bb.4:
	s_bfe_u32 s3, ttmp6, 0x4000c
	s_bfe_u32 s5, ttmp6, 0x40010
	s_add_co_i32 s3, s3, 1
	s_and_b32 s34, ttmp7, 0xffff
	s_add_co_i32 s5, s5, 1
	s_and_b32 s4, ttmp6, 15
	s_mul_i32 s3, ttmp9, s3
	s_mul_i32 s5, s34, s5
	s_bfe_u32 s35, ttmp6, 0x40004
	s_add_co_i32 s4, s4, s3
	s_add_co_i32 s35, s35, s5
	s_cmp_eq_u32 s2, 0
	v_and_b32_e32 v9, 0x3ff, v0
	v_bfe_u32 v15, v0, 10, 10
	s_cselect_b32 s2, s34, s35
	s_cselect_b32 s3, ttmp9, s4
	s_lshl_b32 s2, s2, 5
	s_load_b32 s4, s[0:1], 0x0
	v_lshl_add_u32 v1, v15, 4, v9
	v_add_nc_u32_e32 v16, s2, v15
	s_wait_xcnt 0x0
	s_lshl_b32 s1, s3, 5
	v_and_b32_e32 v0, 7, v0
	v_cmp_neq_f64_e64 s35, s[10:11], 0
	v_dual_lshrrev_b32 v2, 5, v1 :: v_dual_bitop2_b32 v3, 31, v1 bitop3:0x40
	v_dual_add_nc_u32 v18, 16, v16 :: v_dual_lshrrev_b32 v8, 3, v1
	v_ashrrev_i32_e32 v17, 31, v16
	v_cmp_neq_f64_e64 s34, s[24:25], 0
	s_delay_alu instid0(VALU_DEP_3) | instskip(NEXT) | instid1(VALU_DEP_4)
	v_dual_ashrrev_i32 v19, 31, v18 :: v_dual_bitop2_b32 v10, s1, v3 bitop3:0x54
	v_add_nc_u32_e32 v12, s2, v8
	s_delay_alu instid0(VALU_DEP_4) | instskip(SKIP_1) | instid1(VALU_DEP_4)
	v_mul_u64_e32 v[4:5], s[28:29], v[16:17]
	v_dual_lshlrev_b32 v1, 3, v3 :: v_dual_lshlrev_b32 v3, 3, v0
	v_mul_u64_e32 v[6:7], s[28:29], v[18:19]
	s_delay_alu instid0(VALU_DEP_4) | instskip(SKIP_1) | instid1(VALU_DEP_4)
	v_dual_ashrrev_i32 v11, 31, v10 :: v_dual_ashrrev_i32 v13, 31, v12
	v_lshlrev_b32_e32 v34, 3, v9
	v_lshl_or_b32 v3, v8, 6, v3
	v_add_nc_u32_e32 v8, s1, v9
	v_cmp_gt_i64_e64 s28, s[8:9], 0
	s_wait_kmcnt 0x0
	v_cmp_gt_i32_e64 s0, s4, v10
	v_lshl_add_u64 v[10:11], v[10:11], 3, s[12:13]
	v_cmp_gt_i32_e64 s1, s4, v12
	v_cmp_le_i32_e32 vcc_lo, v16, v8
	v_cmp_gt_i32_e64 s2, s4, v8
	v_dual_add_nc_u32 v14, 16, v8 :: v_dual_ashrrev_i32 v9, 31, v8
	v_lshl_or_b32 v1, v2, 8, v1
	v_add_nc_u32_e32 v3, 0x800, v3
	s_and_b32 s12, vcc_lo, s2
	s_delay_alu instid0(VALU_DEP_3)
	v_cmp_le_i32_e32 vcc_lo, v16, v14
	v_cmp_gt_i32_e64 s3, s4, v14
	v_cmp_le_i32_e64 s4, v18, v8
	v_cmp_le_i32_e64 s5, v18, v14
	v_lshl_add_u64 v[12:13], v[12:13], 3, s[18:19]
	v_lshl_add_u32 v35, v15, 6, 0x800
	v_dual_ashrrev_i32 v15, 31, v14 :: v_dual_mov_b32 v17, 0
	s_and_b32 s13, s35, s28
	s_and_b32 s18, vcc_lo, s3
	s_and_b32 s4, s4, s2
	s_and_b32 s5, s5, s3
	s_branch .LBB209_6
.LBB209_5:                              ;   in Loop: Header=BB209_6 Depth=1
	s_wait_xcnt 0x0
	s_or_b32 exec_lo, exec_lo, s2
	s_add_co_i32 s6, s6, 0x10000
	s_delay_alu instid0(SALU_CYCLE_1)
	s_cmp_lt_u32 s6, s33
	s_cbranch_scc0 .LBB209_35
.LBB209_6:                              ; =>This Loop Header: Depth=1
                                        ;     Child Loop BB209_9 Depth 2
	v_mov_b64_e32 v[24:25], 0
	v_mov_b64_e32 v[22:23], 0
	;; [unrolled: 1-line block ×4, first 2 shown]
	s_and_not1_b32 vcc_lo, exec_lo, s13
	s_cbranch_vccnz .LBB209_15
; %bb.7:                                ;   in Loop: Header=BB209_6 Depth=1
	s_mul_u64 s[2:3], s[22:23], s[6:7]
	s_mul_u64 s[28:29], s[16:17], s[6:7]
	v_mov_b64_e32 v[18:19], 0
	v_mov_b64_e32 v[20:21], 0
	;; [unrolled: 1-line block ×4, first 2 shown]
	v_lshl_add_u64 v[26:27], s[28:29], 3, v[10:11]
	v_lshl_add_u64 v[28:29], s[2:3], 3, v[12:13]
	s_mov_b64 s[2:3], 0
	s_branch .LBB209_9
.LBB209_8:                              ;   in Loop: Header=BB209_9 Depth=2
	s_wait_xcnt 0x0
	s_or_b32 exec_lo, exec_lo, s19
	s_wait_loadcnt 0x0
	ds_store_b64 v3, v[32:33]
	s_wait_dscnt 0x0
	s_barrier_signal -1
	s_barrier_wait -1
	ds_load_b128 v[30:33], v35
	ds_load_2addr_b64 v[36:39], v34 offset1:16
	ds_load_b128 v[40:43], v35 offset:1024
	ds_load_b128 v[44:47], v35 offset:16
	;; [unrolled: 1-line block ×3, first 2 shown]
	s_add_nc_u64 s[2:3], s[2:3], 8
	s_delay_alu instid0(SALU_CYCLE_1)
	v_cmp_gt_i64_e64 s19, s[8:9], s[2:3]
	s_and_b32 vcc_lo, exec_lo, s19
	s_wait_dscnt 0x3
	v_fmac_f64_e32 v[24:25], v[36:37], v[30:31]
	v_fmac_f64_e32 v[22:23], v[38:39], v[30:31]
	s_wait_dscnt 0x2
	v_fmac_f64_e32 v[20:21], v[36:37], v[40:41]
	v_fmac_f64_e32 v[18:19], v[38:39], v[40:41]
	ds_load_2addr_b64 v[36:39], v34 offset0:32 offset1:48
	s_wait_dscnt 0x0
	v_fmac_f64_e32 v[24:25], v[36:37], v[32:33]
	v_fmac_f64_e32 v[22:23], v[38:39], v[32:33]
	v_fmac_f64_e32 v[20:21], v[36:37], v[42:43]
	v_fmac_f64_e32 v[18:19], v[38:39], v[42:43]
	ds_load_2addr_b64 v[30:33], v34 offset0:64 offset1:80
	s_wait_dscnt 0x0
	v_fmac_f64_e32 v[24:25], v[30:31], v[44:45]
	v_fmac_f64_e32 v[22:23], v[32:33], v[44:45]
	;; [unrolled: 6-line block ×3, first 2 shown]
	v_fmac_f64_e32 v[20:21], v[30:31], v[50:51]
	v_fmac_f64_e32 v[18:19], v[32:33], v[50:51]
	ds_load_b128 v[30:33], v35 offset:32
	ds_load_2addr_b64 v[36:39], v34 offset0:128 offset1:144
	ds_load_b128 v[40:43], v35 offset:1056
	ds_load_b128 v[44:47], v35 offset:48
	;; [unrolled: 1-line block ×3, first 2 shown]
	s_wait_dscnt 0x3
	v_fmac_f64_e32 v[24:25], v[36:37], v[30:31]
	v_fmac_f64_e32 v[22:23], v[38:39], v[30:31]
	s_wait_dscnt 0x2
	v_fmac_f64_e32 v[20:21], v[36:37], v[40:41]
	v_fmac_f64_e32 v[18:19], v[38:39], v[40:41]
	ds_load_2addr_b64 v[36:39], v34 offset0:160 offset1:176
	s_wait_dscnt 0x0
	v_fmac_f64_e32 v[24:25], v[36:37], v[32:33]
	v_fmac_f64_e32 v[22:23], v[38:39], v[32:33]
	;; [unrolled: 1-line block ×4, first 2 shown]
	ds_load_2addr_b64 v[30:33], v34 offset0:192 offset1:208
	s_wait_dscnt 0x0
	v_fmac_f64_e32 v[24:25], v[30:31], v[44:45]
	v_fmac_f64_e32 v[22:23], v[32:33], v[44:45]
	;; [unrolled: 1-line block ×4, first 2 shown]
	ds_load_2addr_b64 v[30:33], v34 offset0:224 offset1:240
	s_wait_dscnt 0x0
	s_barrier_signal -1
	s_barrier_wait -1
	v_fmac_f64_e32 v[24:25], v[30:31], v[46:47]
	v_fmac_f64_e32 v[22:23], v[32:33], v[46:47]
	;; [unrolled: 1-line block ×4, first 2 shown]
	s_cbranch_vccz .LBB209_15
.LBB209_9:                              ;   Parent Loop BB209_6 Depth=1
                                        ; =>  This Inner Loop Header: Depth=2
	v_mov_b64_e32 v[30:31], 0
	s_and_saveexec_b32 s19, s0
	s_cbranch_execz .LBB209_13
; %bb.10:                               ;   in Loop: Header=BB209_9 Depth=2
	v_mov_b64_e32 v[30:31], 0
	v_add_nc_u32_e32 v16, s2, v2
	s_mov_b32 s28, exec_lo
	s_delay_alu instid0(VALU_DEP_1)
	v_cmpx_gt_u64_e64 s[8:9], v[16:17]
	s_cbranch_execz .LBB209_12
; %bb.11:                               ;   in Loop: Header=BB209_9 Depth=2
	v_mul_u64_e32 v[30:31], s[14:15], v[16:17]
	s_delay_alu instid0(VALU_DEP_1)
	v_lshl_add_u64 v[30:31], v[30:31], 3, v[26:27]
	global_load_b64 v[30:31], v[30:31], off
.LBB209_12:                             ;   in Loop: Header=BB209_9 Depth=2
	s_wait_xcnt 0x0
	s_or_b32 exec_lo, exec_lo, s28
.LBB209_13:                             ;   in Loop: Header=BB209_9 Depth=2
	s_delay_alu instid0(SALU_CYCLE_1)
	s_or_b32 exec_lo, exec_lo, s19
	v_add_nc_u32_e32 v16, s2, v0
	v_mov_b64_e32 v[32:33], 0
	s_wait_loadcnt 0x0
	ds_store_b64 v1, v[30:31]
	v_cmp_gt_u64_e32 vcc_lo, s[8:9], v[16:17]
	s_and_b32 s28, vcc_lo, s1
	s_delay_alu instid0(SALU_CYCLE_1)
	s_and_saveexec_b32 s19, s28
	s_cbranch_execz .LBB209_8
; %bb.14:                               ;   in Loop: Header=BB209_9 Depth=2
	v_mul_u64_e32 v[30:31], s[20:21], v[16:17]
	s_delay_alu instid0(VALU_DEP_1)
	v_lshl_add_u64 v[30:31], v[30:31], 3, v[28:29]
	global_load_b64 v[32:33], v[30:31], off
	s_branch .LBB209_8
.LBB209_15:                             ;   in Loop: Header=BB209_6 Depth=1
	s_mul_u64 s[2:3], s[30:31], s[6:7]
	s_delay_alu instid0(SALU_CYCLE_1) | instskip(NEXT) | instid1(SALU_CYCLE_1)
	s_lshl_b64 s[2:3], s[2:3], 3
	s_add_nc_u64 s[2:3], s[26:27], s[2:3]
	s_delay_alu instid0(SALU_CYCLE_1)
	v_lshl_add_u64 v[26:27], v[4:5], 3, s[2:3]
	s_and_saveexec_b32 s19, s12
	s_cbranch_execz .LBB209_19
; %bb.16:                               ;   in Loop: Header=BB209_6 Depth=1
	v_mul_f64_e32 v[24:25], s[10:11], v[24:25]
	s_delay_alu instid0(VALU_DEP_2)
	v_lshl_add_u64 v[28:29], v[8:9], 3, v[26:27]
	s_and_b32 vcc_lo, exec_lo, s34
	s_cbranch_vccz .LBB209_30
; %bb.17:                               ;   in Loop: Header=BB209_6 Depth=1
	global_load_b64 v[30:31], v[28:29], off
	s_wait_loadcnt 0x0
	v_fma_f64 v[30:31], s[24:25], v[30:31], v[24:25]
	global_store_b64 v[28:29], v[30:31], off
	s_cbranch_execnz .LBB209_19
.LBB209_18:                             ;   in Loop: Header=BB209_6 Depth=1
	global_store_b64 v[28:29], v[24:25], off
.LBB209_19:                             ;   in Loop: Header=BB209_6 Depth=1
	s_wait_xcnt 0x0
	s_or_b32 exec_lo, exec_lo, s19
	s_and_saveexec_b32 s19, s18
	s_cbranch_execz .LBB209_23
; %bb.20:                               ;   in Loop: Header=BB209_6 Depth=1
	s_delay_alu instid0(VALU_DEP_4)
	v_mul_f64_e32 v[22:23], s[10:11], v[22:23]
	v_lshl_add_u64 v[24:25], v[14:15], 3, v[26:27]
	s_and_not1_b32 vcc_lo, exec_lo, s34
	s_cbranch_vccnz .LBB209_31
; %bb.21:                               ;   in Loop: Header=BB209_6 Depth=1
	global_load_b64 v[26:27], v[24:25], off
	s_wait_loadcnt 0x0
	v_fma_f64 v[26:27], s[24:25], v[26:27], v[22:23]
	global_store_b64 v[24:25], v[26:27], off
	s_cbranch_execnz .LBB209_23
.LBB209_22:                             ;   in Loop: Header=BB209_6 Depth=1
	global_store_b64 v[24:25], v[22:23], off
.LBB209_23:                             ;   in Loop: Header=BB209_6 Depth=1
	s_wait_xcnt 0x0
	s_or_b32 exec_lo, exec_lo, s19
	v_lshl_add_u64 v[22:23], v[6:7], 3, s[2:3]
	s_and_saveexec_b32 s2, s4
	s_cbranch_execz .LBB209_27
; %bb.24:                               ;   in Loop: Header=BB209_6 Depth=1
	s_delay_alu instid0(VALU_DEP_4) | instskip(NEXT) | instid1(VALU_DEP_2)
	v_mul_f64_e32 v[20:21], s[10:11], v[20:21]
	v_lshl_add_u64 v[24:25], v[8:9], 3, v[22:23]
	s_and_not1_b32 vcc_lo, exec_lo, s34
	s_cbranch_vccnz .LBB209_32
; %bb.25:                               ;   in Loop: Header=BB209_6 Depth=1
	global_load_b64 v[26:27], v[24:25], off
	s_wait_loadcnt 0x0
	v_fma_f64 v[26:27], s[24:25], v[26:27], v[20:21]
	global_store_b64 v[24:25], v[26:27], off
	s_cbranch_execnz .LBB209_27
.LBB209_26:                             ;   in Loop: Header=BB209_6 Depth=1
	global_store_b64 v[24:25], v[20:21], off
.LBB209_27:                             ;   in Loop: Header=BB209_6 Depth=1
	s_wait_xcnt 0x0
	s_or_b32 exec_lo, exec_lo, s2
	s_and_saveexec_b32 s2, s5
	s_cbranch_execz .LBB209_5
; %bb.28:                               ;   in Loop: Header=BB209_6 Depth=1
	s_delay_alu instid0(VALU_DEP_3)
	v_mul_f64_e32 v[18:19], s[10:11], v[18:19]
	v_lshl_add_u64 v[20:21], v[14:15], 3, v[22:23]
	s_and_not1_b32 vcc_lo, exec_lo, s34
	s_cbranch_vccnz .LBB209_33
; %bb.29:                               ;   in Loop: Header=BB209_6 Depth=1
	global_load_b64 v[22:23], v[20:21], off
	s_wait_loadcnt 0x0
	v_fma_f64 v[22:23], s[24:25], v[22:23], v[18:19]
	global_store_b64 v[20:21], v[22:23], off
	s_cbranch_execnz .LBB209_5
	s_branch .LBB209_34
.LBB209_30:                             ;   in Loop: Header=BB209_6 Depth=1
	s_branch .LBB209_18
.LBB209_31:                             ;   in Loop: Header=BB209_6 Depth=1
	s_branch .LBB209_22
.LBB209_32:                             ;   in Loop: Header=BB209_6 Depth=1
	s_branch .LBB209_26
.LBB209_33:                             ;   in Loop: Header=BB209_6 Depth=1
.LBB209_34:                             ;   in Loop: Header=BB209_6 Depth=1
	global_store_b64 v[20:21], v[18:19], off
	s_branch .LBB209_5
.LBB209_35:
	s_endpgm
	.section	.rodata,"a",@progbits
	.p2align	6, 0x0
	.amdhsa_kernel _ZL29rocblas_internal_gemmt_kernelIlLi16ELi32ELi8ELc78ELc67ELc76ELb0ELb0EddPKdPdEviT_T9_T10_S3_lS5_S3_lS4_T11_S3_li
		.amdhsa_group_segment_fixed_size 4096
		.amdhsa_private_segment_fixed_size 0
		.amdhsa_kernarg_size 108
		.amdhsa_user_sgpr_count 2
		.amdhsa_user_sgpr_dispatch_ptr 0
		.amdhsa_user_sgpr_queue_ptr 0
		.amdhsa_user_sgpr_kernarg_segment_ptr 1
		.amdhsa_user_sgpr_dispatch_id 0
		.amdhsa_user_sgpr_kernarg_preload_length 0
		.amdhsa_user_sgpr_kernarg_preload_offset 0
		.amdhsa_user_sgpr_private_segment_size 0
		.amdhsa_wavefront_size32 1
		.amdhsa_uses_dynamic_stack 0
		.amdhsa_enable_private_segment 0
		.amdhsa_system_sgpr_workgroup_id_x 1
		.amdhsa_system_sgpr_workgroup_id_y 1
		.amdhsa_system_sgpr_workgroup_id_z 1
		.amdhsa_system_sgpr_workgroup_info 0
		.amdhsa_system_vgpr_workitem_id 1
		.amdhsa_next_free_vgpr 52
		.amdhsa_next_free_sgpr 36
		.amdhsa_named_barrier_count 0
		.amdhsa_reserve_vcc 1
		.amdhsa_float_round_mode_32 0
		.amdhsa_float_round_mode_16_64 0
		.amdhsa_float_denorm_mode_32 3
		.amdhsa_float_denorm_mode_16_64 3
		.amdhsa_fp16_overflow 0
		.amdhsa_memory_ordered 1
		.amdhsa_forward_progress 1
		.amdhsa_inst_pref_size 13
		.amdhsa_round_robin_scheduling 0
		.amdhsa_exception_fp_ieee_invalid_op 0
		.amdhsa_exception_fp_denorm_src 0
		.amdhsa_exception_fp_ieee_div_zero 0
		.amdhsa_exception_fp_ieee_overflow 0
		.amdhsa_exception_fp_ieee_underflow 0
		.amdhsa_exception_fp_ieee_inexact 0
		.amdhsa_exception_int_div_zero 0
	.end_amdhsa_kernel
	.section	.text._ZL29rocblas_internal_gemmt_kernelIlLi16ELi32ELi8ELc78ELc67ELc76ELb0ELb0EddPKdPdEviT_T9_T10_S3_lS5_S3_lS4_T11_S3_li,"axG",@progbits,_ZL29rocblas_internal_gemmt_kernelIlLi16ELi32ELi8ELc78ELc67ELc76ELb0ELb0EddPKdPdEviT_T9_T10_S3_lS5_S3_lS4_T11_S3_li,comdat
.Lfunc_end209:
	.size	_ZL29rocblas_internal_gemmt_kernelIlLi16ELi32ELi8ELc78ELc67ELc76ELb0ELb0EddPKdPdEviT_T9_T10_S3_lS5_S3_lS4_T11_S3_li, .Lfunc_end209-_ZL29rocblas_internal_gemmt_kernelIlLi16ELi32ELi8ELc78ELc67ELc76ELb0ELb0EddPKdPdEviT_T9_T10_S3_lS5_S3_lS4_T11_S3_li
                                        ; -- End function
	.set _ZL29rocblas_internal_gemmt_kernelIlLi16ELi32ELi8ELc78ELc67ELc76ELb0ELb0EddPKdPdEviT_T9_T10_S3_lS5_S3_lS4_T11_S3_li.num_vgpr, 52
	.set _ZL29rocblas_internal_gemmt_kernelIlLi16ELi32ELi8ELc78ELc67ELc76ELb0ELb0EddPKdPdEviT_T9_T10_S3_lS5_S3_lS4_T11_S3_li.num_agpr, 0
	.set _ZL29rocblas_internal_gemmt_kernelIlLi16ELi32ELi8ELc78ELc67ELc76ELb0ELb0EddPKdPdEviT_T9_T10_S3_lS5_S3_lS4_T11_S3_li.numbered_sgpr, 36
	.set _ZL29rocblas_internal_gemmt_kernelIlLi16ELi32ELi8ELc78ELc67ELc76ELb0ELb0EddPKdPdEviT_T9_T10_S3_lS5_S3_lS4_T11_S3_li.num_named_barrier, 0
	.set _ZL29rocblas_internal_gemmt_kernelIlLi16ELi32ELi8ELc78ELc67ELc76ELb0ELb0EddPKdPdEviT_T9_T10_S3_lS5_S3_lS4_T11_S3_li.private_seg_size, 0
	.set _ZL29rocblas_internal_gemmt_kernelIlLi16ELi32ELi8ELc78ELc67ELc76ELb0ELb0EddPKdPdEviT_T9_T10_S3_lS5_S3_lS4_T11_S3_li.uses_vcc, 1
	.set _ZL29rocblas_internal_gemmt_kernelIlLi16ELi32ELi8ELc78ELc67ELc76ELb0ELb0EddPKdPdEviT_T9_T10_S3_lS5_S3_lS4_T11_S3_li.uses_flat_scratch, 0
	.set _ZL29rocblas_internal_gemmt_kernelIlLi16ELi32ELi8ELc78ELc67ELc76ELb0ELb0EddPKdPdEviT_T9_T10_S3_lS5_S3_lS4_T11_S3_li.has_dyn_sized_stack, 0
	.set _ZL29rocblas_internal_gemmt_kernelIlLi16ELi32ELi8ELc78ELc67ELc76ELb0ELb0EddPKdPdEviT_T9_T10_S3_lS5_S3_lS4_T11_S3_li.has_recursion, 0
	.set _ZL29rocblas_internal_gemmt_kernelIlLi16ELi32ELi8ELc78ELc67ELc76ELb0ELb0EddPKdPdEviT_T9_T10_S3_lS5_S3_lS4_T11_S3_li.has_indirect_call, 0
	.section	.AMDGPU.csdata,"",@progbits
; Kernel info:
; codeLenInByte = 1588
; TotalNumSgprs: 38
; NumVgprs: 52
; ScratchSize: 0
; MemoryBound: 0
; FloatMode: 240
; IeeeMode: 1
; LDSByteSize: 4096 bytes/workgroup (compile time only)
; SGPRBlocks: 0
; VGPRBlocks: 3
; NumSGPRsForWavesPerEU: 38
; NumVGPRsForWavesPerEU: 52
; NamedBarCnt: 0
; Occupancy: 16
; WaveLimiterHint : 0
; COMPUTE_PGM_RSRC2:SCRATCH_EN: 0
; COMPUTE_PGM_RSRC2:USER_SGPR: 2
; COMPUTE_PGM_RSRC2:TRAP_HANDLER: 0
; COMPUTE_PGM_RSRC2:TGID_X_EN: 1
; COMPUTE_PGM_RSRC2:TGID_Y_EN: 1
; COMPUTE_PGM_RSRC2:TGID_Z_EN: 1
; COMPUTE_PGM_RSRC2:TIDIG_COMP_CNT: 1
	.section	.text._ZL29rocblas_internal_gemmt_kernelIlLi16ELi32ELi8ELc84ELc78ELc76ELb0ELb0EddPKdPdEviT_T9_T10_S3_lS5_S3_lS4_T11_S3_li,"axG",@progbits,_ZL29rocblas_internal_gemmt_kernelIlLi16ELi32ELi8ELc84ELc78ELc76ELb0ELb0EddPKdPdEviT_T9_T10_S3_lS5_S3_lS4_T11_S3_li,comdat
	.globl	_ZL29rocblas_internal_gemmt_kernelIlLi16ELi32ELi8ELc84ELc78ELc76ELb0ELb0EddPKdPdEviT_T9_T10_S3_lS5_S3_lS4_T11_S3_li ; -- Begin function _ZL29rocblas_internal_gemmt_kernelIlLi16ELi32ELi8ELc84ELc78ELc76ELb0ELb0EddPKdPdEviT_T9_T10_S3_lS5_S3_lS4_T11_S3_li
	.p2align	8
	.type	_ZL29rocblas_internal_gemmt_kernelIlLi16ELi32ELi8ELc84ELc78ELc76ELb0ELb0EddPKdPdEviT_T9_T10_S3_lS5_S3_lS4_T11_S3_li,@function
_ZL29rocblas_internal_gemmt_kernelIlLi16ELi32ELi8ELc84ELc78ELc76ELb0ELb0EddPKdPdEviT_T9_T10_S3_lS5_S3_lS4_T11_S3_li: ; @_ZL29rocblas_internal_gemmt_kernelIlLi16ELi32ELi8ELc84ELc78ELc76ELb0ELb0EddPKdPdEviT_T9_T10_S3_lS5_S3_lS4_T11_S3_li
; %bb.0:
	s_clause 0x1
	s_load_b256 s[24:31], s[0:1], 0x48
	s_load_b512 s[8:23], s[0:1], 0x8
	s_wait_kmcnt 0x0
	v_cmp_neq_f64_e64 s2, s[24:25], 1.0
	s_and_b32 vcc_lo, exec_lo, s2
	s_cbranch_vccnz .LBB210_2
; %bb.1:
	v_cmp_neq_f64_e64 s2, s[10:11], 0
	s_cmp_lg_u64 s[8:9], 0
	s_cselect_b32 s3, -1, 0
	s_delay_alu instid0(SALU_CYCLE_1)
	s_and_b32 s2, s3, s2
.LBB210_2:
	s_delay_alu instid0(SALU_CYCLE_1)
	s_and_not1_b32 vcc_lo, exec_lo, s2
	s_cbranch_vccnz .LBB210_35
; %bb.3:
	s_load_b32 s33, s[0:1], 0x68
	s_bfe_u32 s2, ttmp6, 0x40014
	s_lshr_b32 s3, ttmp7, 16
	s_add_co_i32 s2, s2, 1
	s_bfe_u32 s5, ttmp6, 0x40008
	s_mul_i32 s4, s3, s2
	s_getreg_b32 s2, hwreg(HW_REG_IB_STS2, 6, 4)
	s_add_co_i32 s5, s5, s4
	s_cmp_eq_u32 s2, 0
	s_mov_b32 s7, 0
	s_cselect_b32 s6, s3, s5
	s_wait_kmcnt 0x0
	s_cmp_ge_u32 s6, s33
	s_cbranch_scc1 .LBB210_35
; %bb.4:
	v_and_b32_e32 v6, 0x3ff, v0
	v_bfe_u32 v7, v0, 10, 10
	s_bfe_u32 s4, ttmp6, 0x4000c
	s_bfe_u32 s34, ttmp6, 0x40010
	s_and_b32 s5, ttmp7, 0xffff
	s_add_co_i32 s4, s4, 1
	s_add_co_i32 s34, s34, 1
	v_lshl_add_u32 v8, v7, 4, v6
	s_and_b32 s3, ttmp6, 15
	s_mul_i32 s4, ttmp9, s4
	s_mul_i32 s34, s5, s34
	s_bfe_u32 s35, ttmp6, 0x40004
	s_add_co_i32 s3, s3, s4
	s_add_co_i32 s35, s35, s34
	s_cmp_eq_u32 s2, 0
	v_dual_lshrrev_b32 v10, 3, v8 :: v_dual_bitop2_b32 v11, 31, v8 bitop3:0x40
	s_cselect_b32 s2, ttmp9, s3
	s_cselect_b32 s3, s5, s35
	s_lshl_b32 s2, s2, 5
	s_lshl_b32 s3, s3, 5
	s_delay_alu instid0(SALU_CYCLE_1) | instskip(SKIP_3) | instid1(VALU_DEP_3)
	v_dual_add_nc_u32 v14, s3, v10 :: v_dual_bitop2_b32 v12, s2, v11 bitop3:0x54
	v_add_nc_u32_e32 v16, s3, v7
	s_load_b32 s4, s[0:1], 0x0
	v_dual_lshlrev_b32 v1, 3, v6 :: v_dual_bitop2_b32 v0, 7, v0 bitop3:0x40
	v_dual_ashrrev_i32 v13, 31, v12 :: v_dual_ashrrev_i32 v15, 31, v14
	s_delay_alu instid0(VALU_DEP_3) | instskip(SKIP_1) | instid1(VALU_DEP_3)
	v_dual_add_nc_u32 v22, 16, v16 :: v_dual_add_nc_u32 v6, s2, v6
	v_lshl_add_u32 v9, v7, 6, 0x800
	v_mul_u64_e32 v[18:19], s[14:15], v[12:13]
	s_delay_alu instid0(VALU_DEP_4) | instskip(NEXT) | instid1(VALU_DEP_4)
	v_mul_u64_e32 v[20:21], s[20:21], v[14:15]
	v_dual_ashrrev_i32 v23, 31, v22 :: v_dual_ashrrev_i32 v17, 31, v16
	v_cmp_neq_f64_e64 s20, s[10:11], 0
	v_cmp_neq_f64_e64 s14, s[24:25], 0
	v_lshlrev_b32_e32 v13, 3, v0
	s_delay_alu instid0(VALU_DEP_4)
	v_mul_u64_e32 v[4:5], s[28:29], v[22:23]
	v_mul_u64_e32 v[2:3], s[28:29], v[16:17]
	v_cmp_le_i32_e32 vcc_lo, v16, v6
	v_ashrrev_i32_e32 v7, 31, v6
	v_lshl_or_b32 v13, v10, 6, v13
	v_add_nc_u32_e32 v10, 16, v6
	s_wait_kmcnt 0x0
	v_cmp_gt_i32_e64 s2, s4, v6
	v_dual_lshrrev_b32 v8, 5, v8 :: v_dual_lshlrev_b32 v11, 3, v11
	v_cmp_gt_i64_e64 s21, s[8:9], 0
	v_cmp_gt_i32_e64 s0, s4, v12
	v_cmp_gt_i32_e64 s1, s4, v14
	v_cmp_le_i32_e64 s3, v16, v10
	v_cmp_gt_i32_e64 s4, s4, v10
	s_and_b32 s15, vcc_lo, s2
	v_cmp_le_i32_e32 vcc_lo, v22, v6
	v_cmp_le_i32_e64 s5, v22, v10
	v_lshl_or_b32 v34, v8, 8, v11
	v_add_nc_u32_e32 v35, 0x800, v13
	v_dual_ashrrev_i32 v11, 31, v10 :: v_dual_mov_b32 v17, 0
	v_lshl_add_u64 v[12:13], v[18:19], 3, s[12:13]
	v_lshl_add_u64 v[14:15], v[20:21], 3, s[18:19]
	s_and_b32 s13, s3, s4
	s_and_b32 s18, vcc_lo, s2
	s_and_b32 s12, s20, s21
	s_and_b32 s4, s5, s4
	s_branch .LBB210_6
.LBB210_5:                              ;   in Loop: Header=BB210_6 Depth=1
	s_wait_xcnt 0x0
	s_or_b32 exec_lo, exec_lo, s2
	s_add_co_i32 s6, s6, 0x10000
	s_delay_alu instid0(SALU_CYCLE_1)
	s_cmp_lt_u32 s6, s33
	s_cbranch_scc0 .LBB210_35
.LBB210_6:                              ; =>This Loop Header: Depth=1
                                        ;     Child Loop BB210_9 Depth 2
	v_mov_b64_e32 v[24:25], 0
	v_mov_b64_e32 v[22:23], 0
	;; [unrolled: 1-line block ×4, first 2 shown]
	s_and_not1_b32 vcc_lo, exec_lo, s12
	s_cbranch_vccnz .LBB210_15
; %bb.7:                                ;   in Loop: Header=BB210_6 Depth=1
	s_mul_u64 s[2:3], s[22:23], s[6:7]
	s_mul_u64 s[20:21], s[16:17], s[6:7]
	v_mov_b64_e32 v[18:19], 0
	v_mov_b64_e32 v[20:21], 0
	;; [unrolled: 1-line block ×4, first 2 shown]
	v_lshl_add_u64 v[26:27], s[20:21], 3, v[12:13]
	v_lshl_add_u64 v[28:29], s[2:3], 3, v[14:15]
	s_mov_b64 s[2:3], 0
	s_branch .LBB210_9
.LBB210_8:                              ;   in Loop: Header=BB210_9 Depth=2
	s_wait_xcnt 0x0
	s_or_b32 exec_lo, exec_lo, s5
	s_wait_loadcnt 0x0
	ds_store_b64 v35, v[32:33]
	s_wait_dscnt 0x0
	s_barrier_signal -1
	s_barrier_wait -1
	ds_load_b128 v[30:33], v9
	ds_load_2addr_b64 v[36:39], v1 offset1:16
	ds_load_b128 v[40:43], v9 offset:1024
	ds_load_b128 v[44:47], v9 offset:16
	;; [unrolled: 1-line block ×3, first 2 shown]
	s_add_nc_u64 s[2:3], s[2:3], 8
	s_delay_alu instid0(SALU_CYCLE_1)
	v_cmp_gt_i64_e64 s5, s[8:9], s[2:3]
	s_and_b32 vcc_lo, exec_lo, s5
	s_wait_dscnt 0x3
	v_fmac_f64_e32 v[24:25], v[36:37], v[30:31]
	v_fmac_f64_e32 v[22:23], v[38:39], v[30:31]
	s_wait_dscnt 0x2
	v_fmac_f64_e32 v[20:21], v[36:37], v[40:41]
	v_fmac_f64_e32 v[18:19], v[38:39], v[40:41]
	ds_load_2addr_b64 v[36:39], v1 offset0:32 offset1:48
	s_wait_dscnt 0x0
	v_fmac_f64_e32 v[24:25], v[36:37], v[32:33]
	v_fmac_f64_e32 v[22:23], v[38:39], v[32:33]
	v_fmac_f64_e32 v[20:21], v[36:37], v[42:43]
	v_fmac_f64_e32 v[18:19], v[38:39], v[42:43]
	ds_load_2addr_b64 v[30:33], v1 offset0:64 offset1:80
	s_wait_dscnt 0x0
	v_fmac_f64_e32 v[24:25], v[30:31], v[44:45]
	v_fmac_f64_e32 v[22:23], v[32:33], v[44:45]
	;; [unrolled: 6-line block ×3, first 2 shown]
	v_fmac_f64_e32 v[20:21], v[30:31], v[50:51]
	v_fmac_f64_e32 v[18:19], v[32:33], v[50:51]
	ds_load_b128 v[30:33], v9 offset:32
	ds_load_2addr_b64 v[36:39], v1 offset0:128 offset1:144
	ds_load_b128 v[40:43], v9 offset:1056
	ds_load_b128 v[44:47], v9 offset:48
	;; [unrolled: 1-line block ×3, first 2 shown]
	s_wait_dscnt 0x3
	v_fmac_f64_e32 v[24:25], v[36:37], v[30:31]
	v_fmac_f64_e32 v[22:23], v[38:39], v[30:31]
	s_wait_dscnt 0x2
	v_fmac_f64_e32 v[20:21], v[36:37], v[40:41]
	v_fmac_f64_e32 v[18:19], v[38:39], v[40:41]
	ds_load_2addr_b64 v[36:39], v1 offset0:160 offset1:176
	s_wait_dscnt 0x0
	v_fmac_f64_e32 v[24:25], v[36:37], v[32:33]
	v_fmac_f64_e32 v[22:23], v[38:39], v[32:33]
	;; [unrolled: 1-line block ×4, first 2 shown]
	ds_load_2addr_b64 v[30:33], v1 offset0:192 offset1:208
	s_wait_dscnt 0x0
	v_fmac_f64_e32 v[24:25], v[30:31], v[44:45]
	v_fmac_f64_e32 v[22:23], v[32:33], v[44:45]
	;; [unrolled: 1-line block ×4, first 2 shown]
	ds_load_2addr_b64 v[30:33], v1 offset0:224 offset1:240
	s_wait_dscnt 0x0
	s_barrier_signal -1
	s_barrier_wait -1
	v_fmac_f64_e32 v[24:25], v[30:31], v[46:47]
	v_fmac_f64_e32 v[22:23], v[32:33], v[46:47]
	;; [unrolled: 1-line block ×4, first 2 shown]
	s_cbranch_vccz .LBB210_15
.LBB210_9:                              ;   Parent Loop BB210_6 Depth=1
                                        ; =>  This Inner Loop Header: Depth=2
	v_mov_b64_e32 v[30:31], 0
	s_and_saveexec_b32 s5, s0
	s_cbranch_execz .LBB210_13
; %bb.10:                               ;   in Loop: Header=BB210_9 Depth=2
	v_mov_b64_e32 v[30:31], 0
	v_add_nc_u32_e32 v16, s2, v8
	s_mov_b32 s19, exec_lo
	s_delay_alu instid0(VALU_DEP_1)
	v_cmpx_gt_u64_e64 s[8:9], v[16:17]
	s_cbranch_execz .LBB210_12
; %bb.11:                               ;   in Loop: Header=BB210_9 Depth=2
	v_lshl_add_u64 v[30:31], v[16:17], 3, v[26:27]
	global_load_b64 v[30:31], v[30:31], off
.LBB210_12:                             ;   in Loop: Header=BB210_9 Depth=2
	s_wait_xcnt 0x0
	s_or_b32 exec_lo, exec_lo, s19
.LBB210_13:                             ;   in Loop: Header=BB210_9 Depth=2
	s_delay_alu instid0(SALU_CYCLE_1)
	s_or_b32 exec_lo, exec_lo, s5
	v_add_nc_u32_e32 v16, s2, v0
	v_mov_b64_e32 v[32:33], 0
	s_wait_loadcnt 0x0
	ds_store_b64 v34, v[30:31]
	v_cmp_gt_u64_e32 vcc_lo, s[8:9], v[16:17]
	s_and_b32 s19, vcc_lo, s1
	s_delay_alu instid0(SALU_CYCLE_1)
	s_and_saveexec_b32 s5, s19
	s_cbranch_execz .LBB210_8
; %bb.14:                               ;   in Loop: Header=BB210_9 Depth=2
	v_lshl_add_u64 v[30:31], v[16:17], 3, v[28:29]
	global_load_b64 v[32:33], v[30:31], off
	s_branch .LBB210_8
.LBB210_15:                             ;   in Loop: Header=BB210_6 Depth=1
	s_mul_u64 s[2:3], s[30:31], s[6:7]
	s_delay_alu instid0(SALU_CYCLE_1) | instskip(NEXT) | instid1(SALU_CYCLE_1)
	s_lshl_b64 s[2:3], s[2:3], 3
	s_add_nc_u64 s[2:3], s[26:27], s[2:3]
	s_delay_alu instid0(SALU_CYCLE_1)
	v_lshl_add_u64 v[26:27], v[2:3], 3, s[2:3]
	s_and_saveexec_b32 s5, s15
	s_cbranch_execz .LBB210_19
; %bb.16:                               ;   in Loop: Header=BB210_6 Depth=1
	v_mul_f64_e32 v[24:25], s[10:11], v[24:25]
	s_delay_alu instid0(VALU_DEP_2)
	v_lshl_add_u64 v[28:29], v[6:7], 3, v[26:27]
	s_and_b32 vcc_lo, exec_lo, s14
	s_cbranch_vccz .LBB210_30
; %bb.17:                               ;   in Loop: Header=BB210_6 Depth=1
	global_load_b64 v[30:31], v[28:29], off
	s_wait_loadcnt 0x0
	v_fma_f64 v[30:31], s[24:25], v[30:31], v[24:25]
	global_store_b64 v[28:29], v[30:31], off
	s_cbranch_execnz .LBB210_19
.LBB210_18:                             ;   in Loop: Header=BB210_6 Depth=1
	global_store_b64 v[28:29], v[24:25], off
.LBB210_19:                             ;   in Loop: Header=BB210_6 Depth=1
	s_wait_xcnt 0x0
	s_or_b32 exec_lo, exec_lo, s5
	s_and_saveexec_b32 s5, s13
	s_cbranch_execz .LBB210_23
; %bb.20:                               ;   in Loop: Header=BB210_6 Depth=1
	s_delay_alu instid0(VALU_DEP_4)
	v_mul_f64_e32 v[22:23], s[10:11], v[22:23]
	v_lshl_add_u64 v[24:25], v[10:11], 3, v[26:27]
	s_and_not1_b32 vcc_lo, exec_lo, s14
	s_cbranch_vccnz .LBB210_31
; %bb.21:                               ;   in Loop: Header=BB210_6 Depth=1
	global_load_b64 v[26:27], v[24:25], off
	s_wait_loadcnt 0x0
	v_fma_f64 v[26:27], s[24:25], v[26:27], v[22:23]
	global_store_b64 v[24:25], v[26:27], off
	s_cbranch_execnz .LBB210_23
.LBB210_22:                             ;   in Loop: Header=BB210_6 Depth=1
	global_store_b64 v[24:25], v[22:23], off
.LBB210_23:                             ;   in Loop: Header=BB210_6 Depth=1
	s_wait_xcnt 0x0
	s_or_b32 exec_lo, exec_lo, s5
	v_lshl_add_u64 v[22:23], v[4:5], 3, s[2:3]
	s_and_saveexec_b32 s2, s18
	s_cbranch_execz .LBB210_27
; %bb.24:                               ;   in Loop: Header=BB210_6 Depth=1
	s_delay_alu instid0(VALU_DEP_4) | instskip(NEXT) | instid1(VALU_DEP_2)
	v_mul_f64_e32 v[20:21], s[10:11], v[20:21]
	v_lshl_add_u64 v[24:25], v[6:7], 3, v[22:23]
	s_and_not1_b32 vcc_lo, exec_lo, s14
	s_cbranch_vccnz .LBB210_32
; %bb.25:                               ;   in Loop: Header=BB210_6 Depth=1
	global_load_b64 v[26:27], v[24:25], off
	s_wait_loadcnt 0x0
	v_fma_f64 v[26:27], s[24:25], v[26:27], v[20:21]
	global_store_b64 v[24:25], v[26:27], off
	s_cbranch_execnz .LBB210_27
.LBB210_26:                             ;   in Loop: Header=BB210_6 Depth=1
	global_store_b64 v[24:25], v[20:21], off
.LBB210_27:                             ;   in Loop: Header=BB210_6 Depth=1
	s_wait_xcnt 0x0
	s_or_b32 exec_lo, exec_lo, s2
	s_and_saveexec_b32 s2, s4
	s_cbranch_execz .LBB210_5
; %bb.28:                               ;   in Loop: Header=BB210_6 Depth=1
	s_delay_alu instid0(VALU_DEP_3)
	v_mul_f64_e32 v[18:19], s[10:11], v[18:19]
	v_lshl_add_u64 v[20:21], v[10:11], 3, v[22:23]
	s_and_not1_b32 vcc_lo, exec_lo, s14
	s_cbranch_vccnz .LBB210_33
; %bb.29:                               ;   in Loop: Header=BB210_6 Depth=1
	global_load_b64 v[22:23], v[20:21], off
	s_wait_loadcnt 0x0
	v_fma_f64 v[22:23], s[24:25], v[22:23], v[18:19]
	global_store_b64 v[20:21], v[22:23], off
	s_cbranch_execnz .LBB210_5
	s_branch .LBB210_34
.LBB210_30:                             ;   in Loop: Header=BB210_6 Depth=1
	s_branch .LBB210_18
.LBB210_31:                             ;   in Loop: Header=BB210_6 Depth=1
	s_branch .LBB210_22
.LBB210_32:                             ;   in Loop: Header=BB210_6 Depth=1
	s_branch .LBB210_26
.LBB210_33:                             ;   in Loop: Header=BB210_6 Depth=1
.LBB210_34:                             ;   in Loop: Header=BB210_6 Depth=1
	global_store_b64 v[20:21], v[18:19], off
	s_branch .LBB210_5
.LBB210_35:
	s_endpgm
	.section	.rodata,"a",@progbits
	.p2align	6, 0x0
	.amdhsa_kernel _ZL29rocblas_internal_gemmt_kernelIlLi16ELi32ELi8ELc84ELc78ELc76ELb0ELb0EddPKdPdEviT_T9_T10_S3_lS5_S3_lS4_T11_S3_li
		.amdhsa_group_segment_fixed_size 4096
		.amdhsa_private_segment_fixed_size 0
		.amdhsa_kernarg_size 108
		.amdhsa_user_sgpr_count 2
		.amdhsa_user_sgpr_dispatch_ptr 0
		.amdhsa_user_sgpr_queue_ptr 0
		.amdhsa_user_sgpr_kernarg_segment_ptr 1
		.amdhsa_user_sgpr_dispatch_id 0
		.amdhsa_user_sgpr_kernarg_preload_length 0
		.amdhsa_user_sgpr_kernarg_preload_offset 0
		.amdhsa_user_sgpr_private_segment_size 0
		.amdhsa_wavefront_size32 1
		.amdhsa_uses_dynamic_stack 0
		.amdhsa_enable_private_segment 0
		.amdhsa_system_sgpr_workgroup_id_x 1
		.amdhsa_system_sgpr_workgroup_id_y 1
		.amdhsa_system_sgpr_workgroup_id_z 1
		.amdhsa_system_sgpr_workgroup_info 0
		.amdhsa_system_vgpr_workitem_id 1
		.amdhsa_next_free_vgpr 52
		.amdhsa_next_free_sgpr 36
		.amdhsa_named_barrier_count 0
		.amdhsa_reserve_vcc 1
		.amdhsa_float_round_mode_32 0
		.amdhsa_float_round_mode_16_64 0
		.amdhsa_float_denorm_mode_32 3
		.amdhsa_float_denorm_mode_16_64 3
		.amdhsa_fp16_overflow 0
		.amdhsa_memory_ordered 1
		.amdhsa_forward_progress 1
		.amdhsa_inst_pref_size 13
		.amdhsa_round_robin_scheduling 0
		.amdhsa_exception_fp_ieee_invalid_op 0
		.amdhsa_exception_fp_denorm_src 0
		.amdhsa_exception_fp_ieee_div_zero 0
		.amdhsa_exception_fp_ieee_overflow 0
		.amdhsa_exception_fp_ieee_underflow 0
		.amdhsa_exception_fp_ieee_inexact 0
		.amdhsa_exception_int_div_zero 0
	.end_amdhsa_kernel
	.section	.text._ZL29rocblas_internal_gemmt_kernelIlLi16ELi32ELi8ELc84ELc78ELc76ELb0ELb0EddPKdPdEviT_T9_T10_S3_lS5_S3_lS4_T11_S3_li,"axG",@progbits,_ZL29rocblas_internal_gemmt_kernelIlLi16ELi32ELi8ELc84ELc78ELc76ELb0ELb0EddPKdPdEviT_T9_T10_S3_lS5_S3_lS4_T11_S3_li,comdat
.Lfunc_end210:
	.size	_ZL29rocblas_internal_gemmt_kernelIlLi16ELi32ELi8ELc84ELc78ELc76ELb0ELb0EddPKdPdEviT_T9_T10_S3_lS5_S3_lS4_T11_S3_li, .Lfunc_end210-_ZL29rocblas_internal_gemmt_kernelIlLi16ELi32ELi8ELc84ELc78ELc76ELb0ELb0EddPKdPdEviT_T9_T10_S3_lS5_S3_lS4_T11_S3_li
                                        ; -- End function
	.set _ZL29rocblas_internal_gemmt_kernelIlLi16ELi32ELi8ELc84ELc78ELc76ELb0ELb0EddPKdPdEviT_T9_T10_S3_lS5_S3_lS4_T11_S3_li.num_vgpr, 52
	.set _ZL29rocblas_internal_gemmt_kernelIlLi16ELi32ELi8ELc84ELc78ELc76ELb0ELb0EddPKdPdEviT_T9_T10_S3_lS5_S3_lS4_T11_S3_li.num_agpr, 0
	.set _ZL29rocblas_internal_gemmt_kernelIlLi16ELi32ELi8ELc84ELc78ELc76ELb0ELb0EddPKdPdEviT_T9_T10_S3_lS5_S3_lS4_T11_S3_li.numbered_sgpr, 36
	.set _ZL29rocblas_internal_gemmt_kernelIlLi16ELi32ELi8ELc84ELc78ELc76ELb0ELb0EddPKdPdEviT_T9_T10_S3_lS5_S3_lS4_T11_S3_li.num_named_barrier, 0
	.set _ZL29rocblas_internal_gemmt_kernelIlLi16ELi32ELi8ELc84ELc78ELc76ELb0ELb0EddPKdPdEviT_T9_T10_S3_lS5_S3_lS4_T11_S3_li.private_seg_size, 0
	.set _ZL29rocblas_internal_gemmt_kernelIlLi16ELi32ELi8ELc84ELc78ELc76ELb0ELb0EddPKdPdEviT_T9_T10_S3_lS5_S3_lS4_T11_S3_li.uses_vcc, 1
	.set _ZL29rocblas_internal_gemmt_kernelIlLi16ELi32ELi8ELc84ELc78ELc76ELb0ELb0EddPKdPdEviT_T9_T10_S3_lS5_S3_lS4_T11_S3_li.uses_flat_scratch, 0
	.set _ZL29rocblas_internal_gemmt_kernelIlLi16ELi32ELi8ELc84ELc78ELc76ELb0ELb0EddPKdPdEviT_T9_T10_S3_lS5_S3_lS4_T11_S3_li.has_dyn_sized_stack, 0
	.set _ZL29rocblas_internal_gemmt_kernelIlLi16ELi32ELi8ELc84ELc78ELc76ELb0ELb0EddPKdPdEviT_T9_T10_S3_lS5_S3_lS4_T11_S3_li.has_recursion, 0
	.set _ZL29rocblas_internal_gemmt_kernelIlLi16ELi32ELi8ELc84ELc78ELc76ELb0ELb0EddPKdPdEviT_T9_T10_S3_lS5_S3_lS4_T11_S3_li.has_indirect_call, 0
	.section	.AMDGPU.csdata,"",@progbits
; Kernel info:
; codeLenInByte = 1580
; TotalNumSgprs: 38
; NumVgprs: 52
; ScratchSize: 0
; MemoryBound: 0
; FloatMode: 240
; IeeeMode: 1
; LDSByteSize: 4096 bytes/workgroup (compile time only)
; SGPRBlocks: 0
; VGPRBlocks: 3
; NumSGPRsForWavesPerEU: 38
; NumVGPRsForWavesPerEU: 52
; NamedBarCnt: 0
; Occupancy: 16
; WaveLimiterHint : 0
; COMPUTE_PGM_RSRC2:SCRATCH_EN: 0
; COMPUTE_PGM_RSRC2:USER_SGPR: 2
; COMPUTE_PGM_RSRC2:TRAP_HANDLER: 0
; COMPUTE_PGM_RSRC2:TGID_X_EN: 1
; COMPUTE_PGM_RSRC2:TGID_Y_EN: 1
; COMPUTE_PGM_RSRC2:TGID_Z_EN: 1
; COMPUTE_PGM_RSRC2:TIDIG_COMP_CNT: 1
	.section	.text._ZL29rocblas_internal_gemmt_kernelIlLi16ELi32ELi8ELc84ELc84ELc76ELb0ELb0EddPKdPdEviT_T9_T10_S3_lS5_S3_lS4_T11_S3_li,"axG",@progbits,_ZL29rocblas_internal_gemmt_kernelIlLi16ELi32ELi8ELc84ELc84ELc76ELb0ELb0EddPKdPdEviT_T9_T10_S3_lS5_S3_lS4_T11_S3_li,comdat
	.globl	_ZL29rocblas_internal_gemmt_kernelIlLi16ELi32ELi8ELc84ELc84ELc76ELb0ELb0EddPKdPdEviT_T9_T10_S3_lS5_S3_lS4_T11_S3_li ; -- Begin function _ZL29rocblas_internal_gemmt_kernelIlLi16ELi32ELi8ELc84ELc84ELc76ELb0ELb0EddPKdPdEviT_T9_T10_S3_lS5_S3_lS4_T11_S3_li
	.p2align	8
	.type	_ZL29rocblas_internal_gemmt_kernelIlLi16ELi32ELi8ELc84ELc84ELc76ELb0ELb0EddPKdPdEviT_T9_T10_S3_lS5_S3_lS4_T11_S3_li,@function
_ZL29rocblas_internal_gemmt_kernelIlLi16ELi32ELi8ELc84ELc84ELc76ELb0ELb0EddPKdPdEviT_T9_T10_S3_lS5_S3_lS4_T11_S3_li: ; @_ZL29rocblas_internal_gemmt_kernelIlLi16ELi32ELi8ELc84ELc84ELc76ELb0ELb0EddPKdPdEviT_T9_T10_S3_lS5_S3_lS4_T11_S3_li
; %bb.0:
	s_clause 0x1
	s_load_b256 s[24:31], s[0:1], 0x48
	s_load_b512 s[8:23], s[0:1], 0x8
	s_wait_kmcnt 0x0
	v_cmp_neq_f64_e64 s2, s[24:25], 1.0
	s_and_b32 vcc_lo, exec_lo, s2
	s_cbranch_vccnz .LBB211_2
; %bb.1:
	v_cmp_neq_f64_e64 s2, s[10:11], 0
	s_cmp_lg_u64 s[8:9], 0
	s_cselect_b32 s3, -1, 0
	s_delay_alu instid0(SALU_CYCLE_1)
	s_and_b32 s2, s3, s2
.LBB211_2:
	s_delay_alu instid0(SALU_CYCLE_1)
	s_and_not1_b32 vcc_lo, exec_lo, s2
	s_cbranch_vccnz .LBB211_35
; %bb.3:
	s_load_b32 s33, s[0:1], 0x68
	s_bfe_u32 s2, ttmp6, 0x40014
	s_lshr_b32 s3, ttmp7, 16
	s_add_co_i32 s2, s2, 1
	s_bfe_u32 s5, ttmp6, 0x40008
	s_mul_i32 s4, s3, s2
	s_getreg_b32 s2, hwreg(HW_REG_IB_STS2, 6, 4)
	s_add_co_i32 s5, s5, s4
	s_cmp_eq_u32 s2, 0
	s_mov_b32 s7, 0
	s_cselect_b32 s6, s3, s5
	s_wait_kmcnt 0x0
	s_cmp_ge_u32 s6, s33
	s_cbranch_scc1 .LBB211_35
; %bb.4:
	s_bfe_u32 s3, ttmp6, 0x4000c
	s_bfe_u32 s5, ttmp6, 0x40010
	s_add_co_i32 s3, s3, 1
	s_and_b32 s34, ttmp7, 0xffff
	s_add_co_i32 s5, s5, 1
	v_and_b32_e32 v6, 0x3ff, v0
	v_bfe_u32 v7, v0, 10, 10
	s_and_b32 s4, ttmp6, 15
	s_mul_i32 s3, ttmp9, s3
	s_mul_i32 s5, s34, s5
	s_bfe_u32 s35, ttmp6, 0x40004
	s_add_co_i32 s4, s4, s3
	s_add_co_i32 s35, s35, s5
	s_cmp_eq_u32 s2, 0
	v_lshl_add_u32 v8, v7, 4, v6
	s_cselect_b32 s3, s34, s35
	s_cselect_b32 s2, ttmp9, s4
	s_lshl_b32 s3, s3, 5
	s_lshl_b32 s2, s2, 5
	v_dual_add_nc_u32 v14, s3, v7 :: v_dual_bitop2_b32 v10, 31, v8 bitop3:0x40
	v_and_b32_e32 v0, 7, v0
	v_cmp_neq_f64_e64 s34, s[10:11], 0
	s_load_b32 s4, s[0:1], 0x0
	v_lshlrev_b32_e32 v1, 3, v6
	v_add_nc_u32_e32 v16, 16, v14
	v_or_b32_e32 v12, s2, v10
	v_dual_ashrrev_i32 v15, 31, v14 :: v_dual_lshlrev_b32 v11, 3, v0
	s_delay_alu instid0(VALU_DEP_3) | instskip(NEXT) | instid1(VALU_DEP_3)
	v_dual_add_nc_u32 v6, s2, v6 :: v_dual_ashrrev_i32 v17, 31, v16
	v_ashrrev_i32_e32 v13, 31, v12
	s_delay_alu instid0(VALU_DEP_3) | instskip(SKIP_1) | instid1(VALU_DEP_4)
	v_mul_u64_e32 v[2:3], s[28:29], v[14:15]
	v_lshl_add_u32 v9, v7, 6, 0x800
	v_cmp_le_i32_e32 vcc_lo, v14, v6
	v_mul_u64_e32 v[4:5], s[28:29], v[16:17]
	v_mul_u64_e32 v[18:19], s[14:15], v[12:13]
	v_cmp_neq_f64_e64 s14, s[24:25], 0
	v_dual_lshrrev_b32 v13, 3, v8 :: v_dual_lshrrev_b32 v8, 5, v8
	v_ashrrev_i32_e32 v7, 31, v6
	v_cmp_gt_i64_e64 s35, s[8:9], 0
	s_delay_alu instid0(VALU_DEP_3)
	v_dual_mov_b32 v17, 0 :: v_dual_add_nc_u32 v20, s3, v13
	v_lshlrev_b32_e32 v15, 3, v10
	v_add_nc_u32_e32 v10, 16, v6
	s_wait_kmcnt 0x0
	v_cmp_gt_i32_e64 s2, s4, v6
	v_lshl_or_b32 v11, v13, 6, v11
	v_ashrrev_i32_e32 v21, 31, v20
	v_cmp_gt_i32_e64 s0, s4, v12
	v_cmp_gt_i32_e64 s1, s4, v20
	v_cmp_le_i32_e64 s3, v14, v10
	v_cmp_gt_i32_e64 s4, s4, v10
	s_and_b32 s15, vcc_lo, s2
	v_cmp_le_i32_e32 vcc_lo, v16, v6
	v_cmp_le_i32_e64 s5, v16, v10
	v_lshl_or_b32 v34, v8, 8, v15
	v_add_nc_u32_e32 v35, 0x800, v11
	v_ashrrev_i32_e32 v11, 31, v10
	v_lshl_add_u64 v[12:13], v[20:21], 3, s[18:19]
	s_and_b32 s18, vcc_lo, s2
	v_lshl_add_u64 v[14:15], v[18:19], 3, s[12:13]
	s_and_b32 s12, s34, s35
	s_and_b32 s13, s3, s4
	;; [unrolled: 1-line block ×3, first 2 shown]
	s_branch .LBB211_6
.LBB211_5:                              ;   in Loop: Header=BB211_6 Depth=1
	s_wait_xcnt 0x0
	s_or_b32 exec_lo, exec_lo, s2
	s_add_co_i32 s6, s6, 0x10000
	s_delay_alu instid0(SALU_CYCLE_1)
	s_cmp_lt_u32 s6, s33
	s_cbranch_scc0 .LBB211_35
.LBB211_6:                              ; =>This Loop Header: Depth=1
                                        ;     Child Loop BB211_9 Depth 2
	v_mov_b64_e32 v[24:25], 0
	v_mov_b64_e32 v[22:23], 0
	;; [unrolled: 1-line block ×4, first 2 shown]
	s_and_not1_b32 vcc_lo, exec_lo, s12
	s_cbranch_vccnz .LBB211_15
; %bb.7:                                ;   in Loop: Header=BB211_6 Depth=1
	s_mul_u64 s[2:3], s[22:23], s[6:7]
	s_mul_u64 s[28:29], s[16:17], s[6:7]
	v_mov_b64_e32 v[18:19], 0
	v_mov_b64_e32 v[20:21], 0
	;; [unrolled: 1-line block ×4, first 2 shown]
	v_lshl_add_u64 v[26:27], s[28:29], 3, v[14:15]
	v_lshl_add_u64 v[28:29], s[2:3], 3, v[12:13]
	s_mov_b64 s[2:3], 0
	s_branch .LBB211_9
.LBB211_8:                              ;   in Loop: Header=BB211_9 Depth=2
	s_wait_xcnt 0x0
	s_or_b32 exec_lo, exec_lo, s5
	s_wait_loadcnt 0x0
	ds_store_b64 v35, v[32:33]
	s_wait_dscnt 0x0
	s_barrier_signal -1
	s_barrier_wait -1
	ds_load_b128 v[30:33], v9
	ds_load_2addr_b64 v[36:39], v1 offset1:16
	ds_load_b128 v[40:43], v9 offset:1024
	ds_load_b128 v[44:47], v9 offset:16
	;; [unrolled: 1-line block ×3, first 2 shown]
	s_add_nc_u64 s[2:3], s[2:3], 8
	s_delay_alu instid0(SALU_CYCLE_1)
	v_cmp_gt_i64_e64 s5, s[8:9], s[2:3]
	s_and_b32 vcc_lo, exec_lo, s5
	s_wait_dscnt 0x3
	v_fmac_f64_e32 v[24:25], v[36:37], v[30:31]
	v_fmac_f64_e32 v[22:23], v[38:39], v[30:31]
	s_wait_dscnt 0x2
	v_fmac_f64_e32 v[20:21], v[36:37], v[40:41]
	v_fmac_f64_e32 v[18:19], v[38:39], v[40:41]
	ds_load_2addr_b64 v[36:39], v1 offset0:32 offset1:48
	s_wait_dscnt 0x0
	v_fmac_f64_e32 v[24:25], v[36:37], v[32:33]
	v_fmac_f64_e32 v[22:23], v[38:39], v[32:33]
	v_fmac_f64_e32 v[20:21], v[36:37], v[42:43]
	v_fmac_f64_e32 v[18:19], v[38:39], v[42:43]
	ds_load_2addr_b64 v[30:33], v1 offset0:64 offset1:80
	s_wait_dscnt 0x0
	v_fmac_f64_e32 v[24:25], v[30:31], v[44:45]
	v_fmac_f64_e32 v[22:23], v[32:33], v[44:45]
	;; [unrolled: 6-line block ×3, first 2 shown]
	v_fmac_f64_e32 v[20:21], v[30:31], v[50:51]
	v_fmac_f64_e32 v[18:19], v[32:33], v[50:51]
	ds_load_b128 v[30:33], v9 offset:32
	ds_load_2addr_b64 v[36:39], v1 offset0:128 offset1:144
	ds_load_b128 v[40:43], v9 offset:1056
	ds_load_b128 v[44:47], v9 offset:48
	ds_load_b128 v[48:51], v9 offset:1072
	s_wait_dscnt 0x3
	v_fmac_f64_e32 v[24:25], v[36:37], v[30:31]
	v_fmac_f64_e32 v[22:23], v[38:39], v[30:31]
	s_wait_dscnt 0x2
	v_fmac_f64_e32 v[20:21], v[36:37], v[40:41]
	v_fmac_f64_e32 v[18:19], v[38:39], v[40:41]
	ds_load_2addr_b64 v[36:39], v1 offset0:160 offset1:176
	s_wait_dscnt 0x0
	v_fmac_f64_e32 v[24:25], v[36:37], v[32:33]
	v_fmac_f64_e32 v[22:23], v[38:39], v[32:33]
	v_fmac_f64_e32 v[20:21], v[36:37], v[42:43]
	v_fmac_f64_e32 v[18:19], v[38:39], v[42:43]
	ds_load_2addr_b64 v[30:33], v1 offset0:192 offset1:208
	s_wait_dscnt 0x0
	v_fmac_f64_e32 v[24:25], v[30:31], v[44:45]
	v_fmac_f64_e32 v[22:23], v[32:33], v[44:45]
	;; [unrolled: 1-line block ×4, first 2 shown]
	ds_load_2addr_b64 v[30:33], v1 offset0:224 offset1:240
	s_wait_dscnt 0x0
	s_barrier_signal -1
	s_barrier_wait -1
	v_fmac_f64_e32 v[24:25], v[30:31], v[46:47]
	v_fmac_f64_e32 v[22:23], v[32:33], v[46:47]
	;; [unrolled: 1-line block ×4, first 2 shown]
	s_cbranch_vccz .LBB211_15
.LBB211_9:                              ;   Parent Loop BB211_6 Depth=1
                                        ; =>  This Inner Loop Header: Depth=2
	v_mov_b64_e32 v[30:31], 0
	s_and_saveexec_b32 s5, s0
	s_cbranch_execz .LBB211_13
; %bb.10:                               ;   in Loop: Header=BB211_9 Depth=2
	v_mov_b64_e32 v[30:31], 0
	v_add_nc_u32_e32 v16, s2, v8
	s_mov_b32 s19, exec_lo
	s_delay_alu instid0(VALU_DEP_1)
	v_cmpx_gt_u64_e64 s[8:9], v[16:17]
	s_cbranch_execz .LBB211_12
; %bb.11:                               ;   in Loop: Header=BB211_9 Depth=2
	v_lshl_add_u64 v[30:31], v[16:17], 3, v[26:27]
	global_load_b64 v[30:31], v[30:31], off
.LBB211_12:                             ;   in Loop: Header=BB211_9 Depth=2
	s_wait_xcnt 0x0
	s_or_b32 exec_lo, exec_lo, s19
.LBB211_13:                             ;   in Loop: Header=BB211_9 Depth=2
	s_delay_alu instid0(SALU_CYCLE_1)
	s_or_b32 exec_lo, exec_lo, s5
	v_add_nc_u32_e32 v16, s2, v0
	v_mov_b64_e32 v[32:33], 0
	s_wait_loadcnt 0x0
	ds_store_b64 v34, v[30:31]
	v_cmp_gt_u64_e32 vcc_lo, s[8:9], v[16:17]
	s_and_b32 s19, vcc_lo, s1
	s_delay_alu instid0(SALU_CYCLE_1)
	s_and_saveexec_b32 s5, s19
	s_cbranch_execz .LBB211_8
; %bb.14:                               ;   in Loop: Header=BB211_9 Depth=2
	v_mul_u64_e32 v[30:31], s[20:21], v[16:17]
	s_delay_alu instid0(VALU_DEP_1)
	v_lshl_add_u64 v[30:31], v[30:31], 3, v[28:29]
	global_load_b64 v[32:33], v[30:31], off
	s_branch .LBB211_8
.LBB211_15:                             ;   in Loop: Header=BB211_6 Depth=1
	s_mul_u64 s[2:3], s[30:31], s[6:7]
	s_delay_alu instid0(SALU_CYCLE_1) | instskip(NEXT) | instid1(SALU_CYCLE_1)
	s_lshl_b64 s[2:3], s[2:3], 3
	s_add_nc_u64 s[2:3], s[26:27], s[2:3]
	s_delay_alu instid0(SALU_CYCLE_1)
	v_lshl_add_u64 v[26:27], v[2:3], 3, s[2:3]
	s_and_saveexec_b32 s5, s15
	s_cbranch_execz .LBB211_19
; %bb.16:                               ;   in Loop: Header=BB211_6 Depth=1
	v_mul_f64_e32 v[24:25], s[10:11], v[24:25]
	s_delay_alu instid0(VALU_DEP_2)
	v_lshl_add_u64 v[28:29], v[6:7], 3, v[26:27]
	s_and_b32 vcc_lo, exec_lo, s14
	s_cbranch_vccz .LBB211_30
; %bb.17:                               ;   in Loop: Header=BB211_6 Depth=1
	global_load_b64 v[30:31], v[28:29], off
	s_wait_loadcnt 0x0
	v_fma_f64 v[30:31], s[24:25], v[30:31], v[24:25]
	global_store_b64 v[28:29], v[30:31], off
	s_cbranch_execnz .LBB211_19
.LBB211_18:                             ;   in Loop: Header=BB211_6 Depth=1
	global_store_b64 v[28:29], v[24:25], off
.LBB211_19:                             ;   in Loop: Header=BB211_6 Depth=1
	s_wait_xcnt 0x0
	s_or_b32 exec_lo, exec_lo, s5
	s_and_saveexec_b32 s5, s13
	s_cbranch_execz .LBB211_23
; %bb.20:                               ;   in Loop: Header=BB211_6 Depth=1
	s_delay_alu instid0(VALU_DEP_4)
	v_mul_f64_e32 v[22:23], s[10:11], v[22:23]
	v_lshl_add_u64 v[24:25], v[10:11], 3, v[26:27]
	s_and_not1_b32 vcc_lo, exec_lo, s14
	s_cbranch_vccnz .LBB211_31
; %bb.21:                               ;   in Loop: Header=BB211_6 Depth=1
	global_load_b64 v[26:27], v[24:25], off
	s_wait_loadcnt 0x0
	v_fma_f64 v[26:27], s[24:25], v[26:27], v[22:23]
	global_store_b64 v[24:25], v[26:27], off
	s_cbranch_execnz .LBB211_23
.LBB211_22:                             ;   in Loop: Header=BB211_6 Depth=1
	global_store_b64 v[24:25], v[22:23], off
.LBB211_23:                             ;   in Loop: Header=BB211_6 Depth=1
	s_wait_xcnt 0x0
	s_or_b32 exec_lo, exec_lo, s5
	v_lshl_add_u64 v[22:23], v[4:5], 3, s[2:3]
	s_and_saveexec_b32 s2, s18
	s_cbranch_execz .LBB211_27
; %bb.24:                               ;   in Loop: Header=BB211_6 Depth=1
	s_delay_alu instid0(VALU_DEP_4) | instskip(NEXT) | instid1(VALU_DEP_2)
	v_mul_f64_e32 v[20:21], s[10:11], v[20:21]
	v_lshl_add_u64 v[24:25], v[6:7], 3, v[22:23]
	s_and_not1_b32 vcc_lo, exec_lo, s14
	s_cbranch_vccnz .LBB211_32
; %bb.25:                               ;   in Loop: Header=BB211_6 Depth=1
	global_load_b64 v[26:27], v[24:25], off
	s_wait_loadcnt 0x0
	v_fma_f64 v[26:27], s[24:25], v[26:27], v[20:21]
	global_store_b64 v[24:25], v[26:27], off
	s_cbranch_execnz .LBB211_27
.LBB211_26:                             ;   in Loop: Header=BB211_6 Depth=1
	global_store_b64 v[24:25], v[20:21], off
.LBB211_27:                             ;   in Loop: Header=BB211_6 Depth=1
	s_wait_xcnt 0x0
	s_or_b32 exec_lo, exec_lo, s2
	s_and_saveexec_b32 s2, s4
	s_cbranch_execz .LBB211_5
; %bb.28:                               ;   in Loop: Header=BB211_6 Depth=1
	s_delay_alu instid0(VALU_DEP_3)
	v_mul_f64_e32 v[18:19], s[10:11], v[18:19]
	v_lshl_add_u64 v[20:21], v[10:11], 3, v[22:23]
	s_and_not1_b32 vcc_lo, exec_lo, s14
	s_cbranch_vccnz .LBB211_33
; %bb.29:                               ;   in Loop: Header=BB211_6 Depth=1
	global_load_b64 v[22:23], v[20:21], off
	s_wait_loadcnt 0x0
	v_fma_f64 v[22:23], s[24:25], v[22:23], v[18:19]
	global_store_b64 v[20:21], v[22:23], off
	s_cbranch_execnz .LBB211_5
	s_branch .LBB211_34
.LBB211_30:                             ;   in Loop: Header=BB211_6 Depth=1
	s_branch .LBB211_18
.LBB211_31:                             ;   in Loop: Header=BB211_6 Depth=1
	s_branch .LBB211_22
.LBB211_32:                             ;   in Loop: Header=BB211_6 Depth=1
	s_branch .LBB211_26
.LBB211_33:                             ;   in Loop: Header=BB211_6 Depth=1
.LBB211_34:                             ;   in Loop: Header=BB211_6 Depth=1
	global_store_b64 v[20:21], v[18:19], off
	s_branch .LBB211_5
.LBB211_35:
	s_endpgm
	.section	.rodata,"a",@progbits
	.p2align	6, 0x0
	.amdhsa_kernel _ZL29rocblas_internal_gemmt_kernelIlLi16ELi32ELi8ELc84ELc84ELc76ELb0ELb0EddPKdPdEviT_T9_T10_S3_lS5_S3_lS4_T11_S3_li
		.amdhsa_group_segment_fixed_size 4096
		.amdhsa_private_segment_fixed_size 0
		.amdhsa_kernarg_size 108
		.amdhsa_user_sgpr_count 2
		.amdhsa_user_sgpr_dispatch_ptr 0
		.amdhsa_user_sgpr_queue_ptr 0
		.amdhsa_user_sgpr_kernarg_segment_ptr 1
		.amdhsa_user_sgpr_dispatch_id 0
		.amdhsa_user_sgpr_kernarg_preload_length 0
		.amdhsa_user_sgpr_kernarg_preload_offset 0
		.amdhsa_user_sgpr_private_segment_size 0
		.amdhsa_wavefront_size32 1
		.amdhsa_uses_dynamic_stack 0
		.amdhsa_enable_private_segment 0
		.amdhsa_system_sgpr_workgroup_id_x 1
		.amdhsa_system_sgpr_workgroup_id_y 1
		.amdhsa_system_sgpr_workgroup_id_z 1
		.amdhsa_system_sgpr_workgroup_info 0
		.amdhsa_system_vgpr_workitem_id 1
		.amdhsa_next_free_vgpr 52
		.amdhsa_next_free_sgpr 36
		.amdhsa_named_barrier_count 0
		.amdhsa_reserve_vcc 1
		.amdhsa_float_round_mode_32 0
		.amdhsa_float_round_mode_16_64 0
		.amdhsa_float_denorm_mode_32 3
		.amdhsa_float_denorm_mode_16_64 3
		.amdhsa_fp16_overflow 0
		.amdhsa_memory_ordered 1
		.amdhsa_forward_progress 1
		.amdhsa_inst_pref_size 13
		.amdhsa_round_robin_scheduling 0
		.amdhsa_exception_fp_ieee_invalid_op 0
		.amdhsa_exception_fp_denorm_src 0
		.amdhsa_exception_fp_ieee_div_zero 0
		.amdhsa_exception_fp_ieee_overflow 0
		.amdhsa_exception_fp_ieee_underflow 0
		.amdhsa_exception_fp_ieee_inexact 0
		.amdhsa_exception_int_div_zero 0
	.end_amdhsa_kernel
	.section	.text._ZL29rocblas_internal_gemmt_kernelIlLi16ELi32ELi8ELc84ELc84ELc76ELb0ELb0EddPKdPdEviT_T9_T10_S3_lS5_S3_lS4_T11_S3_li,"axG",@progbits,_ZL29rocblas_internal_gemmt_kernelIlLi16ELi32ELi8ELc84ELc84ELc76ELb0ELb0EddPKdPdEviT_T9_T10_S3_lS5_S3_lS4_T11_S3_li,comdat
.Lfunc_end211:
	.size	_ZL29rocblas_internal_gemmt_kernelIlLi16ELi32ELi8ELc84ELc84ELc76ELb0ELb0EddPKdPdEviT_T9_T10_S3_lS5_S3_lS4_T11_S3_li, .Lfunc_end211-_ZL29rocblas_internal_gemmt_kernelIlLi16ELi32ELi8ELc84ELc84ELc76ELb0ELb0EddPKdPdEviT_T9_T10_S3_lS5_S3_lS4_T11_S3_li
                                        ; -- End function
	.set _ZL29rocblas_internal_gemmt_kernelIlLi16ELi32ELi8ELc84ELc84ELc76ELb0ELb0EddPKdPdEviT_T9_T10_S3_lS5_S3_lS4_T11_S3_li.num_vgpr, 52
	.set _ZL29rocblas_internal_gemmt_kernelIlLi16ELi32ELi8ELc84ELc84ELc76ELb0ELb0EddPKdPdEviT_T9_T10_S3_lS5_S3_lS4_T11_S3_li.num_agpr, 0
	.set _ZL29rocblas_internal_gemmt_kernelIlLi16ELi32ELi8ELc84ELc84ELc76ELb0ELb0EddPKdPdEviT_T9_T10_S3_lS5_S3_lS4_T11_S3_li.numbered_sgpr, 36
	.set _ZL29rocblas_internal_gemmt_kernelIlLi16ELi32ELi8ELc84ELc84ELc76ELb0ELb0EddPKdPdEviT_T9_T10_S3_lS5_S3_lS4_T11_S3_li.num_named_barrier, 0
	.set _ZL29rocblas_internal_gemmt_kernelIlLi16ELi32ELi8ELc84ELc84ELc76ELb0ELb0EddPKdPdEviT_T9_T10_S3_lS5_S3_lS4_T11_S3_li.private_seg_size, 0
	.set _ZL29rocblas_internal_gemmt_kernelIlLi16ELi32ELi8ELc84ELc84ELc76ELb0ELb0EddPKdPdEviT_T9_T10_S3_lS5_S3_lS4_T11_S3_li.uses_vcc, 1
	.set _ZL29rocblas_internal_gemmt_kernelIlLi16ELi32ELi8ELc84ELc84ELc76ELb0ELb0EddPKdPdEviT_T9_T10_S3_lS5_S3_lS4_T11_S3_li.uses_flat_scratch, 0
	.set _ZL29rocblas_internal_gemmt_kernelIlLi16ELi32ELi8ELc84ELc84ELc76ELb0ELb0EddPKdPdEviT_T9_T10_S3_lS5_S3_lS4_T11_S3_li.has_dyn_sized_stack, 0
	.set _ZL29rocblas_internal_gemmt_kernelIlLi16ELi32ELi8ELc84ELc84ELc76ELb0ELb0EddPKdPdEviT_T9_T10_S3_lS5_S3_lS4_T11_S3_li.has_recursion, 0
	.set _ZL29rocblas_internal_gemmt_kernelIlLi16ELi32ELi8ELc84ELc84ELc76ELb0ELb0EddPKdPdEviT_T9_T10_S3_lS5_S3_lS4_T11_S3_li.has_indirect_call, 0
	.section	.AMDGPU.csdata,"",@progbits
; Kernel info:
; codeLenInByte = 1564
; TotalNumSgprs: 38
; NumVgprs: 52
; ScratchSize: 0
; MemoryBound: 0
; FloatMode: 240
; IeeeMode: 1
; LDSByteSize: 4096 bytes/workgroup (compile time only)
; SGPRBlocks: 0
; VGPRBlocks: 3
; NumSGPRsForWavesPerEU: 38
; NumVGPRsForWavesPerEU: 52
; NamedBarCnt: 0
; Occupancy: 16
; WaveLimiterHint : 0
; COMPUTE_PGM_RSRC2:SCRATCH_EN: 0
; COMPUTE_PGM_RSRC2:USER_SGPR: 2
; COMPUTE_PGM_RSRC2:TRAP_HANDLER: 0
; COMPUTE_PGM_RSRC2:TGID_X_EN: 1
; COMPUTE_PGM_RSRC2:TGID_Y_EN: 1
; COMPUTE_PGM_RSRC2:TGID_Z_EN: 1
; COMPUTE_PGM_RSRC2:TIDIG_COMP_CNT: 1
	.section	.text._ZL29rocblas_internal_gemmt_kernelIlLi16ELi32ELi8ELc84ELc67ELc76ELb0ELb0EddPKdPdEviT_T9_T10_S3_lS5_S3_lS4_T11_S3_li,"axG",@progbits,_ZL29rocblas_internal_gemmt_kernelIlLi16ELi32ELi8ELc84ELc67ELc76ELb0ELb0EddPKdPdEviT_T9_T10_S3_lS5_S3_lS4_T11_S3_li,comdat
	.globl	_ZL29rocblas_internal_gemmt_kernelIlLi16ELi32ELi8ELc84ELc67ELc76ELb0ELb0EddPKdPdEviT_T9_T10_S3_lS5_S3_lS4_T11_S3_li ; -- Begin function _ZL29rocblas_internal_gemmt_kernelIlLi16ELi32ELi8ELc84ELc67ELc76ELb0ELb0EddPKdPdEviT_T9_T10_S3_lS5_S3_lS4_T11_S3_li
	.p2align	8
	.type	_ZL29rocblas_internal_gemmt_kernelIlLi16ELi32ELi8ELc84ELc67ELc76ELb0ELb0EddPKdPdEviT_T9_T10_S3_lS5_S3_lS4_T11_S3_li,@function
_ZL29rocblas_internal_gemmt_kernelIlLi16ELi32ELi8ELc84ELc67ELc76ELb0ELb0EddPKdPdEviT_T9_T10_S3_lS5_S3_lS4_T11_S3_li: ; @_ZL29rocblas_internal_gemmt_kernelIlLi16ELi32ELi8ELc84ELc67ELc76ELb0ELb0EddPKdPdEviT_T9_T10_S3_lS5_S3_lS4_T11_S3_li
; %bb.0:
	s_clause 0x1
	s_load_b256 s[24:31], s[0:1], 0x48
	s_load_b512 s[8:23], s[0:1], 0x8
	s_wait_kmcnt 0x0
	v_cmp_neq_f64_e64 s2, s[24:25], 1.0
	s_and_b32 vcc_lo, exec_lo, s2
	s_cbranch_vccnz .LBB212_2
; %bb.1:
	v_cmp_neq_f64_e64 s2, s[10:11], 0
	s_cmp_lg_u64 s[8:9], 0
	s_cselect_b32 s3, -1, 0
	s_delay_alu instid0(SALU_CYCLE_1)
	s_and_b32 s2, s3, s2
.LBB212_2:
	s_delay_alu instid0(SALU_CYCLE_1)
	s_and_not1_b32 vcc_lo, exec_lo, s2
	s_cbranch_vccnz .LBB212_35
; %bb.3:
	s_load_b32 s33, s[0:1], 0x68
	s_bfe_u32 s2, ttmp6, 0x40014
	s_lshr_b32 s3, ttmp7, 16
	s_add_co_i32 s2, s2, 1
	s_bfe_u32 s5, ttmp6, 0x40008
	s_mul_i32 s4, s3, s2
	s_getreg_b32 s2, hwreg(HW_REG_IB_STS2, 6, 4)
	s_add_co_i32 s5, s5, s4
	s_cmp_eq_u32 s2, 0
	s_mov_b32 s7, 0
	s_cselect_b32 s6, s3, s5
	s_wait_kmcnt 0x0
	s_cmp_ge_u32 s6, s33
	s_cbranch_scc1 .LBB212_35
; %bb.4:
	s_bfe_u32 s3, ttmp6, 0x4000c
	s_bfe_u32 s5, ttmp6, 0x40010
	s_add_co_i32 s3, s3, 1
	s_and_b32 s34, ttmp7, 0xffff
	s_add_co_i32 s5, s5, 1
	v_and_b32_e32 v6, 0x3ff, v0
	v_bfe_u32 v7, v0, 10, 10
	s_and_b32 s4, ttmp6, 15
	s_mul_i32 s3, ttmp9, s3
	s_mul_i32 s5, s34, s5
	s_bfe_u32 s35, ttmp6, 0x40004
	s_add_co_i32 s4, s4, s3
	s_add_co_i32 s35, s35, s5
	s_cmp_eq_u32 s2, 0
	v_lshl_add_u32 v8, v7, 4, v6
	s_cselect_b32 s3, s34, s35
	s_cselect_b32 s2, ttmp9, s4
	s_lshl_b32 s3, s3, 5
	s_lshl_b32 s2, s2, 5
	v_dual_add_nc_u32 v14, s3, v7 :: v_dual_bitop2_b32 v10, 31, v8 bitop3:0x40
	v_and_b32_e32 v0, 7, v0
	v_cmp_neq_f64_e64 s34, s[10:11], 0
	s_load_b32 s4, s[0:1], 0x0
	v_lshlrev_b32_e32 v1, 3, v6
	v_add_nc_u32_e32 v16, 16, v14
	v_or_b32_e32 v12, s2, v10
	v_dual_ashrrev_i32 v15, 31, v14 :: v_dual_lshlrev_b32 v11, 3, v0
	s_delay_alu instid0(VALU_DEP_3) | instskip(NEXT) | instid1(VALU_DEP_3)
	v_dual_add_nc_u32 v6, s2, v6 :: v_dual_ashrrev_i32 v17, 31, v16
	v_ashrrev_i32_e32 v13, 31, v12
	s_delay_alu instid0(VALU_DEP_3) | instskip(SKIP_1) | instid1(VALU_DEP_4)
	v_mul_u64_e32 v[2:3], s[28:29], v[14:15]
	v_lshl_add_u32 v9, v7, 6, 0x800
	v_cmp_le_i32_e32 vcc_lo, v14, v6
	v_mul_u64_e32 v[4:5], s[28:29], v[16:17]
	v_mul_u64_e32 v[18:19], s[14:15], v[12:13]
	v_cmp_neq_f64_e64 s14, s[24:25], 0
	v_dual_lshrrev_b32 v13, 3, v8 :: v_dual_lshrrev_b32 v8, 5, v8
	v_ashrrev_i32_e32 v7, 31, v6
	v_cmp_gt_i64_e64 s35, s[8:9], 0
	s_delay_alu instid0(VALU_DEP_3)
	v_dual_mov_b32 v17, 0 :: v_dual_add_nc_u32 v20, s3, v13
	v_lshlrev_b32_e32 v15, 3, v10
	v_add_nc_u32_e32 v10, 16, v6
	s_wait_kmcnt 0x0
	v_cmp_gt_i32_e64 s2, s4, v6
	v_lshl_or_b32 v11, v13, 6, v11
	v_ashrrev_i32_e32 v21, 31, v20
	v_cmp_gt_i32_e64 s0, s4, v12
	v_cmp_gt_i32_e64 s1, s4, v20
	v_cmp_le_i32_e64 s3, v14, v10
	v_cmp_gt_i32_e64 s4, s4, v10
	s_and_b32 s15, vcc_lo, s2
	v_cmp_le_i32_e32 vcc_lo, v16, v6
	v_cmp_le_i32_e64 s5, v16, v10
	v_lshl_or_b32 v34, v8, 8, v15
	v_add_nc_u32_e32 v35, 0x800, v11
	v_ashrrev_i32_e32 v11, 31, v10
	v_lshl_add_u64 v[12:13], v[20:21], 3, s[18:19]
	s_and_b32 s18, vcc_lo, s2
	v_lshl_add_u64 v[14:15], v[18:19], 3, s[12:13]
	s_and_b32 s12, s34, s35
	s_and_b32 s13, s3, s4
	;; [unrolled: 1-line block ×3, first 2 shown]
	s_branch .LBB212_6
.LBB212_5:                              ;   in Loop: Header=BB212_6 Depth=1
	s_wait_xcnt 0x0
	s_or_b32 exec_lo, exec_lo, s2
	s_add_co_i32 s6, s6, 0x10000
	s_delay_alu instid0(SALU_CYCLE_1)
	s_cmp_lt_u32 s6, s33
	s_cbranch_scc0 .LBB212_35
.LBB212_6:                              ; =>This Loop Header: Depth=1
                                        ;     Child Loop BB212_9 Depth 2
	v_mov_b64_e32 v[24:25], 0
	v_mov_b64_e32 v[22:23], 0
	;; [unrolled: 1-line block ×4, first 2 shown]
	s_and_not1_b32 vcc_lo, exec_lo, s12
	s_cbranch_vccnz .LBB212_15
; %bb.7:                                ;   in Loop: Header=BB212_6 Depth=1
	s_mul_u64 s[2:3], s[22:23], s[6:7]
	s_mul_u64 s[28:29], s[16:17], s[6:7]
	v_mov_b64_e32 v[18:19], 0
	v_mov_b64_e32 v[20:21], 0
	;; [unrolled: 1-line block ×4, first 2 shown]
	v_lshl_add_u64 v[26:27], s[28:29], 3, v[14:15]
	v_lshl_add_u64 v[28:29], s[2:3], 3, v[12:13]
	s_mov_b64 s[2:3], 0
	s_branch .LBB212_9
.LBB212_8:                              ;   in Loop: Header=BB212_9 Depth=2
	s_wait_xcnt 0x0
	s_or_b32 exec_lo, exec_lo, s5
	s_wait_loadcnt 0x0
	ds_store_b64 v35, v[32:33]
	s_wait_dscnt 0x0
	s_barrier_signal -1
	s_barrier_wait -1
	ds_load_b128 v[30:33], v9
	ds_load_2addr_b64 v[36:39], v1 offset1:16
	ds_load_b128 v[40:43], v9 offset:1024
	ds_load_b128 v[44:47], v9 offset:16
	ds_load_b128 v[48:51], v9 offset:1040
	s_add_nc_u64 s[2:3], s[2:3], 8
	s_delay_alu instid0(SALU_CYCLE_1)
	v_cmp_gt_i64_e64 s5, s[8:9], s[2:3]
	s_and_b32 vcc_lo, exec_lo, s5
	s_wait_dscnt 0x3
	v_fmac_f64_e32 v[24:25], v[36:37], v[30:31]
	v_fmac_f64_e32 v[22:23], v[38:39], v[30:31]
	s_wait_dscnt 0x2
	v_fmac_f64_e32 v[20:21], v[36:37], v[40:41]
	v_fmac_f64_e32 v[18:19], v[38:39], v[40:41]
	ds_load_2addr_b64 v[36:39], v1 offset0:32 offset1:48
	s_wait_dscnt 0x0
	v_fmac_f64_e32 v[24:25], v[36:37], v[32:33]
	v_fmac_f64_e32 v[22:23], v[38:39], v[32:33]
	v_fmac_f64_e32 v[20:21], v[36:37], v[42:43]
	v_fmac_f64_e32 v[18:19], v[38:39], v[42:43]
	ds_load_2addr_b64 v[30:33], v1 offset0:64 offset1:80
	s_wait_dscnt 0x0
	v_fmac_f64_e32 v[24:25], v[30:31], v[44:45]
	v_fmac_f64_e32 v[22:23], v[32:33], v[44:45]
	;; [unrolled: 6-line block ×3, first 2 shown]
	v_fmac_f64_e32 v[20:21], v[30:31], v[50:51]
	v_fmac_f64_e32 v[18:19], v[32:33], v[50:51]
	ds_load_b128 v[30:33], v9 offset:32
	ds_load_2addr_b64 v[36:39], v1 offset0:128 offset1:144
	ds_load_b128 v[40:43], v9 offset:1056
	ds_load_b128 v[44:47], v9 offset:48
	;; [unrolled: 1-line block ×3, first 2 shown]
	s_wait_dscnt 0x3
	v_fmac_f64_e32 v[24:25], v[36:37], v[30:31]
	v_fmac_f64_e32 v[22:23], v[38:39], v[30:31]
	s_wait_dscnt 0x2
	v_fmac_f64_e32 v[20:21], v[36:37], v[40:41]
	v_fmac_f64_e32 v[18:19], v[38:39], v[40:41]
	ds_load_2addr_b64 v[36:39], v1 offset0:160 offset1:176
	s_wait_dscnt 0x0
	v_fmac_f64_e32 v[24:25], v[36:37], v[32:33]
	v_fmac_f64_e32 v[22:23], v[38:39], v[32:33]
	;; [unrolled: 1-line block ×4, first 2 shown]
	ds_load_2addr_b64 v[30:33], v1 offset0:192 offset1:208
	s_wait_dscnt 0x0
	v_fmac_f64_e32 v[24:25], v[30:31], v[44:45]
	v_fmac_f64_e32 v[22:23], v[32:33], v[44:45]
	v_fmac_f64_e32 v[20:21], v[30:31], v[48:49]
	v_fmac_f64_e32 v[18:19], v[32:33], v[48:49]
	ds_load_2addr_b64 v[30:33], v1 offset0:224 offset1:240
	s_wait_dscnt 0x0
	s_barrier_signal -1
	s_barrier_wait -1
	v_fmac_f64_e32 v[24:25], v[30:31], v[46:47]
	v_fmac_f64_e32 v[22:23], v[32:33], v[46:47]
	;; [unrolled: 1-line block ×4, first 2 shown]
	s_cbranch_vccz .LBB212_15
.LBB212_9:                              ;   Parent Loop BB212_6 Depth=1
                                        ; =>  This Inner Loop Header: Depth=2
	v_mov_b64_e32 v[30:31], 0
	s_and_saveexec_b32 s5, s0
	s_cbranch_execz .LBB212_13
; %bb.10:                               ;   in Loop: Header=BB212_9 Depth=2
	v_mov_b64_e32 v[30:31], 0
	v_add_nc_u32_e32 v16, s2, v8
	s_mov_b32 s19, exec_lo
	s_delay_alu instid0(VALU_DEP_1)
	v_cmpx_gt_u64_e64 s[8:9], v[16:17]
	s_cbranch_execz .LBB212_12
; %bb.11:                               ;   in Loop: Header=BB212_9 Depth=2
	v_lshl_add_u64 v[30:31], v[16:17], 3, v[26:27]
	global_load_b64 v[30:31], v[30:31], off
.LBB212_12:                             ;   in Loop: Header=BB212_9 Depth=2
	s_wait_xcnt 0x0
	s_or_b32 exec_lo, exec_lo, s19
.LBB212_13:                             ;   in Loop: Header=BB212_9 Depth=2
	s_delay_alu instid0(SALU_CYCLE_1)
	s_or_b32 exec_lo, exec_lo, s5
	v_add_nc_u32_e32 v16, s2, v0
	v_mov_b64_e32 v[32:33], 0
	s_wait_loadcnt 0x0
	ds_store_b64 v34, v[30:31]
	v_cmp_gt_u64_e32 vcc_lo, s[8:9], v[16:17]
	s_and_b32 s19, vcc_lo, s1
	s_delay_alu instid0(SALU_CYCLE_1)
	s_and_saveexec_b32 s5, s19
	s_cbranch_execz .LBB212_8
; %bb.14:                               ;   in Loop: Header=BB212_9 Depth=2
	v_mul_u64_e32 v[30:31], s[20:21], v[16:17]
	s_delay_alu instid0(VALU_DEP_1)
	v_lshl_add_u64 v[30:31], v[30:31], 3, v[28:29]
	global_load_b64 v[32:33], v[30:31], off
	s_branch .LBB212_8
.LBB212_15:                             ;   in Loop: Header=BB212_6 Depth=1
	s_mul_u64 s[2:3], s[30:31], s[6:7]
	s_delay_alu instid0(SALU_CYCLE_1) | instskip(NEXT) | instid1(SALU_CYCLE_1)
	s_lshl_b64 s[2:3], s[2:3], 3
	s_add_nc_u64 s[2:3], s[26:27], s[2:3]
	s_delay_alu instid0(SALU_CYCLE_1)
	v_lshl_add_u64 v[26:27], v[2:3], 3, s[2:3]
	s_and_saveexec_b32 s5, s15
	s_cbranch_execz .LBB212_19
; %bb.16:                               ;   in Loop: Header=BB212_6 Depth=1
	v_mul_f64_e32 v[24:25], s[10:11], v[24:25]
	s_delay_alu instid0(VALU_DEP_2)
	v_lshl_add_u64 v[28:29], v[6:7], 3, v[26:27]
	s_and_b32 vcc_lo, exec_lo, s14
	s_cbranch_vccz .LBB212_30
; %bb.17:                               ;   in Loop: Header=BB212_6 Depth=1
	global_load_b64 v[30:31], v[28:29], off
	s_wait_loadcnt 0x0
	v_fma_f64 v[30:31], s[24:25], v[30:31], v[24:25]
	global_store_b64 v[28:29], v[30:31], off
	s_cbranch_execnz .LBB212_19
.LBB212_18:                             ;   in Loop: Header=BB212_6 Depth=1
	global_store_b64 v[28:29], v[24:25], off
.LBB212_19:                             ;   in Loop: Header=BB212_6 Depth=1
	s_wait_xcnt 0x0
	s_or_b32 exec_lo, exec_lo, s5
	s_and_saveexec_b32 s5, s13
	s_cbranch_execz .LBB212_23
; %bb.20:                               ;   in Loop: Header=BB212_6 Depth=1
	s_delay_alu instid0(VALU_DEP_4)
	v_mul_f64_e32 v[22:23], s[10:11], v[22:23]
	v_lshl_add_u64 v[24:25], v[10:11], 3, v[26:27]
	s_and_not1_b32 vcc_lo, exec_lo, s14
	s_cbranch_vccnz .LBB212_31
; %bb.21:                               ;   in Loop: Header=BB212_6 Depth=1
	global_load_b64 v[26:27], v[24:25], off
	s_wait_loadcnt 0x0
	v_fma_f64 v[26:27], s[24:25], v[26:27], v[22:23]
	global_store_b64 v[24:25], v[26:27], off
	s_cbranch_execnz .LBB212_23
.LBB212_22:                             ;   in Loop: Header=BB212_6 Depth=1
	global_store_b64 v[24:25], v[22:23], off
.LBB212_23:                             ;   in Loop: Header=BB212_6 Depth=1
	s_wait_xcnt 0x0
	s_or_b32 exec_lo, exec_lo, s5
	v_lshl_add_u64 v[22:23], v[4:5], 3, s[2:3]
	s_and_saveexec_b32 s2, s18
	s_cbranch_execz .LBB212_27
; %bb.24:                               ;   in Loop: Header=BB212_6 Depth=1
	s_delay_alu instid0(VALU_DEP_4) | instskip(NEXT) | instid1(VALU_DEP_2)
	v_mul_f64_e32 v[20:21], s[10:11], v[20:21]
	v_lshl_add_u64 v[24:25], v[6:7], 3, v[22:23]
	s_and_not1_b32 vcc_lo, exec_lo, s14
	s_cbranch_vccnz .LBB212_32
; %bb.25:                               ;   in Loop: Header=BB212_6 Depth=1
	global_load_b64 v[26:27], v[24:25], off
	s_wait_loadcnt 0x0
	v_fma_f64 v[26:27], s[24:25], v[26:27], v[20:21]
	global_store_b64 v[24:25], v[26:27], off
	s_cbranch_execnz .LBB212_27
.LBB212_26:                             ;   in Loop: Header=BB212_6 Depth=1
	global_store_b64 v[24:25], v[20:21], off
.LBB212_27:                             ;   in Loop: Header=BB212_6 Depth=1
	s_wait_xcnt 0x0
	s_or_b32 exec_lo, exec_lo, s2
	s_and_saveexec_b32 s2, s4
	s_cbranch_execz .LBB212_5
; %bb.28:                               ;   in Loop: Header=BB212_6 Depth=1
	s_delay_alu instid0(VALU_DEP_3)
	v_mul_f64_e32 v[18:19], s[10:11], v[18:19]
	v_lshl_add_u64 v[20:21], v[10:11], 3, v[22:23]
	s_and_not1_b32 vcc_lo, exec_lo, s14
	s_cbranch_vccnz .LBB212_33
; %bb.29:                               ;   in Loop: Header=BB212_6 Depth=1
	global_load_b64 v[22:23], v[20:21], off
	s_wait_loadcnt 0x0
	v_fma_f64 v[22:23], s[24:25], v[22:23], v[18:19]
	global_store_b64 v[20:21], v[22:23], off
	s_cbranch_execnz .LBB212_5
	s_branch .LBB212_34
.LBB212_30:                             ;   in Loop: Header=BB212_6 Depth=1
	s_branch .LBB212_18
.LBB212_31:                             ;   in Loop: Header=BB212_6 Depth=1
	s_branch .LBB212_22
.LBB212_32:                             ;   in Loop: Header=BB212_6 Depth=1
	s_branch .LBB212_26
.LBB212_33:                             ;   in Loop: Header=BB212_6 Depth=1
.LBB212_34:                             ;   in Loop: Header=BB212_6 Depth=1
	global_store_b64 v[20:21], v[18:19], off
	s_branch .LBB212_5
.LBB212_35:
	s_endpgm
	.section	.rodata,"a",@progbits
	.p2align	6, 0x0
	.amdhsa_kernel _ZL29rocblas_internal_gemmt_kernelIlLi16ELi32ELi8ELc84ELc67ELc76ELb0ELb0EddPKdPdEviT_T9_T10_S3_lS5_S3_lS4_T11_S3_li
		.amdhsa_group_segment_fixed_size 4096
		.amdhsa_private_segment_fixed_size 0
		.amdhsa_kernarg_size 108
		.amdhsa_user_sgpr_count 2
		.amdhsa_user_sgpr_dispatch_ptr 0
		.amdhsa_user_sgpr_queue_ptr 0
		.amdhsa_user_sgpr_kernarg_segment_ptr 1
		.amdhsa_user_sgpr_dispatch_id 0
		.amdhsa_user_sgpr_kernarg_preload_length 0
		.amdhsa_user_sgpr_kernarg_preload_offset 0
		.amdhsa_user_sgpr_private_segment_size 0
		.amdhsa_wavefront_size32 1
		.amdhsa_uses_dynamic_stack 0
		.amdhsa_enable_private_segment 0
		.amdhsa_system_sgpr_workgroup_id_x 1
		.amdhsa_system_sgpr_workgroup_id_y 1
		.amdhsa_system_sgpr_workgroup_id_z 1
		.amdhsa_system_sgpr_workgroup_info 0
		.amdhsa_system_vgpr_workitem_id 1
		.amdhsa_next_free_vgpr 52
		.amdhsa_next_free_sgpr 36
		.amdhsa_named_barrier_count 0
		.amdhsa_reserve_vcc 1
		.amdhsa_float_round_mode_32 0
		.amdhsa_float_round_mode_16_64 0
		.amdhsa_float_denorm_mode_32 3
		.amdhsa_float_denorm_mode_16_64 3
		.amdhsa_fp16_overflow 0
		.amdhsa_memory_ordered 1
		.amdhsa_forward_progress 1
		.amdhsa_inst_pref_size 13
		.amdhsa_round_robin_scheduling 0
		.amdhsa_exception_fp_ieee_invalid_op 0
		.amdhsa_exception_fp_denorm_src 0
		.amdhsa_exception_fp_ieee_div_zero 0
		.amdhsa_exception_fp_ieee_overflow 0
		.amdhsa_exception_fp_ieee_underflow 0
		.amdhsa_exception_fp_ieee_inexact 0
		.amdhsa_exception_int_div_zero 0
	.end_amdhsa_kernel
	.section	.text._ZL29rocblas_internal_gemmt_kernelIlLi16ELi32ELi8ELc84ELc67ELc76ELb0ELb0EddPKdPdEviT_T9_T10_S3_lS5_S3_lS4_T11_S3_li,"axG",@progbits,_ZL29rocblas_internal_gemmt_kernelIlLi16ELi32ELi8ELc84ELc67ELc76ELb0ELb0EddPKdPdEviT_T9_T10_S3_lS5_S3_lS4_T11_S3_li,comdat
.Lfunc_end212:
	.size	_ZL29rocblas_internal_gemmt_kernelIlLi16ELi32ELi8ELc84ELc67ELc76ELb0ELb0EddPKdPdEviT_T9_T10_S3_lS5_S3_lS4_T11_S3_li, .Lfunc_end212-_ZL29rocblas_internal_gemmt_kernelIlLi16ELi32ELi8ELc84ELc67ELc76ELb0ELb0EddPKdPdEviT_T9_T10_S3_lS5_S3_lS4_T11_S3_li
                                        ; -- End function
	.set _ZL29rocblas_internal_gemmt_kernelIlLi16ELi32ELi8ELc84ELc67ELc76ELb0ELb0EddPKdPdEviT_T9_T10_S3_lS5_S3_lS4_T11_S3_li.num_vgpr, 52
	.set _ZL29rocblas_internal_gemmt_kernelIlLi16ELi32ELi8ELc84ELc67ELc76ELb0ELb0EddPKdPdEviT_T9_T10_S3_lS5_S3_lS4_T11_S3_li.num_agpr, 0
	.set _ZL29rocblas_internal_gemmt_kernelIlLi16ELi32ELi8ELc84ELc67ELc76ELb0ELb0EddPKdPdEviT_T9_T10_S3_lS5_S3_lS4_T11_S3_li.numbered_sgpr, 36
	.set _ZL29rocblas_internal_gemmt_kernelIlLi16ELi32ELi8ELc84ELc67ELc76ELb0ELb0EddPKdPdEviT_T9_T10_S3_lS5_S3_lS4_T11_S3_li.num_named_barrier, 0
	.set _ZL29rocblas_internal_gemmt_kernelIlLi16ELi32ELi8ELc84ELc67ELc76ELb0ELb0EddPKdPdEviT_T9_T10_S3_lS5_S3_lS4_T11_S3_li.private_seg_size, 0
	.set _ZL29rocblas_internal_gemmt_kernelIlLi16ELi32ELi8ELc84ELc67ELc76ELb0ELb0EddPKdPdEviT_T9_T10_S3_lS5_S3_lS4_T11_S3_li.uses_vcc, 1
	.set _ZL29rocblas_internal_gemmt_kernelIlLi16ELi32ELi8ELc84ELc67ELc76ELb0ELb0EddPKdPdEviT_T9_T10_S3_lS5_S3_lS4_T11_S3_li.uses_flat_scratch, 0
	.set _ZL29rocblas_internal_gemmt_kernelIlLi16ELi32ELi8ELc84ELc67ELc76ELb0ELb0EddPKdPdEviT_T9_T10_S3_lS5_S3_lS4_T11_S3_li.has_dyn_sized_stack, 0
	.set _ZL29rocblas_internal_gemmt_kernelIlLi16ELi32ELi8ELc84ELc67ELc76ELb0ELb0EddPKdPdEviT_T9_T10_S3_lS5_S3_lS4_T11_S3_li.has_recursion, 0
	.set _ZL29rocblas_internal_gemmt_kernelIlLi16ELi32ELi8ELc84ELc67ELc76ELb0ELb0EddPKdPdEviT_T9_T10_S3_lS5_S3_lS4_T11_S3_li.has_indirect_call, 0
	.section	.AMDGPU.csdata,"",@progbits
; Kernel info:
; codeLenInByte = 1564
; TotalNumSgprs: 38
; NumVgprs: 52
; ScratchSize: 0
; MemoryBound: 0
; FloatMode: 240
; IeeeMode: 1
; LDSByteSize: 4096 bytes/workgroup (compile time only)
; SGPRBlocks: 0
; VGPRBlocks: 3
; NumSGPRsForWavesPerEU: 38
; NumVGPRsForWavesPerEU: 52
; NamedBarCnt: 0
; Occupancy: 16
; WaveLimiterHint : 0
; COMPUTE_PGM_RSRC2:SCRATCH_EN: 0
; COMPUTE_PGM_RSRC2:USER_SGPR: 2
; COMPUTE_PGM_RSRC2:TRAP_HANDLER: 0
; COMPUTE_PGM_RSRC2:TGID_X_EN: 1
; COMPUTE_PGM_RSRC2:TGID_Y_EN: 1
; COMPUTE_PGM_RSRC2:TGID_Z_EN: 1
; COMPUTE_PGM_RSRC2:TIDIG_COMP_CNT: 1
	.section	.text._ZL29rocblas_internal_gemmt_kernelIlLi16ELi32ELi8ELc67ELc78ELc76ELb0ELb0EddPKdPdEviT_T9_T10_S3_lS5_S3_lS4_T11_S3_li,"axG",@progbits,_ZL29rocblas_internal_gemmt_kernelIlLi16ELi32ELi8ELc67ELc78ELc76ELb0ELb0EddPKdPdEviT_T9_T10_S3_lS5_S3_lS4_T11_S3_li,comdat
	.globl	_ZL29rocblas_internal_gemmt_kernelIlLi16ELi32ELi8ELc67ELc78ELc76ELb0ELb0EddPKdPdEviT_T9_T10_S3_lS5_S3_lS4_T11_S3_li ; -- Begin function _ZL29rocblas_internal_gemmt_kernelIlLi16ELi32ELi8ELc67ELc78ELc76ELb0ELb0EddPKdPdEviT_T9_T10_S3_lS5_S3_lS4_T11_S3_li
	.p2align	8
	.type	_ZL29rocblas_internal_gemmt_kernelIlLi16ELi32ELi8ELc67ELc78ELc76ELb0ELb0EddPKdPdEviT_T9_T10_S3_lS5_S3_lS4_T11_S3_li,@function
_ZL29rocblas_internal_gemmt_kernelIlLi16ELi32ELi8ELc67ELc78ELc76ELb0ELb0EddPKdPdEviT_T9_T10_S3_lS5_S3_lS4_T11_S3_li: ; @_ZL29rocblas_internal_gemmt_kernelIlLi16ELi32ELi8ELc67ELc78ELc76ELb0ELb0EddPKdPdEviT_T9_T10_S3_lS5_S3_lS4_T11_S3_li
; %bb.0:
	s_clause 0x1
	s_load_b256 s[24:31], s[0:1], 0x48
	s_load_b512 s[8:23], s[0:1], 0x8
	s_wait_kmcnt 0x0
	v_cmp_neq_f64_e64 s2, s[24:25], 1.0
	s_and_b32 vcc_lo, exec_lo, s2
	s_cbranch_vccnz .LBB213_2
; %bb.1:
	v_cmp_neq_f64_e64 s2, s[10:11], 0
	s_cmp_lg_u64 s[8:9], 0
	s_cselect_b32 s3, -1, 0
	s_delay_alu instid0(SALU_CYCLE_1)
	s_and_b32 s2, s3, s2
.LBB213_2:
	s_delay_alu instid0(SALU_CYCLE_1)
	s_and_not1_b32 vcc_lo, exec_lo, s2
	s_cbranch_vccnz .LBB213_35
; %bb.3:
	s_load_b32 s33, s[0:1], 0x68
	s_bfe_u32 s2, ttmp6, 0x40014
	s_lshr_b32 s3, ttmp7, 16
	s_add_co_i32 s2, s2, 1
	s_bfe_u32 s5, ttmp6, 0x40008
	s_mul_i32 s4, s3, s2
	s_getreg_b32 s2, hwreg(HW_REG_IB_STS2, 6, 4)
	s_add_co_i32 s5, s5, s4
	s_cmp_eq_u32 s2, 0
	s_mov_b32 s7, 0
	s_cselect_b32 s6, s3, s5
	s_wait_kmcnt 0x0
	s_cmp_ge_u32 s6, s33
	s_cbranch_scc1 .LBB213_35
; %bb.4:
	v_and_b32_e32 v6, 0x3ff, v0
	v_bfe_u32 v7, v0, 10, 10
	s_bfe_u32 s4, ttmp6, 0x4000c
	s_bfe_u32 s34, ttmp6, 0x40010
	s_and_b32 s5, ttmp7, 0xffff
	s_add_co_i32 s4, s4, 1
	s_add_co_i32 s34, s34, 1
	v_lshl_add_u32 v8, v7, 4, v6
	s_and_b32 s3, ttmp6, 15
	s_mul_i32 s4, ttmp9, s4
	s_mul_i32 s34, s5, s34
	s_bfe_u32 s35, ttmp6, 0x40004
	s_add_co_i32 s3, s3, s4
	s_add_co_i32 s35, s35, s34
	s_cmp_eq_u32 s2, 0
	v_dual_lshrrev_b32 v10, 3, v8 :: v_dual_bitop2_b32 v11, 31, v8 bitop3:0x40
	s_cselect_b32 s2, ttmp9, s3
	s_cselect_b32 s3, s5, s35
	s_lshl_b32 s2, s2, 5
	s_lshl_b32 s3, s3, 5
	s_delay_alu instid0(SALU_CYCLE_1) | instskip(SKIP_3) | instid1(VALU_DEP_3)
	v_dual_add_nc_u32 v14, s3, v10 :: v_dual_bitop2_b32 v12, s2, v11 bitop3:0x54
	v_add_nc_u32_e32 v16, s3, v7
	s_load_b32 s4, s[0:1], 0x0
	v_dual_lshlrev_b32 v1, 3, v6 :: v_dual_bitop2_b32 v0, 7, v0 bitop3:0x40
	v_dual_ashrrev_i32 v13, 31, v12 :: v_dual_ashrrev_i32 v15, 31, v14
	s_delay_alu instid0(VALU_DEP_3) | instskip(SKIP_1) | instid1(VALU_DEP_3)
	v_dual_add_nc_u32 v22, 16, v16 :: v_dual_add_nc_u32 v6, s2, v6
	v_lshl_add_u32 v9, v7, 6, 0x800
	v_mul_u64_e32 v[18:19], s[14:15], v[12:13]
	s_delay_alu instid0(VALU_DEP_4) | instskip(NEXT) | instid1(VALU_DEP_4)
	v_mul_u64_e32 v[20:21], s[20:21], v[14:15]
	v_dual_ashrrev_i32 v23, 31, v22 :: v_dual_ashrrev_i32 v17, 31, v16
	v_cmp_neq_f64_e64 s20, s[10:11], 0
	v_cmp_neq_f64_e64 s14, s[24:25], 0
	v_lshlrev_b32_e32 v13, 3, v0
	s_delay_alu instid0(VALU_DEP_4)
	v_mul_u64_e32 v[4:5], s[28:29], v[22:23]
	v_mul_u64_e32 v[2:3], s[28:29], v[16:17]
	v_cmp_le_i32_e32 vcc_lo, v16, v6
	v_ashrrev_i32_e32 v7, 31, v6
	v_lshl_or_b32 v13, v10, 6, v13
	v_add_nc_u32_e32 v10, 16, v6
	s_wait_kmcnt 0x0
	v_cmp_gt_i32_e64 s2, s4, v6
	v_dual_lshrrev_b32 v8, 5, v8 :: v_dual_lshlrev_b32 v11, 3, v11
	v_cmp_gt_i64_e64 s21, s[8:9], 0
	v_cmp_gt_i32_e64 s0, s4, v12
	v_cmp_gt_i32_e64 s1, s4, v14
	v_cmp_le_i32_e64 s3, v16, v10
	v_cmp_gt_i32_e64 s4, s4, v10
	s_and_b32 s15, vcc_lo, s2
	v_cmp_le_i32_e32 vcc_lo, v22, v6
	v_cmp_le_i32_e64 s5, v22, v10
	v_lshl_or_b32 v34, v8, 8, v11
	v_add_nc_u32_e32 v35, 0x800, v13
	v_dual_ashrrev_i32 v11, 31, v10 :: v_dual_mov_b32 v17, 0
	v_lshl_add_u64 v[12:13], v[18:19], 3, s[12:13]
	v_lshl_add_u64 v[14:15], v[20:21], 3, s[18:19]
	s_and_b32 s13, s3, s4
	s_and_b32 s18, vcc_lo, s2
	s_and_b32 s12, s20, s21
	s_and_b32 s4, s5, s4
	s_branch .LBB213_6
.LBB213_5:                              ;   in Loop: Header=BB213_6 Depth=1
	s_wait_xcnt 0x0
	s_or_b32 exec_lo, exec_lo, s2
	s_add_co_i32 s6, s6, 0x10000
	s_delay_alu instid0(SALU_CYCLE_1)
	s_cmp_lt_u32 s6, s33
	s_cbranch_scc0 .LBB213_35
.LBB213_6:                              ; =>This Loop Header: Depth=1
                                        ;     Child Loop BB213_9 Depth 2
	v_mov_b64_e32 v[24:25], 0
	v_mov_b64_e32 v[22:23], 0
	;; [unrolled: 1-line block ×4, first 2 shown]
	s_and_not1_b32 vcc_lo, exec_lo, s12
	s_cbranch_vccnz .LBB213_15
; %bb.7:                                ;   in Loop: Header=BB213_6 Depth=1
	s_mul_u64 s[2:3], s[22:23], s[6:7]
	s_mul_u64 s[20:21], s[16:17], s[6:7]
	v_mov_b64_e32 v[18:19], 0
	v_mov_b64_e32 v[20:21], 0
	;; [unrolled: 1-line block ×4, first 2 shown]
	v_lshl_add_u64 v[26:27], s[20:21], 3, v[12:13]
	v_lshl_add_u64 v[28:29], s[2:3], 3, v[14:15]
	s_mov_b64 s[2:3], 0
	s_branch .LBB213_9
.LBB213_8:                              ;   in Loop: Header=BB213_9 Depth=2
	s_wait_xcnt 0x0
	s_or_b32 exec_lo, exec_lo, s5
	s_wait_loadcnt 0x0
	ds_store_b64 v35, v[32:33]
	s_wait_dscnt 0x0
	s_barrier_signal -1
	s_barrier_wait -1
	ds_load_b128 v[30:33], v9
	ds_load_2addr_b64 v[36:39], v1 offset1:16
	ds_load_b128 v[40:43], v9 offset:1024
	ds_load_b128 v[44:47], v9 offset:16
	;; [unrolled: 1-line block ×3, first 2 shown]
	s_add_nc_u64 s[2:3], s[2:3], 8
	s_delay_alu instid0(SALU_CYCLE_1)
	v_cmp_gt_i64_e64 s5, s[8:9], s[2:3]
	s_and_b32 vcc_lo, exec_lo, s5
	s_wait_dscnt 0x3
	v_fmac_f64_e32 v[24:25], v[36:37], v[30:31]
	v_fmac_f64_e32 v[22:23], v[38:39], v[30:31]
	s_wait_dscnt 0x2
	v_fmac_f64_e32 v[20:21], v[36:37], v[40:41]
	v_fmac_f64_e32 v[18:19], v[38:39], v[40:41]
	ds_load_2addr_b64 v[36:39], v1 offset0:32 offset1:48
	s_wait_dscnt 0x0
	v_fmac_f64_e32 v[24:25], v[36:37], v[32:33]
	v_fmac_f64_e32 v[22:23], v[38:39], v[32:33]
	v_fmac_f64_e32 v[20:21], v[36:37], v[42:43]
	v_fmac_f64_e32 v[18:19], v[38:39], v[42:43]
	ds_load_2addr_b64 v[30:33], v1 offset0:64 offset1:80
	s_wait_dscnt 0x0
	v_fmac_f64_e32 v[24:25], v[30:31], v[44:45]
	v_fmac_f64_e32 v[22:23], v[32:33], v[44:45]
	;; [unrolled: 6-line block ×3, first 2 shown]
	v_fmac_f64_e32 v[20:21], v[30:31], v[50:51]
	v_fmac_f64_e32 v[18:19], v[32:33], v[50:51]
	ds_load_b128 v[30:33], v9 offset:32
	ds_load_2addr_b64 v[36:39], v1 offset0:128 offset1:144
	ds_load_b128 v[40:43], v9 offset:1056
	ds_load_b128 v[44:47], v9 offset:48
	;; [unrolled: 1-line block ×3, first 2 shown]
	s_wait_dscnt 0x3
	v_fmac_f64_e32 v[24:25], v[36:37], v[30:31]
	v_fmac_f64_e32 v[22:23], v[38:39], v[30:31]
	s_wait_dscnt 0x2
	v_fmac_f64_e32 v[20:21], v[36:37], v[40:41]
	v_fmac_f64_e32 v[18:19], v[38:39], v[40:41]
	ds_load_2addr_b64 v[36:39], v1 offset0:160 offset1:176
	s_wait_dscnt 0x0
	v_fmac_f64_e32 v[24:25], v[36:37], v[32:33]
	v_fmac_f64_e32 v[22:23], v[38:39], v[32:33]
	;; [unrolled: 1-line block ×4, first 2 shown]
	ds_load_2addr_b64 v[30:33], v1 offset0:192 offset1:208
	s_wait_dscnt 0x0
	v_fmac_f64_e32 v[24:25], v[30:31], v[44:45]
	v_fmac_f64_e32 v[22:23], v[32:33], v[44:45]
	;; [unrolled: 1-line block ×4, first 2 shown]
	ds_load_2addr_b64 v[30:33], v1 offset0:224 offset1:240
	s_wait_dscnt 0x0
	s_barrier_signal -1
	s_barrier_wait -1
	v_fmac_f64_e32 v[24:25], v[30:31], v[46:47]
	v_fmac_f64_e32 v[22:23], v[32:33], v[46:47]
	;; [unrolled: 1-line block ×4, first 2 shown]
	s_cbranch_vccz .LBB213_15
.LBB213_9:                              ;   Parent Loop BB213_6 Depth=1
                                        ; =>  This Inner Loop Header: Depth=2
	v_mov_b64_e32 v[30:31], 0
	s_and_saveexec_b32 s5, s0
	s_cbranch_execz .LBB213_13
; %bb.10:                               ;   in Loop: Header=BB213_9 Depth=2
	v_mov_b64_e32 v[30:31], 0
	v_add_nc_u32_e32 v16, s2, v8
	s_mov_b32 s19, exec_lo
	s_delay_alu instid0(VALU_DEP_1)
	v_cmpx_gt_u64_e64 s[8:9], v[16:17]
	s_cbranch_execz .LBB213_12
; %bb.11:                               ;   in Loop: Header=BB213_9 Depth=2
	v_lshl_add_u64 v[30:31], v[16:17], 3, v[26:27]
	global_load_b64 v[30:31], v[30:31], off
.LBB213_12:                             ;   in Loop: Header=BB213_9 Depth=2
	s_wait_xcnt 0x0
	s_or_b32 exec_lo, exec_lo, s19
.LBB213_13:                             ;   in Loop: Header=BB213_9 Depth=2
	s_delay_alu instid0(SALU_CYCLE_1)
	s_or_b32 exec_lo, exec_lo, s5
	v_add_nc_u32_e32 v16, s2, v0
	v_mov_b64_e32 v[32:33], 0
	s_wait_loadcnt 0x0
	ds_store_b64 v34, v[30:31]
	v_cmp_gt_u64_e32 vcc_lo, s[8:9], v[16:17]
	s_and_b32 s19, vcc_lo, s1
	s_delay_alu instid0(SALU_CYCLE_1)
	s_and_saveexec_b32 s5, s19
	s_cbranch_execz .LBB213_8
; %bb.14:                               ;   in Loop: Header=BB213_9 Depth=2
	v_lshl_add_u64 v[30:31], v[16:17], 3, v[28:29]
	global_load_b64 v[32:33], v[30:31], off
	s_branch .LBB213_8
.LBB213_15:                             ;   in Loop: Header=BB213_6 Depth=1
	s_mul_u64 s[2:3], s[30:31], s[6:7]
	s_delay_alu instid0(SALU_CYCLE_1) | instskip(NEXT) | instid1(SALU_CYCLE_1)
	s_lshl_b64 s[2:3], s[2:3], 3
	s_add_nc_u64 s[2:3], s[26:27], s[2:3]
	s_delay_alu instid0(SALU_CYCLE_1)
	v_lshl_add_u64 v[26:27], v[2:3], 3, s[2:3]
	s_and_saveexec_b32 s5, s15
	s_cbranch_execz .LBB213_19
; %bb.16:                               ;   in Loop: Header=BB213_6 Depth=1
	v_mul_f64_e32 v[24:25], s[10:11], v[24:25]
	s_delay_alu instid0(VALU_DEP_2)
	v_lshl_add_u64 v[28:29], v[6:7], 3, v[26:27]
	s_and_b32 vcc_lo, exec_lo, s14
	s_cbranch_vccz .LBB213_30
; %bb.17:                               ;   in Loop: Header=BB213_6 Depth=1
	global_load_b64 v[30:31], v[28:29], off
	s_wait_loadcnt 0x0
	v_fma_f64 v[30:31], s[24:25], v[30:31], v[24:25]
	global_store_b64 v[28:29], v[30:31], off
	s_cbranch_execnz .LBB213_19
.LBB213_18:                             ;   in Loop: Header=BB213_6 Depth=1
	global_store_b64 v[28:29], v[24:25], off
.LBB213_19:                             ;   in Loop: Header=BB213_6 Depth=1
	s_wait_xcnt 0x0
	s_or_b32 exec_lo, exec_lo, s5
	s_and_saveexec_b32 s5, s13
	s_cbranch_execz .LBB213_23
; %bb.20:                               ;   in Loop: Header=BB213_6 Depth=1
	s_delay_alu instid0(VALU_DEP_4)
	v_mul_f64_e32 v[22:23], s[10:11], v[22:23]
	v_lshl_add_u64 v[24:25], v[10:11], 3, v[26:27]
	s_and_not1_b32 vcc_lo, exec_lo, s14
	s_cbranch_vccnz .LBB213_31
; %bb.21:                               ;   in Loop: Header=BB213_6 Depth=1
	global_load_b64 v[26:27], v[24:25], off
	s_wait_loadcnt 0x0
	v_fma_f64 v[26:27], s[24:25], v[26:27], v[22:23]
	global_store_b64 v[24:25], v[26:27], off
	s_cbranch_execnz .LBB213_23
.LBB213_22:                             ;   in Loop: Header=BB213_6 Depth=1
	global_store_b64 v[24:25], v[22:23], off
.LBB213_23:                             ;   in Loop: Header=BB213_6 Depth=1
	s_wait_xcnt 0x0
	s_or_b32 exec_lo, exec_lo, s5
	v_lshl_add_u64 v[22:23], v[4:5], 3, s[2:3]
	s_and_saveexec_b32 s2, s18
	s_cbranch_execz .LBB213_27
; %bb.24:                               ;   in Loop: Header=BB213_6 Depth=1
	s_delay_alu instid0(VALU_DEP_4) | instskip(NEXT) | instid1(VALU_DEP_2)
	v_mul_f64_e32 v[20:21], s[10:11], v[20:21]
	v_lshl_add_u64 v[24:25], v[6:7], 3, v[22:23]
	s_and_not1_b32 vcc_lo, exec_lo, s14
	s_cbranch_vccnz .LBB213_32
; %bb.25:                               ;   in Loop: Header=BB213_6 Depth=1
	global_load_b64 v[26:27], v[24:25], off
	s_wait_loadcnt 0x0
	v_fma_f64 v[26:27], s[24:25], v[26:27], v[20:21]
	global_store_b64 v[24:25], v[26:27], off
	s_cbranch_execnz .LBB213_27
.LBB213_26:                             ;   in Loop: Header=BB213_6 Depth=1
	global_store_b64 v[24:25], v[20:21], off
.LBB213_27:                             ;   in Loop: Header=BB213_6 Depth=1
	s_wait_xcnt 0x0
	s_or_b32 exec_lo, exec_lo, s2
	s_and_saveexec_b32 s2, s4
	s_cbranch_execz .LBB213_5
; %bb.28:                               ;   in Loop: Header=BB213_6 Depth=1
	s_delay_alu instid0(VALU_DEP_3)
	v_mul_f64_e32 v[18:19], s[10:11], v[18:19]
	v_lshl_add_u64 v[20:21], v[10:11], 3, v[22:23]
	s_and_not1_b32 vcc_lo, exec_lo, s14
	s_cbranch_vccnz .LBB213_33
; %bb.29:                               ;   in Loop: Header=BB213_6 Depth=1
	global_load_b64 v[22:23], v[20:21], off
	s_wait_loadcnt 0x0
	v_fma_f64 v[22:23], s[24:25], v[22:23], v[18:19]
	global_store_b64 v[20:21], v[22:23], off
	s_cbranch_execnz .LBB213_5
	s_branch .LBB213_34
.LBB213_30:                             ;   in Loop: Header=BB213_6 Depth=1
	s_branch .LBB213_18
.LBB213_31:                             ;   in Loop: Header=BB213_6 Depth=1
	s_branch .LBB213_22
.LBB213_32:                             ;   in Loop: Header=BB213_6 Depth=1
	s_branch .LBB213_26
.LBB213_33:                             ;   in Loop: Header=BB213_6 Depth=1
.LBB213_34:                             ;   in Loop: Header=BB213_6 Depth=1
	global_store_b64 v[20:21], v[18:19], off
	s_branch .LBB213_5
.LBB213_35:
	s_endpgm
	.section	.rodata,"a",@progbits
	.p2align	6, 0x0
	.amdhsa_kernel _ZL29rocblas_internal_gemmt_kernelIlLi16ELi32ELi8ELc67ELc78ELc76ELb0ELb0EddPKdPdEviT_T9_T10_S3_lS5_S3_lS4_T11_S3_li
		.amdhsa_group_segment_fixed_size 4096
		.amdhsa_private_segment_fixed_size 0
		.amdhsa_kernarg_size 108
		.amdhsa_user_sgpr_count 2
		.amdhsa_user_sgpr_dispatch_ptr 0
		.amdhsa_user_sgpr_queue_ptr 0
		.amdhsa_user_sgpr_kernarg_segment_ptr 1
		.amdhsa_user_sgpr_dispatch_id 0
		.amdhsa_user_sgpr_kernarg_preload_length 0
		.amdhsa_user_sgpr_kernarg_preload_offset 0
		.amdhsa_user_sgpr_private_segment_size 0
		.amdhsa_wavefront_size32 1
		.amdhsa_uses_dynamic_stack 0
		.amdhsa_enable_private_segment 0
		.amdhsa_system_sgpr_workgroup_id_x 1
		.amdhsa_system_sgpr_workgroup_id_y 1
		.amdhsa_system_sgpr_workgroup_id_z 1
		.amdhsa_system_sgpr_workgroup_info 0
		.amdhsa_system_vgpr_workitem_id 1
		.amdhsa_next_free_vgpr 52
		.amdhsa_next_free_sgpr 36
		.amdhsa_named_barrier_count 0
		.amdhsa_reserve_vcc 1
		.amdhsa_float_round_mode_32 0
		.amdhsa_float_round_mode_16_64 0
		.amdhsa_float_denorm_mode_32 3
		.amdhsa_float_denorm_mode_16_64 3
		.amdhsa_fp16_overflow 0
		.amdhsa_memory_ordered 1
		.amdhsa_forward_progress 1
		.amdhsa_inst_pref_size 13
		.amdhsa_round_robin_scheduling 0
		.amdhsa_exception_fp_ieee_invalid_op 0
		.amdhsa_exception_fp_denorm_src 0
		.amdhsa_exception_fp_ieee_div_zero 0
		.amdhsa_exception_fp_ieee_overflow 0
		.amdhsa_exception_fp_ieee_underflow 0
		.amdhsa_exception_fp_ieee_inexact 0
		.amdhsa_exception_int_div_zero 0
	.end_amdhsa_kernel
	.section	.text._ZL29rocblas_internal_gemmt_kernelIlLi16ELi32ELi8ELc67ELc78ELc76ELb0ELb0EddPKdPdEviT_T9_T10_S3_lS5_S3_lS4_T11_S3_li,"axG",@progbits,_ZL29rocblas_internal_gemmt_kernelIlLi16ELi32ELi8ELc67ELc78ELc76ELb0ELb0EddPKdPdEviT_T9_T10_S3_lS5_S3_lS4_T11_S3_li,comdat
.Lfunc_end213:
	.size	_ZL29rocblas_internal_gemmt_kernelIlLi16ELi32ELi8ELc67ELc78ELc76ELb0ELb0EddPKdPdEviT_T9_T10_S3_lS5_S3_lS4_T11_S3_li, .Lfunc_end213-_ZL29rocblas_internal_gemmt_kernelIlLi16ELi32ELi8ELc67ELc78ELc76ELb0ELb0EddPKdPdEviT_T9_T10_S3_lS5_S3_lS4_T11_S3_li
                                        ; -- End function
	.set _ZL29rocblas_internal_gemmt_kernelIlLi16ELi32ELi8ELc67ELc78ELc76ELb0ELb0EddPKdPdEviT_T9_T10_S3_lS5_S3_lS4_T11_S3_li.num_vgpr, 52
	.set _ZL29rocblas_internal_gemmt_kernelIlLi16ELi32ELi8ELc67ELc78ELc76ELb0ELb0EddPKdPdEviT_T9_T10_S3_lS5_S3_lS4_T11_S3_li.num_agpr, 0
	.set _ZL29rocblas_internal_gemmt_kernelIlLi16ELi32ELi8ELc67ELc78ELc76ELb0ELb0EddPKdPdEviT_T9_T10_S3_lS5_S3_lS4_T11_S3_li.numbered_sgpr, 36
	.set _ZL29rocblas_internal_gemmt_kernelIlLi16ELi32ELi8ELc67ELc78ELc76ELb0ELb0EddPKdPdEviT_T9_T10_S3_lS5_S3_lS4_T11_S3_li.num_named_barrier, 0
	.set _ZL29rocblas_internal_gemmt_kernelIlLi16ELi32ELi8ELc67ELc78ELc76ELb0ELb0EddPKdPdEviT_T9_T10_S3_lS5_S3_lS4_T11_S3_li.private_seg_size, 0
	.set _ZL29rocblas_internal_gemmt_kernelIlLi16ELi32ELi8ELc67ELc78ELc76ELb0ELb0EddPKdPdEviT_T9_T10_S3_lS5_S3_lS4_T11_S3_li.uses_vcc, 1
	.set _ZL29rocblas_internal_gemmt_kernelIlLi16ELi32ELi8ELc67ELc78ELc76ELb0ELb0EddPKdPdEviT_T9_T10_S3_lS5_S3_lS4_T11_S3_li.uses_flat_scratch, 0
	.set _ZL29rocblas_internal_gemmt_kernelIlLi16ELi32ELi8ELc67ELc78ELc76ELb0ELb0EddPKdPdEviT_T9_T10_S3_lS5_S3_lS4_T11_S3_li.has_dyn_sized_stack, 0
	.set _ZL29rocblas_internal_gemmt_kernelIlLi16ELi32ELi8ELc67ELc78ELc76ELb0ELb0EddPKdPdEviT_T9_T10_S3_lS5_S3_lS4_T11_S3_li.has_recursion, 0
	.set _ZL29rocblas_internal_gemmt_kernelIlLi16ELi32ELi8ELc67ELc78ELc76ELb0ELb0EddPKdPdEviT_T9_T10_S3_lS5_S3_lS4_T11_S3_li.has_indirect_call, 0
	.section	.AMDGPU.csdata,"",@progbits
; Kernel info:
; codeLenInByte = 1580
; TotalNumSgprs: 38
; NumVgprs: 52
; ScratchSize: 0
; MemoryBound: 0
; FloatMode: 240
; IeeeMode: 1
; LDSByteSize: 4096 bytes/workgroup (compile time only)
; SGPRBlocks: 0
; VGPRBlocks: 3
; NumSGPRsForWavesPerEU: 38
; NumVGPRsForWavesPerEU: 52
; NamedBarCnt: 0
; Occupancy: 16
; WaveLimiterHint : 0
; COMPUTE_PGM_RSRC2:SCRATCH_EN: 0
; COMPUTE_PGM_RSRC2:USER_SGPR: 2
; COMPUTE_PGM_RSRC2:TRAP_HANDLER: 0
; COMPUTE_PGM_RSRC2:TGID_X_EN: 1
; COMPUTE_PGM_RSRC2:TGID_Y_EN: 1
; COMPUTE_PGM_RSRC2:TGID_Z_EN: 1
; COMPUTE_PGM_RSRC2:TIDIG_COMP_CNT: 1
	.section	.text._ZL29rocblas_internal_gemmt_kernelIlLi16ELi32ELi8ELc67ELc84ELc76ELb0ELb0EddPKdPdEviT_T9_T10_S3_lS5_S3_lS4_T11_S3_li,"axG",@progbits,_ZL29rocblas_internal_gemmt_kernelIlLi16ELi32ELi8ELc67ELc84ELc76ELb0ELb0EddPKdPdEviT_T9_T10_S3_lS5_S3_lS4_T11_S3_li,comdat
	.globl	_ZL29rocblas_internal_gemmt_kernelIlLi16ELi32ELi8ELc67ELc84ELc76ELb0ELb0EddPKdPdEviT_T9_T10_S3_lS5_S3_lS4_T11_S3_li ; -- Begin function _ZL29rocblas_internal_gemmt_kernelIlLi16ELi32ELi8ELc67ELc84ELc76ELb0ELb0EddPKdPdEviT_T9_T10_S3_lS5_S3_lS4_T11_S3_li
	.p2align	8
	.type	_ZL29rocblas_internal_gemmt_kernelIlLi16ELi32ELi8ELc67ELc84ELc76ELb0ELb0EddPKdPdEviT_T9_T10_S3_lS5_S3_lS4_T11_S3_li,@function
_ZL29rocblas_internal_gemmt_kernelIlLi16ELi32ELi8ELc67ELc84ELc76ELb0ELb0EddPKdPdEviT_T9_T10_S3_lS5_S3_lS4_T11_S3_li: ; @_ZL29rocblas_internal_gemmt_kernelIlLi16ELi32ELi8ELc67ELc84ELc76ELb0ELb0EddPKdPdEviT_T9_T10_S3_lS5_S3_lS4_T11_S3_li
; %bb.0:
	s_clause 0x1
	s_load_b256 s[24:31], s[0:1], 0x48
	s_load_b512 s[8:23], s[0:1], 0x8
	s_wait_kmcnt 0x0
	v_cmp_neq_f64_e64 s2, s[24:25], 1.0
	s_and_b32 vcc_lo, exec_lo, s2
	s_cbranch_vccnz .LBB214_2
; %bb.1:
	v_cmp_neq_f64_e64 s2, s[10:11], 0
	s_cmp_lg_u64 s[8:9], 0
	s_cselect_b32 s3, -1, 0
	s_delay_alu instid0(SALU_CYCLE_1)
	s_and_b32 s2, s3, s2
.LBB214_2:
	s_delay_alu instid0(SALU_CYCLE_1)
	s_and_not1_b32 vcc_lo, exec_lo, s2
	s_cbranch_vccnz .LBB214_35
; %bb.3:
	s_load_b32 s33, s[0:1], 0x68
	s_bfe_u32 s2, ttmp6, 0x40014
	s_lshr_b32 s3, ttmp7, 16
	s_add_co_i32 s2, s2, 1
	s_bfe_u32 s5, ttmp6, 0x40008
	s_mul_i32 s4, s3, s2
	s_getreg_b32 s2, hwreg(HW_REG_IB_STS2, 6, 4)
	s_add_co_i32 s5, s5, s4
	s_cmp_eq_u32 s2, 0
	s_mov_b32 s7, 0
	s_cselect_b32 s6, s3, s5
	s_wait_kmcnt 0x0
	s_cmp_ge_u32 s6, s33
	s_cbranch_scc1 .LBB214_35
; %bb.4:
	s_bfe_u32 s3, ttmp6, 0x4000c
	s_bfe_u32 s5, ttmp6, 0x40010
	s_add_co_i32 s3, s3, 1
	s_and_b32 s34, ttmp7, 0xffff
	s_add_co_i32 s5, s5, 1
	v_and_b32_e32 v6, 0x3ff, v0
	v_bfe_u32 v7, v0, 10, 10
	s_and_b32 s4, ttmp6, 15
	s_mul_i32 s3, ttmp9, s3
	s_mul_i32 s5, s34, s5
	s_bfe_u32 s35, ttmp6, 0x40004
	s_add_co_i32 s4, s4, s3
	s_add_co_i32 s35, s35, s5
	s_cmp_eq_u32 s2, 0
	v_lshl_add_u32 v8, v7, 4, v6
	s_cselect_b32 s3, s34, s35
	s_cselect_b32 s2, ttmp9, s4
	s_lshl_b32 s3, s3, 5
	s_lshl_b32 s2, s2, 5
	v_dual_add_nc_u32 v14, s3, v7 :: v_dual_bitop2_b32 v10, 31, v8 bitop3:0x40
	v_and_b32_e32 v0, 7, v0
	v_cmp_neq_f64_e64 s34, s[10:11], 0
	s_load_b32 s4, s[0:1], 0x0
	v_lshlrev_b32_e32 v1, 3, v6
	v_add_nc_u32_e32 v16, 16, v14
	v_or_b32_e32 v12, s2, v10
	v_dual_ashrrev_i32 v15, 31, v14 :: v_dual_lshlrev_b32 v11, 3, v0
	s_delay_alu instid0(VALU_DEP_3) | instskip(NEXT) | instid1(VALU_DEP_3)
	v_dual_add_nc_u32 v6, s2, v6 :: v_dual_ashrrev_i32 v17, 31, v16
	v_ashrrev_i32_e32 v13, 31, v12
	s_delay_alu instid0(VALU_DEP_3) | instskip(SKIP_1) | instid1(VALU_DEP_4)
	v_mul_u64_e32 v[2:3], s[28:29], v[14:15]
	v_lshl_add_u32 v9, v7, 6, 0x800
	v_cmp_le_i32_e32 vcc_lo, v14, v6
	v_mul_u64_e32 v[4:5], s[28:29], v[16:17]
	v_mul_u64_e32 v[18:19], s[14:15], v[12:13]
	v_cmp_neq_f64_e64 s14, s[24:25], 0
	v_dual_lshrrev_b32 v13, 3, v8 :: v_dual_lshrrev_b32 v8, 5, v8
	v_ashrrev_i32_e32 v7, 31, v6
	v_cmp_gt_i64_e64 s35, s[8:9], 0
	s_delay_alu instid0(VALU_DEP_3)
	v_dual_mov_b32 v17, 0 :: v_dual_add_nc_u32 v20, s3, v13
	v_lshlrev_b32_e32 v15, 3, v10
	v_add_nc_u32_e32 v10, 16, v6
	s_wait_kmcnt 0x0
	v_cmp_gt_i32_e64 s2, s4, v6
	v_lshl_or_b32 v11, v13, 6, v11
	v_ashrrev_i32_e32 v21, 31, v20
	v_cmp_gt_i32_e64 s0, s4, v12
	v_cmp_gt_i32_e64 s1, s4, v20
	v_cmp_le_i32_e64 s3, v14, v10
	v_cmp_gt_i32_e64 s4, s4, v10
	s_and_b32 s15, vcc_lo, s2
	v_cmp_le_i32_e32 vcc_lo, v16, v6
	v_cmp_le_i32_e64 s5, v16, v10
	v_lshl_or_b32 v34, v8, 8, v15
	v_add_nc_u32_e32 v35, 0x800, v11
	v_ashrrev_i32_e32 v11, 31, v10
	v_lshl_add_u64 v[12:13], v[20:21], 3, s[18:19]
	s_and_b32 s18, vcc_lo, s2
	v_lshl_add_u64 v[14:15], v[18:19], 3, s[12:13]
	s_and_b32 s12, s34, s35
	s_and_b32 s13, s3, s4
	;; [unrolled: 1-line block ×3, first 2 shown]
	s_branch .LBB214_6
.LBB214_5:                              ;   in Loop: Header=BB214_6 Depth=1
	s_wait_xcnt 0x0
	s_or_b32 exec_lo, exec_lo, s2
	s_add_co_i32 s6, s6, 0x10000
	s_delay_alu instid0(SALU_CYCLE_1)
	s_cmp_lt_u32 s6, s33
	s_cbranch_scc0 .LBB214_35
.LBB214_6:                              ; =>This Loop Header: Depth=1
                                        ;     Child Loop BB214_9 Depth 2
	v_mov_b64_e32 v[24:25], 0
	v_mov_b64_e32 v[22:23], 0
	;; [unrolled: 1-line block ×4, first 2 shown]
	s_and_not1_b32 vcc_lo, exec_lo, s12
	s_cbranch_vccnz .LBB214_15
; %bb.7:                                ;   in Loop: Header=BB214_6 Depth=1
	s_mul_u64 s[2:3], s[22:23], s[6:7]
	s_mul_u64 s[28:29], s[16:17], s[6:7]
	v_mov_b64_e32 v[18:19], 0
	v_mov_b64_e32 v[20:21], 0
	;; [unrolled: 1-line block ×4, first 2 shown]
	v_lshl_add_u64 v[26:27], s[28:29], 3, v[14:15]
	v_lshl_add_u64 v[28:29], s[2:3], 3, v[12:13]
	s_mov_b64 s[2:3], 0
	s_branch .LBB214_9
.LBB214_8:                              ;   in Loop: Header=BB214_9 Depth=2
	s_wait_xcnt 0x0
	s_or_b32 exec_lo, exec_lo, s5
	s_wait_loadcnt 0x0
	ds_store_b64 v35, v[32:33]
	s_wait_dscnt 0x0
	s_barrier_signal -1
	s_barrier_wait -1
	ds_load_b128 v[30:33], v9
	ds_load_2addr_b64 v[36:39], v1 offset1:16
	ds_load_b128 v[40:43], v9 offset:1024
	ds_load_b128 v[44:47], v9 offset:16
	;; [unrolled: 1-line block ×3, first 2 shown]
	s_add_nc_u64 s[2:3], s[2:3], 8
	s_delay_alu instid0(SALU_CYCLE_1)
	v_cmp_gt_i64_e64 s5, s[8:9], s[2:3]
	s_and_b32 vcc_lo, exec_lo, s5
	s_wait_dscnt 0x3
	v_fmac_f64_e32 v[24:25], v[36:37], v[30:31]
	v_fmac_f64_e32 v[22:23], v[38:39], v[30:31]
	s_wait_dscnt 0x2
	v_fmac_f64_e32 v[20:21], v[36:37], v[40:41]
	v_fmac_f64_e32 v[18:19], v[38:39], v[40:41]
	ds_load_2addr_b64 v[36:39], v1 offset0:32 offset1:48
	s_wait_dscnt 0x0
	v_fmac_f64_e32 v[24:25], v[36:37], v[32:33]
	v_fmac_f64_e32 v[22:23], v[38:39], v[32:33]
	v_fmac_f64_e32 v[20:21], v[36:37], v[42:43]
	v_fmac_f64_e32 v[18:19], v[38:39], v[42:43]
	ds_load_2addr_b64 v[30:33], v1 offset0:64 offset1:80
	s_wait_dscnt 0x0
	v_fmac_f64_e32 v[24:25], v[30:31], v[44:45]
	v_fmac_f64_e32 v[22:23], v[32:33], v[44:45]
	;; [unrolled: 6-line block ×3, first 2 shown]
	v_fmac_f64_e32 v[20:21], v[30:31], v[50:51]
	v_fmac_f64_e32 v[18:19], v[32:33], v[50:51]
	ds_load_b128 v[30:33], v9 offset:32
	ds_load_2addr_b64 v[36:39], v1 offset0:128 offset1:144
	ds_load_b128 v[40:43], v9 offset:1056
	ds_load_b128 v[44:47], v9 offset:48
	;; [unrolled: 1-line block ×3, first 2 shown]
	s_wait_dscnt 0x3
	v_fmac_f64_e32 v[24:25], v[36:37], v[30:31]
	v_fmac_f64_e32 v[22:23], v[38:39], v[30:31]
	s_wait_dscnt 0x2
	v_fmac_f64_e32 v[20:21], v[36:37], v[40:41]
	v_fmac_f64_e32 v[18:19], v[38:39], v[40:41]
	ds_load_2addr_b64 v[36:39], v1 offset0:160 offset1:176
	s_wait_dscnt 0x0
	v_fmac_f64_e32 v[24:25], v[36:37], v[32:33]
	v_fmac_f64_e32 v[22:23], v[38:39], v[32:33]
	;; [unrolled: 1-line block ×4, first 2 shown]
	ds_load_2addr_b64 v[30:33], v1 offset0:192 offset1:208
	s_wait_dscnt 0x0
	v_fmac_f64_e32 v[24:25], v[30:31], v[44:45]
	v_fmac_f64_e32 v[22:23], v[32:33], v[44:45]
	;; [unrolled: 1-line block ×4, first 2 shown]
	ds_load_2addr_b64 v[30:33], v1 offset0:224 offset1:240
	s_wait_dscnt 0x0
	s_barrier_signal -1
	s_barrier_wait -1
	v_fmac_f64_e32 v[24:25], v[30:31], v[46:47]
	v_fmac_f64_e32 v[22:23], v[32:33], v[46:47]
	;; [unrolled: 1-line block ×4, first 2 shown]
	s_cbranch_vccz .LBB214_15
.LBB214_9:                              ;   Parent Loop BB214_6 Depth=1
                                        ; =>  This Inner Loop Header: Depth=2
	v_mov_b64_e32 v[30:31], 0
	s_and_saveexec_b32 s5, s0
	s_cbranch_execz .LBB214_13
; %bb.10:                               ;   in Loop: Header=BB214_9 Depth=2
	v_mov_b64_e32 v[30:31], 0
	v_add_nc_u32_e32 v16, s2, v8
	s_mov_b32 s19, exec_lo
	s_delay_alu instid0(VALU_DEP_1)
	v_cmpx_gt_u64_e64 s[8:9], v[16:17]
	s_cbranch_execz .LBB214_12
; %bb.11:                               ;   in Loop: Header=BB214_9 Depth=2
	v_lshl_add_u64 v[30:31], v[16:17], 3, v[26:27]
	global_load_b64 v[30:31], v[30:31], off
.LBB214_12:                             ;   in Loop: Header=BB214_9 Depth=2
	s_wait_xcnt 0x0
	s_or_b32 exec_lo, exec_lo, s19
.LBB214_13:                             ;   in Loop: Header=BB214_9 Depth=2
	s_delay_alu instid0(SALU_CYCLE_1)
	s_or_b32 exec_lo, exec_lo, s5
	v_add_nc_u32_e32 v16, s2, v0
	v_mov_b64_e32 v[32:33], 0
	s_wait_loadcnt 0x0
	ds_store_b64 v34, v[30:31]
	v_cmp_gt_u64_e32 vcc_lo, s[8:9], v[16:17]
	s_and_b32 s19, vcc_lo, s1
	s_delay_alu instid0(SALU_CYCLE_1)
	s_and_saveexec_b32 s5, s19
	s_cbranch_execz .LBB214_8
; %bb.14:                               ;   in Loop: Header=BB214_9 Depth=2
	v_mul_u64_e32 v[30:31], s[20:21], v[16:17]
	s_delay_alu instid0(VALU_DEP_1)
	v_lshl_add_u64 v[30:31], v[30:31], 3, v[28:29]
	global_load_b64 v[32:33], v[30:31], off
	s_branch .LBB214_8
.LBB214_15:                             ;   in Loop: Header=BB214_6 Depth=1
	s_mul_u64 s[2:3], s[30:31], s[6:7]
	s_delay_alu instid0(SALU_CYCLE_1) | instskip(NEXT) | instid1(SALU_CYCLE_1)
	s_lshl_b64 s[2:3], s[2:3], 3
	s_add_nc_u64 s[2:3], s[26:27], s[2:3]
	s_delay_alu instid0(SALU_CYCLE_1)
	v_lshl_add_u64 v[26:27], v[2:3], 3, s[2:3]
	s_and_saveexec_b32 s5, s15
	s_cbranch_execz .LBB214_19
; %bb.16:                               ;   in Loop: Header=BB214_6 Depth=1
	v_mul_f64_e32 v[24:25], s[10:11], v[24:25]
	s_delay_alu instid0(VALU_DEP_2)
	v_lshl_add_u64 v[28:29], v[6:7], 3, v[26:27]
	s_and_b32 vcc_lo, exec_lo, s14
	s_cbranch_vccz .LBB214_30
; %bb.17:                               ;   in Loop: Header=BB214_6 Depth=1
	global_load_b64 v[30:31], v[28:29], off
	s_wait_loadcnt 0x0
	v_fma_f64 v[30:31], s[24:25], v[30:31], v[24:25]
	global_store_b64 v[28:29], v[30:31], off
	s_cbranch_execnz .LBB214_19
.LBB214_18:                             ;   in Loop: Header=BB214_6 Depth=1
	global_store_b64 v[28:29], v[24:25], off
.LBB214_19:                             ;   in Loop: Header=BB214_6 Depth=1
	s_wait_xcnt 0x0
	s_or_b32 exec_lo, exec_lo, s5
	s_and_saveexec_b32 s5, s13
	s_cbranch_execz .LBB214_23
; %bb.20:                               ;   in Loop: Header=BB214_6 Depth=1
	s_delay_alu instid0(VALU_DEP_4)
	v_mul_f64_e32 v[22:23], s[10:11], v[22:23]
	v_lshl_add_u64 v[24:25], v[10:11], 3, v[26:27]
	s_and_not1_b32 vcc_lo, exec_lo, s14
	s_cbranch_vccnz .LBB214_31
; %bb.21:                               ;   in Loop: Header=BB214_6 Depth=1
	global_load_b64 v[26:27], v[24:25], off
	s_wait_loadcnt 0x0
	v_fma_f64 v[26:27], s[24:25], v[26:27], v[22:23]
	global_store_b64 v[24:25], v[26:27], off
	s_cbranch_execnz .LBB214_23
.LBB214_22:                             ;   in Loop: Header=BB214_6 Depth=1
	global_store_b64 v[24:25], v[22:23], off
.LBB214_23:                             ;   in Loop: Header=BB214_6 Depth=1
	s_wait_xcnt 0x0
	s_or_b32 exec_lo, exec_lo, s5
	v_lshl_add_u64 v[22:23], v[4:5], 3, s[2:3]
	s_and_saveexec_b32 s2, s18
	s_cbranch_execz .LBB214_27
; %bb.24:                               ;   in Loop: Header=BB214_6 Depth=1
	s_delay_alu instid0(VALU_DEP_4) | instskip(NEXT) | instid1(VALU_DEP_2)
	v_mul_f64_e32 v[20:21], s[10:11], v[20:21]
	v_lshl_add_u64 v[24:25], v[6:7], 3, v[22:23]
	s_and_not1_b32 vcc_lo, exec_lo, s14
	s_cbranch_vccnz .LBB214_32
; %bb.25:                               ;   in Loop: Header=BB214_6 Depth=1
	global_load_b64 v[26:27], v[24:25], off
	s_wait_loadcnt 0x0
	v_fma_f64 v[26:27], s[24:25], v[26:27], v[20:21]
	global_store_b64 v[24:25], v[26:27], off
	s_cbranch_execnz .LBB214_27
.LBB214_26:                             ;   in Loop: Header=BB214_6 Depth=1
	global_store_b64 v[24:25], v[20:21], off
.LBB214_27:                             ;   in Loop: Header=BB214_6 Depth=1
	s_wait_xcnt 0x0
	s_or_b32 exec_lo, exec_lo, s2
	s_and_saveexec_b32 s2, s4
	s_cbranch_execz .LBB214_5
; %bb.28:                               ;   in Loop: Header=BB214_6 Depth=1
	s_delay_alu instid0(VALU_DEP_3)
	v_mul_f64_e32 v[18:19], s[10:11], v[18:19]
	v_lshl_add_u64 v[20:21], v[10:11], 3, v[22:23]
	s_and_not1_b32 vcc_lo, exec_lo, s14
	s_cbranch_vccnz .LBB214_33
; %bb.29:                               ;   in Loop: Header=BB214_6 Depth=1
	global_load_b64 v[22:23], v[20:21], off
	s_wait_loadcnt 0x0
	v_fma_f64 v[22:23], s[24:25], v[22:23], v[18:19]
	global_store_b64 v[20:21], v[22:23], off
	s_cbranch_execnz .LBB214_5
	s_branch .LBB214_34
.LBB214_30:                             ;   in Loop: Header=BB214_6 Depth=1
	s_branch .LBB214_18
.LBB214_31:                             ;   in Loop: Header=BB214_6 Depth=1
	s_branch .LBB214_22
.LBB214_32:                             ;   in Loop: Header=BB214_6 Depth=1
	s_branch .LBB214_26
.LBB214_33:                             ;   in Loop: Header=BB214_6 Depth=1
.LBB214_34:                             ;   in Loop: Header=BB214_6 Depth=1
	global_store_b64 v[20:21], v[18:19], off
	s_branch .LBB214_5
.LBB214_35:
	s_endpgm
	.section	.rodata,"a",@progbits
	.p2align	6, 0x0
	.amdhsa_kernel _ZL29rocblas_internal_gemmt_kernelIlLi16ELi32ELi8ELc67ELc84ELc76ELb0ELb0EddPKdPdEviT_T9_T10_S3_lS5_S3_lS4_T11_S3_li
		.amdhsa_group_segment_fixed_size 4096
		.amdhsa_private_segment_fixed_size 0
		.amdhsa_kernarg_size 108
		.amdhsa_user_sgpr_count 2
		.amdhsa_user_sgpr_dispatch_ptr 0
		.amdhsa_user_sgpr_queue_ptr 0
		.amdhsa_user_sgpr_kernarg_segment_ptr 1
		.amdhsa_user_sgpr_dispatch_id 0
		.amdhsa_user_sgpr_kernarg_preload_length 0
		.amdhsa_user_sgpr_kernarg_preload_offset 0
		.amdhsa_user_sgpr_private_segment_size 0
		.amdhsa_wavefront_size32 1
		.amdhsa_uses_dynamic_stack 0
		.amdhsa_enable_private_segment 0
		.amdhsa_system_sgpr_workgroup_id_x 1
		.amdhsa_system_sgpr_workgroup_id_y 1
		.amdhsa_system_sgpr_workgroup_id_z 1
		.amdhsa_system_sgpr_workgroup_info 0
		.amdhsa_system_vgpr_workitem_id 1
		.amdhsa_next_free_vgpr 52
		.amdhsa_next_free_sgpr 36
		.amdhsa_named_barrier_count 0
		.amdhsa_reserve_vcc 1
		.amdhsa_float_round_mode_32 0
		.amdhsa_float_round_mode_16_64 0
		.amdhsa_float_denorm_mode_32 3
		.amdhsa_float_denorm_mode_16_64 3
		.amdhsa_fp16_overflow 0
		.amdhsa_memory_ordered 1
		.amdhsa_forward_progress 1
		.amdhsa_inst_pref_size 13
		.amdhsa_round_robin_scheduling 0
		.amdhsa_exception_fp_ieee_invalid_op 0
		.amdhsa_exception_fp_denorm_src 0
		.amdhsa_exception_fp_ieee_div_zero 0
		.amdhsa_exception_fp_ieee_overflow 0
		.amdhsa_exception_fp_ieee_underflow 0
		.amdhsa_exception_fp_ieee_inexact 0
		.amdhsa_exception_int_div_zero 0
	.end_amdhsa_kernel
	.section	.text._ZL29rocblas_internal_gemmt_kernelIlLi16ELi32ELi8ELc67ELc84ELc76ELb0ELb0EddPKdPdEviT_T9_T10_S3_lS5_S3_lS4_T11_S3_li,"axG",@progbits,_ZL29rocblas_internal_gemmt_kernelIlLi16ELi32ELi8ELc67ELc84ELc76ELb0ELb0EddPKdPdEviT_T9_T10_S3_lS5_S3_lS4_T11_S3_li,comdat
.Lfunc_end214:
	.size	_ZL29rocblas_internal_gemmt_kernelIlLi16ELi32ELi8ELc67ELc84ELc76ELb0ELb0EddPKdPdEviT_T9_T10_S3_lS5_S3_lS4_T11_S3_li, .Lfunc_end214-_ZL29rocblas_internal_gemmt_kernelIlLi16ELi32ELi8ELc67ELc84ELc76ELb0ELb0EddPKdPdEviT_T9_T10_S3_lS5_S3_lS4_T11_S3_li
                                        ; -- End function
	.set _ZL29rocblas_internal_gemmt_kernelIlLi16ELi32ELi8ELc67ELc84ELc76ELb0ELb0EddPKdPdEviT_T9_T10_S3_lS5_S3_lS4_T11_S3_li.num_vgpr, 52
	.set _ZL29rocblas_internal_gemmt_kernelIlLi16ELi32ELi8ELc67ELc84ELc76ELb0ELb0EddPKdPdEviT_T9_T10_S3_lS5_S3_lS4_T11_S3_li.num_agpr, 0
	.set _ZL29rocblas_internal_gemmt_kernelIlLi16ELi32ELi8ELc67ELc84ELc76ELb0ELb0EddPKdPdEviT_T9_T10_S3_lS5_S3_lS4_T11_S3_li.numbered_sgpr, 36
	.set _ZL29rocblas_internal_gemmt_kernelIlLi16ELi32ELi8ELc67ELc84ELc76ELb0ELb0EddPKdPdEviT_T9_T10_S3_lS5_S3_lS4_T11_S3_li.num_named_barrier, 0
	.set _ZL29rocblas_internal_gemmt_kernelIlLi16ELi32ELi8ELc67ELc84ELc76ELb0ELb0EddPKdPdEviT_T9_T10_S3_lS5_S3_lS4_T11_S3_li.private_seg_size, 0
	.set _ZL29rocblas_internal_gemmt_kernelIlLi16ELi32ELi8ELc67ELc84ELc76ELb0ELb0EddPKdPdEviT_T9_T10_S3_lS5_S3_lS4_T11_S3_li.uses_vcc, 1
	.set _ZL29rocblas_internal_gemmt_kernelIlLi16ELi32ELi8ELc67ELc84ELc76ELb0ELb0EddPKdPdEviT_T9_T10_S3_lS5_S3_lS4_T11_S3_li.uses_flat_scratch, 0
	.set _ZL29rocblas_internal_gemmt_kernelIlLi16ELi32ELi8ELc67ELc84ELc76ELb0ELb0EddPKdPdEviT_T9_T10_S3_lS5_S3_lS4_T11_S3_li.has_dyn_sized_stack, 0
	.set _ZL29rocblas_internal_gemmt_kernelIlLi16ELi32ELi8ELc67ELc84ELc76ELb0ELb0EddPKdPdEviT_T9_T10_S3_lS5_S3_lS4_T11_S3_li.has_recursion, 0
	.set _ZL29rocblas_internal_gemmt_kernelIlLi16ELi32ELi8ELc67ELc84ELc76ELb0ELb0EddPKdPdEviT_T9_T10_S3_lS5_S3_lS4_T11_S3_li.has_indirect_call, 0
	.section	.AMDGPU.csdata,"",@progbits
; Kernel info:
; codeLenInByte = 1564
; TotalNumSgprs: 38
; NumVgprs: 52
; ScratchSize: 0
; MemoryBound: 0
; FloatMode: 240
; IeeeMode: 1
; LDSByteSize: 4096 bytes/workgroup (compile time only)
; SGPRBlocks: 0
; VGPRBlocks: 3
; NumSGPRsForWavesPerEU: 38
; NumVGPRsForWavesPerEU: 52
; NamedBarCnt: 0
; Occupancy: 16
; WaveLimiterHint : 0
; COMPUTE_PGM_RSRC2:SCRATCH_EN: 0
; COMPUTE_PGM_RSRC2:USER_SGPR: 2
; COMPUTE_PGM_RSRC2:TRAP_HANDLER: 0
; COMPUTE_PGM_RSRC2:TGID_X_EN: 1
; COMPUTE_PGM_RSRC2:TGID_Y_EN: 1
; COMPUTE_PGM_RSRC2:TGID_Z_EN: 1
; COMPUTE_PGM_RSRC2:TIDIG_COMP_CNT: 1
	.section	.text._ZL29rocblas_internal_gemmt_kernelIlLi16ELi32ELi8ELc67ELc67ELc76ELb0ELb0EddPKdPdEviT_T9_T10_S3_lS5_S3_lS4_T11_S3_li,"axG",@progbits,_ZL29rocblas_internal_gemmt_kernelIlLi16ELi32ELi8ELc67ELc67ELc76ELb0ELb0EddPKdPdEviT_T9_T10_S3_lS5_S3_lS4_T11_S3_li,comdat
	.globl	_ZL29rocblas_internal_gemmt_kernelIlLi16ELi32ELi8ELc67ELc67ELc76ELb0ELb0EddPKdPdEviT_T9_T10_S3_lS5_S3_lS4_T11_S3_li ; -- Begin function _ZL29rocblas_internal_gemmt_kernelIlLi16ELi32ELi8ELc67ELc67ELc76ELb0ELb0EddPKdPdEviT_T9_T10_S3_lS5_S3_lS4_T11_S3_li
	.p2align	8
	.type	_ZL29rocblas_internal_gemmt_kernelIlLi16ELi32ELi8ELc67ELc67ELc76ELb0ELb0EddPKdPdEviT_T9_T10_S3_lS5_S3_lS4_T11_S3_li,@function
_ZL29rocblas_internal_gemmt_kernelIlLi16ELi32ELi8ELc67ELc67ELc76ELb0ELb0EddPKdPdEviT_T9_T10_S3_lS5_S3_lS4_T11_S3_li: ; @_ZL29rocblas_internal_gemmt_kernelIlLi16ELi32ELi8ELc67ELc67ELc76ELb0ELb0EddPKdPdEviT_T9_T10_S3_lS5_S3_lS4_T11_S3_li
; %bb.0:
	s_clause 0x1
	s_load_b256 s[24:31], s[0:1], 0x48
	s_load_b512 s[8:23], s[0:1], 0x8
	s_wait_kmcnt 0x0
	v_cmp_neq_f64_e64 s2, s[24:25], 1.0
	s_and_b32 vcc_lo, exec_lo, s2
	s_cbranch_vccnz .LBB215_2
; %bb.1:
	v_cmp_neq_f64_e64 s2, s[10:11], 0
	s_cmp_lg_u64 s[8:9], 0
	s_cselect_b32 s3, -1, 0
	s_delay_alu instid0(SALU_CYCLE_1)
	s_and_b32 s2, s3, s2
.LBB215_2:
	s_delay_alu instid0(SALU_CYCLE_1)
	s_and_not1_b32 vcc_lo, exec_lo, s2
	s_cbranch_vccnz .LBB215_35
; %bb.3:
	s_load_b32 s33, s[0:1], 0x68
	s_bfe_u32 s2, ttmp6, 0x40014
	s_lshr_b32 s3, ttmp7, 16
	s_add_co_i32 s2, s2, 1
	s_bfe_u32 s5, ttmp6, 0x40008
	s_mul_i32 s4, s3, s2
	s_getreg_b32 s2, hwreg(HW_REG_IB_STS2, 6, 4)
	s_add_co_i32 s5, s5, s4
	s_cmp_eq_u32 s2, 0
	s_mov_b32 s7, 0
	s_cselect_b32 s6, s3, s5
	s_wait_kmcnt 0x0
	s_cmp_ge_u32 s6, s33
	s_cbranch_scc1 .LBB215_35
; %bb.4:
	s_bfe_u32 s3, ttmp6, 0x4000c
	s_bfe_u32 s5, ttmp6, 0x40010
	s_add_co_i32 s3, s3, 1
	s_and_b32 s34, ttmp7, 0xffff
	s_add_co_i32 s5, s5, 1
	v_and_b32_e32 v6, 0x3ff, v0
	v_bfe_u32 v7, v0, 10, 10
	s_and_b32 s4, ttmp6, 15
	s_mul_i32 s3, ttmp9, s3
	s_mul_i32 s5, s34, s5
	s_bfe_u32 s35, ttmp6, 0x40004
	s_add_co_i32 s4, s4, s3
	s_add_co_i32 s35, s35, s5
	s_cmp_eq_u32 s2, 0
	v_lshl_add_u32 v8, v7, 4, v6
	s_cselect_b32 s3, s34, s35
	s_cselect_b32 s2, ttmp9, s4
	s_lshl_b32 s3, s3, 5
	s_lshl_b32 s2, s2, 5
	v_dual_add_nc_u32 v14, s3, v7 :: v_dual_bitop2_b32 v10, 31, v8 bitop3:0x40
	v_and_b32_e32 v0, 7, v0
	v_cmp_neq_f64_e64 s34, s[10:11], 0
	s_load_b32 s4, s[0:1], 0x0
	v_lshlrev_b32_e32 v1, 3, v6
	v_add_nc_u32_e32 v16, 16, v14
	v_or_b32_e32 v12, s2, v10
	v_dual_ashrrev_i32 v15, 31, v14 :: v_dual_lshlrev_b32 v11, 3, v0
	s_delay_alu instid0(VALU_DEP_3) | instskip(NEXT) | instid1(VALU_DEP_3)
	v_dual_add_nc_u32 v6, s2, v6 :: v_dual_ashrrev_i32 v17, 31, v16
	v_ashrrev_i32_e32 v13, 31, v12
	s_delay_alu instid0(VALU_DEP_3) | instskip(SKIP_1) | instid1(VALU_DEP_4)
	v_mul_u64_e32 v[2:3], s[28:29], v[14:15]
	v_lshl_add_u32 v9, v7, 6, 0x800
	v_cmp_le_i32_e32 vcc_lo, v14, v6
	v_mul_u64_e32 v[4:5], s[28:29], v[16:17]
	v_mul_u64_e32 v[18:19], s[14:15], v[12:13]
	v_cmp_neq_f64_e64 s14, s[24:25], 0
	v_dual_lshrrev_b32 v13, 3, v8 :: v_dual_lshrrev_b32 v8, 5, v8
	v_ashrrev_i32_e32 v7, 31, v6
	v_cmp_gt_i64_e64 s35, s[8:9], 0
	s_delay_alu instid0(VALU_DEP_3)
	v_dual_mov_b32 v17, 0 :: v_dual_add_nc_u32 v20, s3, v13
	v_lshlrev_b32_e32 v15, 3, v10
	v_add_nc_u32_e32 v10, 16, v6
	s_wait_kmcnt 0x0
	v_cmp_gt_i32_e64 s2, s4, v6
	v_lshl_or_b32 v11, v13, 6, v11
	v_ashrrev_i32_e32 v21, 31, v20
	v_cmp_gt_i32_e64 s0, s4, v12
	v_cmp_gt_i32_e64 s1, s4, v20
	v_cmp_le_i32_e64 s3, v14, v10
	v_cmp_gt_i32_e64 s4, s4, v10
	s_and_b32 s15, vcc_lo, s2
	v_cmp_le_i32_e32 vcc_lo, v16, v6
	v_cmp_le_i32_e64 s5, v16, v10
	v_lshl_or_b32 v34, v8, 8, v15
	v_add_nc_u32_e32 v35, 0x800, v11
	v_ashrrev_i32_e32 v11, 31, v10
	v_lshl_add_u64 v[12:13], v[20:21], 3, s[18:19]
	s_and_b32 s18, vcc_lo, s2
	v_lshl_add_u64 v[14:15], v[18:19], 3, s[12:13]
	s_and_b32 s12, s34, s35
	s_and_b32 s13, s3, s4
	;; [unrolled: 1-line block ×3, first 2 shown]
	s_branch .LBB215_6
.LBB215_5:                              ;   in Loop: Header=BB215_6 Depth=1
	s_wait_xcnt 0x0
	s_or_b32 exec_lo, exec_lo, s2
	s_add_co_i32 s6, s6, 0x10000
	s_delay_alu instid0(SALU_CYCLE_1)
	s_cmp_lt_u32 s6, s33
	s_cbranch_scc0 .LBB215_35
.LBB215_6:                              ; =>This Loop Header: Depth=1
                                        ;     Child Loop BB215_9 Depth 2
	v_mov_b64_e32 v[24:25], 0
	v_mov_b64_e32 v[22:23], 0
	;; [unrolled: 1-line block ×4, first 2 shown]
	s_and_not1_b32 vcc_lo, exec_lo, s12
	s_cbranch_vccnz .LBB215_15
; %bb.7:                                ;   in Loop: Header=BB215_6 Depth=1
	s_mul_u64 s[2:3], s[22:23], s[6:7]
	s_mul_u64 s[28:29], s[16:17], s[6:7]
	v_mov_b64_e32 v[18:19], 0
	v_mov_b64_e32 v[20:21], 0
	v_mov_b64_e32 v[22:23], 0
	v_mov_b64_e32 v[24:25], 0
	v_lshl_add_u64 v[26:27], s[28:29], 3, v[14:15]
	v_lshl_add_u64 v[28:29], s[2:3], 3, v[12:13]
	s_mov_b64 s[2:3], 0
	s_branch .LBB215_9
.LBB215_8:                              ;   in Loop: Header=BB215_9 Depth=2
	s_wait_xcnt 0x0
	s_or_b32 exec_lo, exec_lo, s5
	s_wait_loadcnt 0x0
	ds_store_b64 v35, v[32:33]
	s_wait_dscnt 0x0
	s_barrier_signal -1
	s_barrier_wait -1
	ds_load_b128 v[30:33], v9
	ds_load_2addr_b64 v[36:39], v1 offset1:16
	ds_load_b128 v[40:43], v9 offset:1024
	ds_load_b128 v[44:47], v9 offset:16
	;; [unrolled: 1-line block ×3, first 2 shown]
	s_add_nc_u64 s[2:3], s[2:3], 8
	s_delay_alu instid0(SALU_CYCLE_1)
	v_cmp_gt_i64_e64 s5, s[8:9], s[2:3]
	s_and_b32 vcc_lo, exec_lo, s5
	s_wait_dscnt 0x3
	v_fmac_f64_e32 v[24:25], v[36:37], v[30:31]
	v_fmac_f64_e32 v[22:23], v[38:39], v[30:31]
	s_wait_dscnt 0x2
	v_fmac_f64_e32 v[20:21], v[36:37], v[40:41]
	v_fmac_f64_e32 v[18:19], v[38:39], v[40:41]
	ds_load_2addr_b64 v[36:39], v1 offset0:32 offset1:48
	s_wait_dscnt 0x0
	v_fmac_f64_e32 v[24:25], v[36:37], v[32:33]
	v_fmac_f64_e32 v[22:23], v[38:39], v[32:33]
	v_fmac_f64_e32 v[20:21], v[36:37], v[42:43]
	v_fmac_f64_e32 v[18:19], v[38:39], v[42:43]
	ds_load_2addr_b64 v[30:33], v1 offset0:64 offset1:80
	s_wait_dscnt 0x0
	v_fmac_f64_e32 v[24:25], v[30:31], v[44:45]
	v_fmac_f64_e32 v[22:23], v[32:33], v[44:45]
	;; [unrolled: 6-line block ×3, first 2 shown]
	v_fmac_f64_e32 v[20:21], v[30:31], v[50:51]
	v_fmac_f64_e32 v[18:19], v[32:33], v[50:51]
	ds_load_b128 v[30:33], v9 offset:32
	ds_load_2addr_b64 v[36:39], v1 offset0:128 offset1:144
	ds_load_b128 v[40:43], v9 offset:1056
	ds_load_b128 v[44:47], v9 offset:48
	;; [unrolled: 1-line block ×3, first 2 shown]
	s_wait_dscnt 0x3
	v_fmac_f64_e32 v[24:25], v[36:37], v[30:31]
	v_fmac_f64_e32 v[22:23], v[38:39], v[30:31]
	s_wait_dscnt 0x2
	v_fmac_f64_e32 v[20:21], v[36:37], v[40:41]
	v_fmac_f64_e32 v[18:19], v[38:39], v[40:41]
	ds_load_2addr_b64 v[36:39], v1 offset0:160 offset1:176
	s_wait_dscnt 0x0
	v_fmac_f64_e32 v[24:25], v[36:37], v[32:33]
	v_fmac_f64_e32 v[22:23], v[38:39], v[32:33]
	;; [unrolled: 1-line block ×4, first 2 shown]
	ds_load_2addr_b64 v[30:33], v1 offset0:192 offset1:208
	s_wait_dscnt 0x0
	v_fmac_f64_e32 v[24:25], v[30:31], v[44:45]
	v_fmac_f64_e32 v[22:23], v[32:33], v[44:45]
	;; [unrolled: 1-line block ×4, first 2 shown]
	ds_load_2addr_b64 v[30:33], v1 offset0:224 offset1:240
	s_wait_dscnt 0x0
	s_barrier_signal -1
	s_barrier_wait -1
	v_fmac_f64_e32 v[24:25], v[30:31], v[46:47]
	v_fmac_f64_e32 v[22:23], v[32:33], v[46:47]
	;; [unrolled: 1-line block ×4, first 2 shown]
	s_cbranch_vccz .LBB215_15
.LBB215_9:                              ;   Parent Loop BB215_6 Depth=1
                                        ; =>  This Inner Loop Header: Depth=2
	v_mov_b64_e32 v[30:31], 0
	s_and_saveexec_b32 s5, s0
	s_cbranch_execz .LBB215_13
; %bb.10:                               ;   in Loop: Header=BB215_9 Depth=2
	v_mov_b64_e32 v[30:31], 0
	v_add_nc_u32_e32 v16, s2, v8
	s_mov_b32 s19, exec_lo
	s_delay_alu instid0(VALU_DEP_1)
	v_cmpx_gt_u64_e64 s[8:9], v[16:17]
	s_cbranch_execz .LBB215_12
; %bb.11:                               ;   in Loop: Header=BB215_9 Depth=2
	v_lshl_add_u64 v[30:31], v[16:17], 3, v[26:27]
	global_load_b64 v[30:31], v[30:31], off
.LBB215_12:                             ;   in Loop: Header=BB215_9 Depth=2
	s_wait_xcnt 0x0
	s_or_b32 exec_lo, exec_lo, s19
.LBB215_13:                             ;   in Loop: Header=BB215_9 Depth=2
	s_delay_alu instid0(SALU_CYCLE_1)
	s_or_b32 exec_lo, exec_lo, s5
	v_add_nc_u32_e32 v16, s2, v0
	v_mov_b64_e32 v[32:33], 0
	s_wait_loadcnt 0x0
	ds_store_b64 v34, v[30:31]
	v_cmp_gt_u64_e32 vcc_lo, s[8:9], v[16:17]
	s_and_b32 s19, vcc_lo, s1
	s_delay_alu instid0(SALU_CYCLE_1)
	s_and_saveexec_b32 s5, s19
	s_cbranch_execz .LBB215_8
; %bb.14:                               ;   in Loop: Header=BB215_9 Depth=2
	v_mul_u64_e32 v[30:31], s[20:21], v[16:17]
	s_delay_alu instid0(VALU_DEP_1)
	v_lshl_add_u64 v[30:31], v[30:31], 3, v[28:29]
	global_load_b64 v[32:33], v[30:31], off
	s_branch .LBB215_8
.LBB215_15:                             ;   in Loop: Header=BB215_6 Depth=1
	s_mul_u64 s[2:3], s[30:31], s[6:7]
	s_delay_alu instid0(SALU_CYCLE_1) | instskip(NEXT) | instid1(SALU_CYCLE_1)
	s_lshl_b64 s[2:3], s[2:3], 3
	s_add_nc_u64 s[2:3], s[26:27], s[2:3]
	s_delay_alu instid0(SALU_CYCLE_1)
	v_lshl_add_u64 v[26:27], v[2:3], 3, s[2:3]
	s_and_saveexec_b32 s5, s15
	s_cbranch_execz .LBB215_19
; %bb.16:                               ;   in Loop: Header=BB215_6 Depth=1
	v_mul_f64_e32 v[24:25], s[10:11], v[24:25]
	s_delay_alu instid0(VALU_DEP_2)
	v_lshl_add_u64 v[28:29], v[6:7], 3, v[26:27]
	s_and_b32 vcc_lo, exec_lo, s14
	s_cbranch_vccz .LBB215_30
; %bb.17:                               ;   in Loop: Header=BB215_6 Depth=1
	global_load_b64 v[30:31], v[28:29], off
	s_wait_loadcnt 0x0
	v_fma_f64 v[30:31], s[24:25], v[30:31], v[24:25]
	global_store_b64 v[28:29], v[30:31], off
	s_cbranch_execnz .LBB215_19
.LBB215_18:                             ;   in Loop: Header=BB215_6 Depth=1
	global_store_b64 v[28:29], v[24:25], off
.LBB215_19:                             ;   in Loop: Header=BB215_6 Depth=1
	s_wait_xcnt 0x0
	s_or_b32 exec_lo, exec_lo, s5
	s_and_saveexec_b32 s5, s13
	s_cbranch_execz .LBB215_23
; %bb.20:                               ;   in Loop: Header=BB215_6 Depth=1
	s_delay_alu instid0(VALU_DEP_4)
	v_mul_f64_e32 v[22:23], s[10:11], v[22:23]
	v_lshl_add_u64 v[24:25], v[10:11], 3, v[26:27]
	s_and_not1_b32 vcc_lo, exec_lo, s14
	s_cbranch_vccnz .LBB215_31
; %bb.21:                               ;   in Loop: Header=BB215_6 Depth=1
	global_load_b64 v[26:27], v[24:25], off
	s_wait_loadcnt 0x0
	v_fma_f64 v[26:27], s[24:25], v[26:27], v[22:23]
	global_store_b64 v[24:25], v[26:27], off
	s_cbranch_execnz .LBB215_23
.LBB215_22:                             ;   in Loop: Header=BB215_6 Depth=1
	global_store_b64 v[24:25], v[22:23], off
.LBB215_23:                             ;   in Loop: Header=BB215_6 Depth=1
	s_wait_xcnt 0x0
	s_or_b32 exec_lo, exec_lo, s5
	v_lshl_add_u64 v[22:23], v[4:5], 3, s[2:3]
	s_and_saveexec_b32 s2, s18
	s_cbranch_execz .LBB215_27
; %bb.24:                               ;   in Loop: Header=BB215_6 Depth=1
	s_delay_alu instid0(VALU_DEP_4) | instskip(NEXT) | instid1(VALU_DEP_2)
	v_mul_f64_e32 v[20:21], s[10:11], v[20:21]
	v_lshl_add_u64 v[24:25], v[6:7], 3, v[22:23]
	s_and_not1_b32 vcc_lo, exec_lo, s14
	s_cbranch_vccnz .LBB215_32
; %bb.25:                               ;   in Loop: Header=BB215_6 Depth=1
	global_load_b64 v[26:27], v[24:25], off
	s_wait_loadcnt 0x0
	v_fma_f64 v[26:27], s[24:25], v[26:27], v[20:21]
	global_store_b64 v[24:25], v[26:27], off
	s_cbranch_execnz .LBB215_27
.LBB215_26:                             ;   in Loop: Header=BB215_6 Depth=1
	global_store_b64 v[24:25], v[20:21], off
.LBB215_27:                             ;   in Loop: Header=BB215_6 Depth=1
	s_wait_xcnt 0x0
	s_or_b32 exec_lo, exec_lo, s2
	s_and_saveexec_b32 s2, s4
	s_cbranch_execz .LBB215_5
; %bb.28:                               ;   in Loop: Header=BB215_6 Depth=1
	s_delay_alu instid0(VALU_DEP_3)
	v_mul_f64_e32 v[18:19], s[10:11], v[18:19]
	v_lshl_add_u64 v[20:21], v[10:11], 3, v[22:23]
	s_and_not1_b32 vcc_lo, exec_lo, s14
	s_cbranch_vccnz .LBB215_33
; %bb.29:                               ;   in Loop: Header=BB215_6 Depth=1
	global_load_b64 v[22:23], v[20:21], off
	s_wait_loadcnt 0x0
	v_fma_f64 v[22:23], s[24:25], v[22:23], v[18:19]
	global_store_b64 v[20:21], v[22:23], off
	s_cbranch_execnz .LBB215_5
	s_branch .LBB215_34
.LBB215_30:                             ;   in Loop: Header=BB215_6 Depth=1
	s_branch .LBB215_18
.LBB215_31:                             ;   in Loop: Header=BB215_6 Depth=1
	s_branch .LBB215_22
.LBB215_32:                             ;   in Loop: Header=BB215_6 Depth=1
	s_branch .LBB215_26
.LBB215_33:                             ;   in Loop: Header=BB215_6 Depth=1
.LBB215_34:                             ;   in Loop: Header=BB215_6 Depth=1
	global_store_b64 v[20:21], v[18:19], off
	s_branch .LBB215_5
.LBB215_35:
	s_endpgm
	.section	.rodata,"a",@progbits
	.p2align	6, 0x0
	.amdhsa_kernel _ZL29rocblas_internal_gemmt_kernelIlLi16ELi32ELi8ELc67ELc67ELc76ELb0ELb0EddPKdPdEviT_T9_T10_S3_lS5_S3_lS4_T11_S3_li
		.amdhsa_group_segment_fixed_size 4096
		.amdhsa_private_segment_fixed_size 0
		.amdhsa_kernarg_size 108
		.amdhsa_user_sgpr_count 2
		.amdhsa_user_sgpr_dispatch_ptr 0
		.amdhsa_user_sgpr_queue_ptr 0
		.amdhsa_user_sgpr_kernarg_segment_ptr 1
		.amdhsa_user_sgpr_dispatch_id 0
		.amdhsa_user_sgpr_kernarg_preload_length 0
		.amdhsa_user_sgpr_kernarg_preload_offset 0
		.amdhsa_user_sgpr_private_segment_size 0
		.amdhsa_wavefront_size32 1
		.amdhsa_uses_dynamic_stack 0
		.amdhsa_enable_private_segment 0
		.amdhsa_system_sgpr_workgroup_id_x 1
		.amdhsa_system_sgpr_workgroup_id_y 1
		.amdhsa_system_sgpr_workgroup_id_z 1
		.amdhsa_system_sgpr_workgroup_info 0
		.amdhsa_system_vgpr_workitem_id 1
		.amdhsa_next_free_vgpr 52
		.amdhsa_next_free_sgpr 36
		.amdhsa_named_barrier_count 0
		.amdhsa_reserve_vcc 1
		.amdhsa_float_round_mode_32 0
		.amdhsa_float_round_mode_16_64 0
		.amdhsa_float_denorm_mode_32 3
		.amdhsa_float_denorm_mode_16_64 3
		.amdhsa_fp16_overflow 0
		.amdhsa_memory_ordered 1
		.amdhsa_forward_progress 1
		.amdhsa_inst_pref_size 13
		.amdhsa_round_robin_scheduling 0
		.amdhsa_exception_fp_ieee_invalid_op 0
		.amdhsa_exception_fp_denorm_src 0
		.amdhsa_exception_fp_ieee_div_zero 0
		.amdhsa_exception_fp_ieee_overflow 0
		.amdhsa_exception_fp_ieee_underflow 0
		.amdhsa_exception_fp_ieee_inexact 0
		.amdhsa_exception_int_div_zero 0
	.end_amdhsa_kernel
	.section	.text._ZL29rocblas_internal_gemmt_kernelIlLi16ELi32ELi8ELc67ELc67ELc76ELb0ELb0EddPKdPdEviT_T9_T10_S3_lS5_S3_lS4_T11_S3_li,"axG",@progbits,_ZL29rocblas_internal_gemmt_kernelIlLi16ELi32ELi8ELc67ELc67ELc76ELb0ELb0EddPKdPdEviT_T9_T10_S3_lS5_S3_lS4_T11_S3_li,comdat
.Lfunc_end215:
	.size	_ZL29rocblas_internal_gemmt_kernelIlLi16ELi32ELi8ELc67ELc67ELc76ELb0ELb0EddPKdPdEviT_T9_T10_S3_lS5_S3_lS4_T11_S3_li, .Lfunc_end215-_ZL29rocblas_internal_gemmt_kernelIlLi16ELi32ELi8ELc67ELc67ELc76ELb0ELb0EddPKdPdEviT_T9_T10_S3_lS5_S3_lS4_T11_S3_li
                                        ; -- End function
	.set _ZL29rocblas_internal_gemmt_kernelIlLi16ELi32ELi8ELc67ELc67ELc76ELb0ELb0EddPKdPdEviT_T9_T10_S3_lS5_S3_lS4_T11_S3_li.num_vgpr, 52
	.set _ZL29rocblas_internal_gemmt_kernelIlLi16ELi32ELi8ELc67ELc67ELc76ELb0ELb0EddPKdPdEviT_T9_T10_S3_lS5_S3_lS4_T11_S3_li.num_agpr, 0
	.set _ZL29rocblas_internal_gemmt_kernelIlLi16ELi32ELi8ELc67ELc67ELc76ELb0ELb0EddPKdPdEviT_T9_T10_S3_lS5_S3_lS4_T11_S3_li.numbered_sgpr, 36
	.set _ZL29rocblas_internal_gemmt_kernelIlLi16ELi32ELi8ELc67ELc67ELc76ELb0ELb0EddPKdPdEviT_T9_T10_S3_lS5_S3_lS4_T11_S3_li.num_named_barrier, 0
	.set _ZL29rocblas_internal_gemmt_kernelIlLi16ELi32ELi8ELc67ELc67ELc76ELb0ELb0EddPKdPdEviT_T9_T10_S3_lS5_S3_lS4_T11_S3_li.private_seg_size, 0
	.set _ZL29rocblas_internal_gemmt_kernelIlLi16ELi32ELi8ELc67ELc67ELc76ELb0ELb0EddPKdPdEviT_T9_T10_S3_lS5_S3_lS4_T11_S3_li.uses_vcc, 1
	.set _ZL29rocblas_internal_gemmt_kernelIlLi16ELi32ELi8ELc67ELc67ELc76ELb0ELb0EddPKdPdEviT_T9_T10_S3_lS5_S3_lS4_T11_S3_li.uses_flat_scratch, 0
	.set _ZL29rocblas_internal_gemmt_kernelIlLi16ELi32ELi8ELc67ELc67ELc76ELb0ELb0EddPKdPdEviT_T9_T10_S3_lS5_S3_lS4_T11_S3_li.has_dyn_sized_stack, 0
	.set _ZL29rocblas_internal_gemmt_kernelIlLi16ELi32ELi8ELc67ELc67ELc76ELb0ELb0EddPKdPdEviT_T9_T10_S3_lS5_S3_lS4_T11_S3_li.has_recursion, 0
	.set _ZL29rocblas_internal_gemmt_kernelIlLi16ELi32ELi8ELc67ELc67ELc76ELb0ELb0EddPKdPdEviT_T9_T10_S3_lS5_S3_lS4_T11_S3_li.has_indirect_call, 0
	.section	.AMDGPU.csdata,"",@progbits
; Kernel info:
; codeLenInByte = 1564
; TotalNumSgprs: 38
; NumVgprs: 52
; ScratchSize: 0
; MemoryBound: 0
; FloatMode: 240
; IeeeMode: 1
; LDSByteSize: 4096 bytes/workgroup (compile time only)
; SGPRBlocks: 0
; VGPRBlocks: 3
; NumSGPRsForWavesPerEU: 38
; NumVGPRsForWavesPerEU: 52
; NamedBarCnt: 0
; Occupancy: 16
; WaveLimiterHint : 0
; COMPUTE_PGM_RSRC2:SCRATCH_EN: 0
; COMPUTE_PGM_RSRC2:USER_SGPR: 2
; COMPUTE_PGM_RSRC2:TRAP_HANDLER: 0
; COMPUTE_PGM_RSRC2:TGID_X_EN: 1
; COMPUTE_PGM_RSRC2:TGID_Y_EN: 1
; COMPUTE_PGM_RSRC2:TGID_Z_EN: 1
; COMPUTE_PGM_RSRC2:TIDIG_COMP_CNT: 1
	.section	.text._ZL29rocblas_internal_gemmt_kernelIlLi16ELi32ELi8ELc78ELc78ELc85ELb0ELb0E19rocblas_complex_numIfEPKS1_S3_PS1_EviT_T9_T10_S5_lS7_S5_lS6_T11_S5_li,"axG",@progbits,_ZL29rocblas_internal_gemmt_kernelIlLi16ELi32ELi8ELc78ELc78ELc85ELb0ELb0E19rocblas_complex_numIfEPKS1_S3_PS1_EviT_T9_T10_S5_lS7_S5_lS6_T11_S5_li,comdat
	.globl	_ZL29rocblas_internal_gemmt_kernelIlLi16ELi32ELi8ELc78ELc78ELc85ELb0ELb0E19rocblas_complex_numIfEPKS1_S3_PS1_EviT_T9_T10_S5_lS7_S5_lS6_T11_S5_li ; -- Begin function _ZL29rocblas_internal_gemmt_kernelIlLi16ELi32ELi8ELc78ELc78ELc85ELb0ELb0E19rocblas_complex_numIfEPKS1_S3_PS1_EviT_T9_T10_S5_lS7_S5_lS6_T11_S5_li
	.p2align	8
	.type	_ZL29rocblas_internal_gemmt_kernelIlLi16ELi32ELi8ELc78ELc78ELc85ELb0ELb0E19rocblas_complex_numIfEPKS1_S3_PS1_EviT_T9_T10_S5_lS7_S5_lS6_T11_S5_li,@function
_ZL29rocblas_internal_gemmt_kernelIlLi16ELi32ELi8ELc78ELc78ELc85ELb0ELb0E19rocblas_complex_numIfEPKS1_S3_PS1_EviT_T9_T10_S5_lS7_S5_lS6_T11_S5_li: ; @_ZL29rocblas_internal_gemmt_kernelIlLi16ELi32ELi8ELc78ELc78ELc85ELb0ELb0E19rocblas_complex_numIfEPKS1_S3_PS1_EviT_T9_T10_S5_lS7_S5_lS6_T11_S5_li
; %bb.0:
	s_load_b256 s[24:31], s[0:1], 0x48
	s_wait_kmcnt 0x0
	s_load_b64 s[6:7], s[24:25], 0x0
	s_load_b512 s[8:23], s[0:1], 0x8
	s_wait_kmcnt 0x0
	s_cmp_neq_f32 s6, 1.0
	s_load_b64 s[24:25], s[10:11], 0x0
	s_cselect_b32 s2, -1, 0
	s_and_b32 s4, s7, 0x7fffffff
	s_delay_alu instid0(SALU_CYCLE_1) | instskip(SKIP_3) | instid1(SALU_CYCLE_1)
	s_cmp_eq_u32 s4, 0
	s_cselect_b32 s3, -1, 0
	s_cmp_lg_u32 s4, 0
	s_cselect_b32 s4, -1, 0
	s_or_b32 s2, s2, s4
	s_delay_alu instid0(SALU_CYCLE_1)
	s_and_b32 vcc_lo, exec_lo, s2
	s_cbranch_vccnz .LBB216_2
; %bb.1:
	s_cmp_lg_u64 s[8:9], 0
	s_cselect_b32 s2, -1, 0
	s_wait_kmcnt 0x0
	s_cmp_neq_f32 s24, 0
	s_cselect_b32 s4, -1, 0
	s_cmp_neq_f32 s25, 0
	s_cselect_b32 s5, -1, 0
	s_delay_alu instid0(SALU_CYCLE_1) | instskip(NEXT) | instid1(SALU_CYCLE_1)
	s_or_b32 s4, s4, s5
	s_and_b32 s2, s2, s4
.LBB216_2:
	s_delay_alu instid0(SALU_CYCLE_1)
	s_and_not1_b32 vcc_lo, exec_lo, s2
	s_cbranch_vccnz .LBB216_35
; %bb.3:
	s_load_b32 s33, s[0:1], 0x68
	s_bfe_u32 s2, ttmp6, 0x40014
	s_lshr_b32 s4, ttmp7, 16
	s_add_co_i32 s2, s2, 1
	s_wait_xcnt 0x0
	s_bfe_u32 s10, ttmp6, 0x40008
	s_mul_i32 s5, s4, s2
	s_getreg_b32 s2, hwreg(HW_REG_IB_STS2, 6, 4)
	s_add_co_i32 s10, s10, s5
	s_cmp_eq_u32 s2, 0
	s_mov_b32 s11, 0
	s_cselect_b32 s10, s4, s10
	s_wait_kmcnt 0x0
	s_cmp_ge_u32 s10, s33
	s_cbranch_scc1 .LBB216_35
; %bb.4:
	v_and_b32_e32 v7, 0x3ff, v0
	v_bfe_u32 v9, v0, 10, 10
	s_bfe_u32 s4, ttmp6, 0x4000c
	s_bfe_u32 s34, ttmp6, 0x40010
	s_add_co_i32 s4, s4, 1
	s_and_b32 s35, ttmp7, 0xffff
	s_add_co_i32 s34, s34, 1
	v_lshl_add_u32 v8, v9, 4, v7
	s_and_b32 s5, ttmp6, 15
	s_mul_i32 s4, ttmp9, s4
	s_mul_i32 s34, s35, s34
	s_bfe_u32 s36, ttmp6, 0x40004
	s_add_co_i32 s5, s5, s4
	s_add_co_i32 s36, s36, s34
	s_cmp_eq_u32 s2, 0
	v_lshrrev_b32_e32 v10, 3, v8
	s_cselect_b32 s2, s35, s36
	s_cselect_b32 s4, ttmp9, s5
	s_lshl_b32 s2, s2, 5
	s_delay_alu instid0(VALU_DEP_1) | instid1(SALU_CYCLE_1)
	v_dual_add_nc_u32 v2, s2, v10 :: v_dual_bitop2_b32 v4, 7, v0 bitop3:0x40
	s_load_b32 s5, s[0:1], 0x0
	s_wait_xcnt 0x0
	s_lshl_b32 s0, s4, 5
	v_lshrrev_b32_e32 v6, 5, v8
	v_dual_lshlrev_b32 v11, 3, v4 :: v_dual_lshlrev_b32 v5, 3, v7
	v_dual_ashrrev_i32 v3, 31, v2 :: v_dual_add_nc_u32 v20, s2, v9
	s_cmp_neq_f32 s24, 0
	s_delay_alu instid0(VALU_DEP_2) | instskip(SKIP_1) | instid1(VALU_DEP_3)
	v_lshl_or_b32 v11, v10, 6, v11
	v_cmp_gt_i64_e64 s34, s[8:9], 0
	v_mul_u64_e32 v[0:1], s[20:21], v[2:3]
	v_dual_add_nc_u32 v8, s0, v7 :: v_dual_bitop2_b32 v3, 31, v8 bitop3:0x40
	v_dual_add_nc_u32 v22, 16, v20 :: v_dual_ashrrev_i32 v21, 31, v20
	s_cselect_b32 s2, -1, 0
	s_cmp_neq_f32 s25, 0
	s_delay_alu instid0(VALU_DEP_1) | instskip(NEXT) | instid1(VALU_DEP_2)
	v_dual_add_nc_u32 v10, 16, v8 :: v_dual_ashrrev_i32 v23, 31, v22
	v_mul_u64_e32 v[12:13], s[28:29], v[20:21]
	s_cselect_b32 s4, -1, 0
	v_dual_lshlrev_b32 v3, 3, v3 :: v_dual_bitop2_b32 v16, s0, v3 bitop3:0x54
	s_delay_alu instid0(VALU_DEP_3)
	v_mul_u64_e32 v[14:15], s[28:29], v[22:23]
	s_or_b32 s29, s2, s4
	s_cmp_neq_f32 s6, 0
	v_cmp_le_i32_e32 vcc_lo, v8, v20
	s_wait_kmcnt 0x0
	v_cmp_gt_i32_e64 s2, s5, v20
	v_ashrrev_i32_e32 v17, 31, v16
	s_cselect_b32 s4, -1, 0
	s_xor_b32 s3, s3, -1
	v_cmp_gt_i32_e64 s0, s5, v16
	v_cmp_gt_i32_e64 s1, s5, v2
	v_lshl_or_b32 v7, v6, 8, v3
	v_add_nc_u32_e32 v27, 0x800, v11
	v_lshl_add_u32 v29, v9, 6, 0x800
	v_dual_ashrrev_i32 v9, 31, v8 :: v_dual_mov_b32 v21, 0
	v_ashrrev_i32_e32 v11, 31, v10
	v_lshl_add_u64 v[16:17], v[16:17], 3, s[12:13]
	s_and_b32 s29, s29, s34
	v_lshl_add_u64 v[18:19], v[0:1], 3, s[18:19]
	s_or_b32 s18, s4, s3
	s_and_b32 s19, s2, vcc_lo
	v_cmp_le_i32_e32 vcc_lo, v10, v20
	v_cmp_gt_i32_e64 s3, s5, v22
	v_cmp_le_i32_e64 s4, v8, v22
	v_cmp_le_i32_e64 s5, v10, v22
	s_and_b32 s20, s2, vcc_lo
	s_mov_b32 s2, s6
	s_and_b32 s21, s3, s4
	s_and_b32 s28, s3, s5
	s_mov_b32 s3, s6
	s_mov_b32 s6, s7
	;; [unrolled: 1-line block ×4, first 2 shown]
	s_branch .LBB216_6
.LBB216_5:                              ;   in Loop: Header=BB216_6 Depth=1
	s_wait_xcnt 0x0
	s_or_b32 exec_lo, exec_lo, s12
	s_add_co_i32 s10, s10, 0x10000
	s_delay_alu instid0(SALU_CYCLE_1)
	s_cmp_lt_u32 s10, s33
	s_cbranch_scc0 .LBB216_35
.LBB216_6:                              ; =>This Loop Header: Depth=1
                                        ;     Child Loop BB216_9 Depth 2
	v_dual_mov_b32 v38, v21 :: v_dual_mov_b32 v40, v21
	v_dual_mov_b32 v34, v21 :: v_dual_mov_b32 v36, v21
	;; [unrolled: 1-line block ×4, first 2 shown]
	s_and_not1_b32 vcc_lo, exec_lo, s29
	s_cbranch_vccnz .LBB216_15
; %bb.7:                                ;   in Loop: Header=BB216_6 Depth=1
	s_mul_u64 s[12:13], s[16:17], s[10:11]
	s_mul_u64 s[34:35], s[22:23], s[10:11]
	v_lshl_add_u64 v[22:23], s[12:13], 3, v[16:17]
	v_lshl_add_u64 v[24:25], s[34:35], 3, v[18:19]
	v_dual_mov_b32 v28, 0 :: v_dual_mov_b32 v26, 0
	v_dual_mov_b32 v32, 0 :: v_dual_mov_b32 v30, 0
	;; [unrolled: 1-line block ×4, first 2 shown]
	s_mov_b64 s[12:13], 0
	s_branch .LBB216_9
.LBB216_8:                              ;   in Loop: Header=BB216_9 Depth=2
	s_wait_xcnt 0x0
	s_or_b32 exec_lo, exec_lo, s34
	s_wait_loadcnt 0x0
	ds_store_b64 v27, v[2:3]
	s_wait_dscnt 0x0
	s_barrier_signal -1
	s_barrier_wait -1
	ds_load_b128 v[42:45], v29
	ds_load_b128 v[46:49], v29 offset:16
	ds_load_b128 v[50:53], v29 offset:32
	;; [unrolled: 1-line block ×3, first 2 shown]
	ds_load_2addr_b64 v[54:57], v5 offset1:16
	s_add_nc_u64 s[12:13], s[12:13], 8
	s_delay_alu instid0(SALU_CYCLE_1) | instskip(SKIP_3) | instid1(VALU_DEP_1)
	v_cmp_gt_i64_e64 s34, s[8:9], s[12:13]
	s_and_b32 vcc_lo, exec_lo, s34
	s_wait_dscnt 0x0
	v_dual_mul_f32 v20, v43, v55 :: v_dual_mul_f32 v31, v42, v55
	v_dual_mul_f32 v33, v42, v57 :: v_dual_fma_f32 v20, v42, v54, -v20
	s_delay_alu instid0(VALU_DEP_1) | instskip(NEXT) | instid1(VALU_DEP_1)
	v_dual_fmac_f32 v31, v43, v54 :: v_dual_fmac_f32 v33, v43, v56
	v_dual_add_f32 v20, v38, v20 :: v_dual_add_f32 v38, v40, v31
	v_mul_f32_e32 v31, v43, v57
	s_delay_alu instid0(VALU_DEP_1) | instskip(NEXT) | instid1(VALU_DEP_1)
	v_dual_add_f32 v40, v36, v33 :: v_dual_fma_f32 v31, v42, v56, -v31
	v_add_f32_e32 v39, v34, v31
	ds_load_b128 v[34:37], v29 offset:1024
	s_wait_dscnt 0x0
	v_dual_mul_f32 v31, v35, v55 :: v_dual_mul_f32 v33, v34, v55
	s_delay_alu instid0(VALU_DEP_1) | instskip(NEXT) | instid1(VALU_DEP_1)
	v_dual_fma_f32 v31, v34, v54, -v31 :: v_dual_fmac_f32 v33, v35, v54
	v_dual_add_f32 v41, v30, v31 :: v_dual_add_f32 v42, v32, v33
	v_dual_mul_f32 v30, v35, v57 :: v_dual_mul_f32 v31, v34, v57
	s_delay_alu instid0(VALU_DEP_1) | instskip(NEXT) | instid1(VALU_DEP_1)
	v_dual_fma_f32 v30, v34, v56, -v30 :: v_dual_fmac_f32 v31, v35, v56
	v_dual_add_f32 v26, v26, v30 :: v_dual_add_f32 v28, v28, v31
	ds_load_2addr_b64 v[30:33], v5 offset0:32 offset1:48
	s_wait_dscnt 0x0
	v_dual_mul_f32 v34, v45, v31 :: v_dual_mul_f32 v35, v44, v31
	s_delay_alu instid0(VALU_DEP_1) | instskip(NEXT) | instid1(VALU_DEP_1)
	v_dual_fma_f32 v34, v44, v30, -v34 :: v_dual_fmac_f32 v35, v45, v30
	v_dual_add_f32 v20, v20, v34 :: v_dual_add_f32 v34, v38, v35
	v_dual_mul_f32 v35, v45, v33 :: v_dual_mul_f32 v38, v44, v33
	s_delay_alu instid0(VALU_DEP_1) | instskip(NEXT) | instid1(VALU_DEP_1)
	v_dual_fma_f32 v35, v44, v32, -v35 :: v_dual_fmac_f32 v38, v45, v32
	v_dual_add_f32 v35, v39, v35 :: v_dual_add_f32 v38, v40, v38
	v_dual_mul_f32 v39, v37, v31 :: v_dual_mul_f32 v31, v36, v31
	s_delay_alu instid0(VALU_DEP_1) | instskip(NEXT) | instid1(VALU_DEP_2)
	v_fmac_f32_e32 v31, v37, v30
	v_dual_fma_f32 v39, v36, v30, -v39 :: v_dual_mul_f32 v30, v37, v33
	s_delay_alu instid0(VALU_DEP_2) | instskip(NEXT) | instid1(VALU_DEP_2)
	v_add_f32_e32 v40, v42, v31
	v_dual_add_f32 v39, v41, v39 :: v_dual_fma_f32 v30, v36, v32, -v30
	s_delay_alu instid0(VALU_DEP_1) | instskip(NEXT) | instid1(VALU_DEP_1)
	v_dual_mul_f32 v31, v36, v33 :: v_dual_add_f32 v26, v26, v30
	v_fmac_f32_e32 v31, v37, v32
	s_delay_alu instid0(VALU_DEP_1) | instskip(SKIP_3) | instid1(VALU_DEP_1)
	v_add_f32_e32 v28, v28, v31
	ds_load_2addr_b64 v[30:33], v5 offset0:64 offset1:80
	s_wait_dscnt 0x0
	v_mul_f32_e32 v36, v47, v31
	v_dual_fma_f32 v36, v46, v30, -v36 :: v_dual_mul_f32 v37, v46, v31
	s_delay_alu instid0(VALU_DEP_1) | instskip(SKIP_1) | instid1(VALU_DEP_2)
	v_dual_add_f32 v20, v20, v36 :: v_dual_fmac_f32 v37, v47, v30
	v_mul_f32_e32 v36, v46, v33
	v_add_f32_e32 v41, v34, v37
	v_mul_f32_e32 v34, v47, v33
	s_delay_alu instid0(VALU_DEP_1) | instskip(NEXT) | instid1(VALU_DEP_1)
	v_fma_f32 v34, v46, v32, -v34
	v_add_f32_e32 v42, v35, v34
	v_fmac_f32_e32 v36, v47, v32
	s_delay_alu instid0(VALU_DEP_1) | instskip(SKIP_3) | instid1(VALU_DEP_1)
	v_add_f32_e32 v38, v38, v36
	ds_load_b128 v[34:37], v29 offset:1040
	s_wait_dscnt 0x0
	v_dual_mul_f32 v43, v35, v31 :: v_dual_mul_f32 v31, v34, v31
	v_fma_f32 v43, v34, v30, -v43
	s_delay_alu instid0(VALU_DEP_2) | instskip(NEXT) | instid1(VALU_DEP_2)
	v_dual_fmac_f32 v31, v35, v30 :: v_dual_mul_f32 v30, v35, v33
	v_add_f32_e32 v39, v39, v43
	s_delay_alu instid0(VALU_DEP_2) | instskip(NEXT) | instid1(VALU_DEP_1)
	v_dual_add_f32 v40, v40, v31 :: v_dual_mul_f32 v31, v34, v33
	v_dual_fma_f32 v30, v34, v32, -v30 :: v_dual_fmac_f32 v31, v35, v32
	s_delay_alu instid0(VALU_DEP_1) | instskip(SKIP_3) | instid1(VALU_DEP_1)
	v_dual_add_f32 v26, v26, v30 :: v_dual_add_f32 v28, v28, v31
	ds_load_2addr_b64 v[30:33], v5 offset0:96 offset1:112
	s_wait_dscnt 0x0
	v_dual_mul_f32 v34, v49, v31 :: v_dual_mul_f32 v35, v48, v31
	v_dual_fma_f32 v34, v48, v30, -v34 :: v_dual_fmac_f32 v35, v49, v30
	s_delay_alu instid0(VALU_DEP_1) | instskip(SKIP_1) | instid1(VALU_DEP_1)
	v_dual_add_f32 v20, v20, v34 :: v_dual_add_f32 v34, v41, v35
	v_mul_f32_e32 v41, v48, v33
	v_fmac_f32_e32 v41, v49, v32
	s_delay_alu instid0(VALU_DEP_1) | instskip(SKIP_1) | instid1(VALU_DEP_2)
	v_dual_add_f32 v38, v38, v41 :: v_dual_mul_f32 v41, v37, v31
	v_dual_mul_f32 v35, v49, v33 :: v_dual_mul_f32 v31, v36, v31
	v_fma_f32 v41, v36, v30, -v41
	s_delay_alu instid0(VALU_DEP_2) | instskip(NEXT) | instid1(VALU_DEP_3)
	v_fma_f32 v35, v48, v32, -v35
	v_dual_fmac_f32 v31, v37, v30 :: v_dual_mul_f32 v30, v37, v33
	s_delay_alu instid0(VALU_DEP_2) | instskip(NEXT) | instid1(VALU_DEP_2)
	v_dual_add_f32 v39, v39, v41 :: v_dual_add_f32 v35, v42, v35
	v_add_f32_e32 v40, v40, v31
	s_delay_alu instid0(VALU_DEP_3) | instskip(NEXT) | instid1(VALU_DEP_1)
	v_dual_fma_f32 v30, v36, v32, -v30 :: v_dual_mul_f32 v31, v36, v33
	v_dual_fmac_f32 v31, v37, v32 :: v_dual_add_f32 v26, v26, v30
	s_delay_alu instid0(VALU_DEP_1) | instskip(SKIP_3) | instid1(VALU_DEP_1)
	v_add_f32_e32 v28, v28, v31
	ds_load_2addr_b64 v[30:33], v5 offset0:128 offset1:144
	s_wait_dscnt 0x0
	v_dual_mul_f32 v36, v51, v31 :: v_dual_mul_f32 v37, v50, v31
	v_dual_fma_f32 v36, v50, v30, -v36 :: v_dual_fmac_f32 v37, v51, v30
	s_delay_alu instid0(VALU_DEP_1) | instskip(SKIP_1) | instid1(VALU_DEP_1)
	v_dual_add_f32 v20, v20, v36 :: v_dual_add_f32 v41, v34, v37
	v_dual_mul_f32 v34, v51, v33 :: v_dual_mul_f32 v36, v50, v33
	v_dual_fma_f32 v34, v50, v32, -v34 :: v_dual_fmac_f32 v36, v51, v32
	s_delay_alu instid0(VALU_DEP_1) | instskip(SKIP_3) | instid1(VALU_DEP_1)
	v_dual_add_f32 v42, v35, v34 :: v_dual_add_f32 v38, v38, v36
	ds_load_b128 v[34:37], v29 offset:1056
	s_wait_dscnt 0x0
	v_dual_mul_f32 v43, v35, v31 :: v_dual_mul_f32 v31, v34, v31
	v_fmac_f32_e32 v31, v35, v30
	s_delay_alu instid0(VALU_DEP_2) | instskip(NEXT) | instid1(VALU_DEP_2)
	v_dual_fma_f32 v43, v34, v30, -v43 :: v_dual_mul_f32 v30, v35, v33
	v_dual_add_f32 v40, v40, v31 :: v_dual_mul_f32 v31, v34, v33
	s_delay_alu instid0(VALU_DEP_2) | instskip(NEXT) | instid1(VALU_DEP_1)
	v_dual_add_f32 v39, v39, v43 :: v_dual_fma_f32 v30, v34, v32, -v30
	v_dual_fmac_f32 v31, v35, v32 :: v_dual_add_f32 v26, v26, v30
	s_delay_alu instid0(VALU_DEP_1) | instskip(SKIP_3) | instid1(VALU_DEP_1)
	v_add_f32_e32 v28, v28, v31
	ds_load_2addr_b64 v[30:33], v5 offset0:160 offset1:176
	s_wait_dscnt 0x0
	v_dual_mul_f32 v34, v53, v31 :: v_dual_mul_f32 v35, v52, v31
	v_dual_fma_f32 v34, v52, v30, -v34 :: v_dual_fmac_f32 v35, v53, v30
	s_delay_alu instid0(VALU_DEP_1) | instskip(SKIP_1) | instid1(VALU_DEP_1)
	v_dual_add_f32 v20, v20, v34 :: v_dual_add_f32 v34, v41, v35
	v_mul_f32_e32 v41, v52, v33
	v_fmac_f32_e32 v41, v53, v32
	s_delay_alu instid0(VALU_DEP_1) | instskip(SKIP_1) | instid1(VALU_DEP_2)
	v_dual_add_f32 v38, v38, v41 :: v_dual_mul_f32 v41, v37, v31
	v_dual_mul_f32 v35, v53, v33 :: v_dual_mul_f32 v31, v36, v31
	v_fma_f32 v41, v36, v30, -v41
	s_delay_alu instid0(VALU_DEP_2) | instskip(NEXT) | instid1(VALU_DEP_3)
	v_fma_f32 v35, v52, v32, -v35
	v_dual_fmac_f32 v31, v37, v30 :: v_dual_mul_f32 v30, v37, v33
	s_delay_alu instid0(VALU_DEP_2) | instskip(NEXT) | instid1(VALU_DEP_2)
	v_dual_add_f32 v39, v39, v41 :: v_dual_add_f32 v35, v42, v35
	v_add_f32_e32 v44, v40, v31
	s_delay_alu instid0(VALU_DEP_3) | instskip(SKIP_2) | instid1(VALU_DEP_1)
	v_dual_fma_f32 v30, v36, v32, -v30 :: v_dual_mul_f32 v31, v36, v33
	ds_load_b128 v[40:43], v29 offset:1072
	v_dual_fmac_f32 v31, v37, v32 :: v_dual_add_f32 v26, v26, v30
	v_add_f32_e32 v28, v28, v31
	ds_load_2addr_b64 v[30:33], v5 offset0:192 offset1:208
	s_wait_dscnt 0x0
	v_dual_mul_f32 v36, v1, v31 :: v_dual_mul_f32 v37, v0, v31
	s_delay_alu instid0(VALU_DEP_1) | instskip(NEXT) | instid1(VALU_DEP_1)
	v_dual_fma_f32 v36, v0, v30, -v36 :: v_dual_fmac_f32 v37, v1, v30
	v_dual_add_f32 v20, v20, v36 :: v_dual_add_f32 v34, v34, v37
	v_mul_f32_e32 v36, v1, v33
	s_delay_alu instid0(VALU_DEP_1) | instskip(NEXT) | instid1(VALU_DEP_1)
	v_dual_fma_f32 v36, v0, v32, -v36 :: v_dual_mul_f32 v0, v0, v33
	v_fmac_f32_e32 v0, v1, v32
	s_delay_alu instid0(VALU_DEP_2) | instskip(NEXT) | instid1(VALU_DEP_1)
	v_dual_add_f32 v1, v35, v36 :: v_dual_mul_f32 v35, v41, v31
	v_dual_mul_f32 v31, v40, v31 :: v_dual_fma_f32 v35, v40, v30, -v35
	s_delay_alu instid0(VALU_DEP_1) | instskip(NEXT) | instid1(VALU_DEP_2)
	v_dual_add_f32 v0, v38, v0 :: v_dual_fmac_f32 v31, v41, v30
	v_dual_add_f32 v30, v39, v35 :: v_dual_mul_f32 v35, v41, v33
	v_mul_f32_e32 v33, v40, v33
	s_delay_alu instid0(VALU_DEP_3)
	v_add_f32_e32 v31, v44, v31
	ds_load_2addr_b64 v[44:47], v5 offset0:224 offset1:240
	s_wait_dscnt 0x0
	v_dual_fma_f32 v35, v40, v32, -v35 :: v_dual_fmac_f32 v33, v41, v32
	s_barrier_signal -1
	s_barrier_wait -1
	s_delay_alu instid0(VALU_DEP_1) | instskip(SKIP_1) | instid1(VALU_DEP_1)
	v_dual_add_f32 v26, v26, v35 :: v_dual_add_f32 v28, v28, v33
	v_dual_mul_f32 v32, v3, v45 :: v_dual_mul_f32 v33, v2, v45
	v_dual_fma_f32 v32, v2, v44, -v32 :: v_dual_fmac_f32 v33, v3, v44
	s_delay_alu instid0(VALU_DEP_1) | instskip(SKIP_1) | instid1(VALU_DEP_1)
	v_dual_add_f32 v38, v20, v32 :: v_dual_add_f32 v40, v34, v33
	v_mul_f32_e32 v20, v3, v47
	v_dual_fma_f32 v20, v2, v46, -v20 :: v_dual_mul_f32 v2, v2, v47
	s_delay_alu instid0(VALU_DEP_1) | instskip(NEXT) | instid1(VALU_DEP_1)
	v_dual_fmac_f32 v2, v3, v46 :: v_dual_add_f32 v34, v1, v20
	v_dual_mul_f32 v1, v42, v45 :: v_dual_add_f32 v36, v0, v2
	s_delay_alu instid0(VALU_DEP_1) | instskip(NEXT) | instid1(VALU_DEP_1)
	v_dual_mul_f32 v0, v43, v45 :: v_dual_fmac_f32 v1, v43, v44
	v_dual_fma_f32 v0, v42, v44, -v0 :: v_dual_add_f32 v32, v31, v1
	v_mul_f32_e32 v1, v42, v47
	s_delay_alu instid0(VALU_DEP_2) | instskip(NEXT) | instid1(VALU_DEP_1)
	v_dual_add_f32 v30, v30, v0 :: v_dual_mul_f32 v0, v43, v47
	v_dual_fmac_f32 v1, v43, v46 :: v_dual_fma_f32 v0, v42, v46, -v0
	s_delay_alu instid0(VALU_DEP_1)
	v_dual_add_f32 v28, v28, v1 :: v_dual_add_f32 v26, v26, v0
	s_cbranch_vccz .LBB216_15
.LBB216_9:                              ;   Parent Loop BB216_6 Depth=1
                                        ; =>  This Inner Loop Header: Depth=2
	v_dual_mov_b32 v0, 0 :: v_dual_mov_b32 v1, 0
	s_and_saveexec_b32 s34, s0
	s_cbranch_execz .LBB216_13
; %bb.10:                               ;   in Loop: Header=BB216_9 Depth=2
	v_dual_mov_b32 v1, 0 :: v_dual_add_nc_u32 v20, s12, v6
	v_mov_b32_e32 v0, 0
	s_mov_b32 s35, exec_lo
	s_delay_alu instid0(VALU_DEP_2)
	v_cmpx_gt_u64_e64 s[8:9], v[20:21]
	s_cbranch_execz .LBB216_12
; %bb.11:                               ;   in Loop: Header=BB216_9 Depth=2
	v_mul_u64_e32 v[0:1], s[14:15], v[20:21]
	s_delay_alu instid0(VALU_DEP_1)
	v_lshl_add_u64 v[0:1], v[0:1], 3, v[22:23]
	global_load_b64 v[0:1], v[0:1], off
.LBB216_12:                             ;   in Loop: Header=BB216_9 Depth=2
	s_wait_xcnt 0x0
	s_or_b32 exec_lo, exec_lo, s35
.LBB216_13:                             ;   in Loop: Header=BB216_9 Depth=2
	s_delay_alu instid0(SALU_CYCLE_1)
	s_or_b32 exec_lo, exec_lo, s34
	v_dual_add_nc_u32 v20, s12, v4 :: v_dual_mov_b32 v2, 0
	v_mov_b32_e32 v3, 0
	s_wait_loadcnt 0x0
	ds_store_b64 v7, v[0:1]
	v_cmp_gt_u64_e32 vcc_lo, s[8:9], v[20:21]
	s_and_b32 s35, vcc_lo, s1
	s_delay_alu instid0(SALU_CYCLE_1)
	s_and_saveexec_b32 s34, s35
	s_cbranch_execz .LBB216_8
; %bb.14:                               ;   in Loop: Header=BB216_9 Depth=2
	v_lshl_add_u64 v[0:1], v[20:21], 3, v[24:25]
	global_load_b64 v[2:3], v[0:1], off
	s_branch .LBB216_8
.LBB216_15:                             ;   in Loop: Header=BB216_6 Depth=1
	s_mul_u64 s[12:13], s[30:31], s[10:11]
	s_delay_alu instid0(SALU_CYCLE_1) | instskip(NEXT) | instid1(SALU_CYCLE_1)
	s_lshl_b64 s[12:13], s[12:13], 3
	s_add_nc_u64 s[12:13], s[26:27], s[12:13]
	s_delay_alu instid0(SALU_CYCLE_1)
	v_lshl_add_u64 v[0:1], v[12:13], 3, s[12:13]
	s_and_saveexec_b32 s34, s19
	s_cbranch_execz .LBB216_20
; %bb.16:                               ;   in Loop: Header=BB216_6 Depth=1
	v_mov_b64_e32 v[2:3], s[4:5]
	v_mov_b64_e32 v[22:23], s[24:25]
	s_and_b32 vcc_lo, exec_lo, s18
	s_mov_b32 s35, -1
	s_delay_alu instid0(VALU_DEP_2) | instskip(NEXT) | instid1(VALU_DEP_1)
	v_pk_mul_f32 v[2:3], v[40:41], v[2:3] op_sel_hi:[0,1]
	v_pk_fma_f32 v[24:25], v[38:39], v[22:23], v[2:3] op_sel_hi:[0,1,1]
	v_pk_fma_f32 v[2:3], v[38:39], v[22:23], v[2:3] neg_lo:[0,0,1] neg_hi:[0,0,1]
	v_lshl_add_u64 v[22:23], v[8:9], 3, v[0:1]
	s_delay_alu instid0(VALU_DEP_3)
	v_mov_b32_e32 v3, v25
	s_cbranch_vccz .LBB216_18
; %bb.17:                               ;   in Loop: Header=BB216_6 Depth=1
	global_load_b64 v[24:25], v[22:23], off
	v_mov_b64_e32 v[38:39], s[6:7]
	v_mov_b64_e32 v[40:41], s[2:3]
	s_mov_b32 s35, 0
	s_wait_loadcnt 0x0
	s_delay_alu instid0(VALU_DEP_2) | instskip(NEXT) | instid1(VALU_DEP_1)
	v_pk_mul_f32 v[38:39], v[24:25], v[38:39]
	v_pk_fma_f32 v[42:43], v[24:25], v[40:41], v[38:39] op_sel:[0,0,1] op_sel_hi:[1,1,0]
	v_pk_fma_f32 v[24:25], v[24:25], v[40:41], v[38:39] op_sel:[0,0,1] op_sel_hi:[1,1,0] neg_lo:[0,0,1] neg_hi:[0,0,1]
	s_delay_alu instid0(VALU_DEP_2) | instskip(NEXT) | instid1(VALU_DEP_1)
	v_mov_b32_e32 v25, v43
	v_pk_add_f32 v[24:25], v[2:3], v[24:25]
	global_store_b64 v[22:23], v[24:25], off
.LBB216_18:                             ;   in Loop: Header=BB216_6 Depth=1
	s_and_not1_b32 vcc_lo, exec_lo, s35
	s_cbranch_vccnz .LBB216_20
; %bb.19:                               ;   in Loop: Header=BB216_6 Depth=1
	global_store_b64 v[22:23], v[2:3], off
.LBB216_20:                             ;   in Loop: Header=BB216_6 Depth=1
	s_wait_xcnt 0x0
	s_or_b32 exec_lo, exec_lo, s34
	s_and_saveexec_b32 s34, s20
	s_cbranch_execz .LBB216_25
; %bb.21:                               ;   in Loop: Header=BB216_6 Depth=1
	v_mov_b64_e32 v[2:3], s[4:5]
	v_mov_b64_e32 v[22:23], s[24:25]
	v_lshl_add_u64 v[0:1], v[10:11], 3, v[0:1]
	s_and_not1_b32 vcc_lo, exec_lo, s18
	s_mov_b32 s35, -1
	s_delay_alu instid0(VALU_DEP_3) | instskip(NEXT) | instid1(VALU_DEP_1)
	v_pk_mul_f32 v[2:3], v[36:37], v[2:3] op_sel_hi:[0,1]
	v_pk_fma_f32 v[24:25], v[34:35], v[22:23], v[2:3] op_sel_hi:[0,1,1]
	v_pk_fma_f32 v[2:3], v[34:35], v[22:23], v[2:3] neg_lo:[0,0,1] neg_hi:[0,0,1]
	s_delay_alu instid0(VALU_DEP_2)
	v_mov_b32_e32 v3, v25
	s_cbranch_vccnz .LBB216_23
; %bb.22:                               ;   in Loop: Header=BB216_6 Depth=1
	global_load_b64 v[22:23], v[0:1], off
	v_mov_b64_e32 v[24:25], s[6:7]
	v_mov_b64_e32 v[34:35], s[2:3]
	s_mov_b32 s35, 0
	s_wait_loadcnt 0x0
	s_delay_alu instid0(VALU_DEP_2) | instskip(NEXT) | instid1(VALU_DEP_1)
	v_pk_mul_f32 v[24:25], v[22:23], v[24:25]
	v_pk_fma_f32 v[36:37], v[22:23], v[34:35], v[24:25] op_sel:[0,0,1] op_sel_hi:[1,1,0]
	v_pk_fma_f32 v[22:23], v[22:23], v[34:35], v[24:25] op_sel:[0,0,1] op_sel_hi:[1,1,0] neg_lo:[0,0,1] neg_hi:[0,0,1]
	s_delay_alu instid0(VALU_DEP_2) | instskip(NEXT) | instid1(VALU_DEP_1)
	v_mov_b32_e32 v23, v37
	v_pk_add_f32 v[22:23], v[2:3], v[22:23]
	global_store_b64 v[0:1], v[22:23], off
.LBB216_23:                             ;   in Loop: Header=BB216_6 Depth=1
	s_and_not1_b32 vcc_lo, exec_lo, s35
	s_cbranch_vccnz .LBB216_25
; %bb.24:                               ;   in Loop: Header=BB216_6 Depth=1
	global_store_b64 v[0:1], v[2:3], off
.LBB216_25:                             ;   in Loop: Header=BB216_6 Depth=1
	s_wait_xcnt 0x0
	s_or_b32 exec_lo, exec_lo, s34
	v_lshl_add_u64 v[0:1], v[14:15], 3, s[12:13]
	s_and_saveexec_b32 s12, s21
	s_cbranch_execz .LBB216_30
; %bb.26:                               ;   in Loop: Header=BB216_6 Depth=1
	v_mov_b64_e32 v[2:3], s[4:5]
	v_mov_b64_e32 v[22:23], s[24:25]
	s_and_not1_b32 vcc_lo, exec_lo, s18
	s_mov_b32 s13, -1
	s_delay_alu instid0(VALU_DEP_2) | instskip(NEXT) | instid1(VALU_DEP_1)
	v_pk_mul_f32 v[2:3], v[32:33], v[2:3] op_sel_hi:[0,1]
	v_pk_fma_f32 v[24:25], v[30:31], v[22:23], v[2:3] op_sel_hi:[0,1,1]
	v_pk_fma_f32 v[2:3], v[30:31], v[22:23], v[2:3] neg_lo:[0,0,1] neg_hi:[0,0,1]
	v_lshl_add_u64 v[22:23], v[8:9], 3, v[0:1]
	s_delay_alu instid0(VALU_DEP_3)
	v_mov_b32_e32 v3, v25
	s_cbranch_vccnz .LBB216_28
; %bb.27:                               ;   in Loop: Header=BB216_6 Depth=1
	global_load_b64 v[24:25], v[22:23], off
	v_mov_b64_e32 v[30:31], s[6:7]
	v_mov_b64_e32 v[32:33], s[2:3]
	s_mov_b32 s13, 0
	s_wait_loadcnt 0x0
	s_delay_alu instid0(VALU_DEP_2) | instskip(NEXT) | instid1(VALU_DEP_1)
	v_pk_mul_f32 v[30:31], v[24:25], v[30:31]
	v_pk_fma_f32 v[34:35], v[24:25], v[32:33], v[30:31] op_sel:[0,0,1] op_sel_hi:[1,1,0]
	v_pk_fma_f32 v[24:25], v[24:25], v[32:33], v[30:31] op_sel:[0,0,1] op_sel_hi:[1,1,0] neg_lo:[0,0,1] neg_hi:[0,0,1]
	s_delay_alu instid0(VALU_DEP_2) | instskip(NEXT) | instid1(VALU_DEP_1)
	v_mov_b32_e32 v25, v35
	v_pk_add_f32 v[24:25], v[2:3], v[24:25]
	global_store_b64 v[22:23], v[24:25], off
.LBB216_28:                             ;   in Loop: Header=BB216_6 Depth=1
	s_and_not1_b32 vcc_lo, exec_lo, s13
	s_cbranch_vccnz .LBB216_30
; %bb.29:                               ;   in Loop: Header=BB216_6 Depth=1
	global_store_b64 v[22:23], v[2:3], off
.LBB216_30:                             ;   in Loop: Header=BB216_6 Depth=1
	s_wait_xcnt 0x0
	s_or_b32 exec_lo, exec_lo, s12
	s_and_saveexec_b32 s12, s28
	s_cbranch_execz .LBB216_5
; %bb.31:                               ;   in Loop: Header=BB216_6 Depth=1
	v_mov_b64_e32 v[2:3], s[4:5]
	v_mov_b64_e32 v[22:23], s[24:25]
	v_lshl_add_u64 v[0:1], v[10:11], 3, v[0:1]
	s_and_not1_b32 vcc_lo, exec_lo, s18
	s_mov_b32 s13, -1
	s_delay_alu instid0(VALU_DEP_3) | instskip(NEXT) | instid1(VALU_DEP_1)
	v_pk_mul_f32 v[2:3], v[28:29], v[2:3] op_sel_hi:[0,1]
	v_pk_fma_f32 v[24:25], v[26:27], v[22:23], v[2:3] op_sel_hi:[0,1,1]
	v_pk_fma_f32 v[2:3], v[26:27], v[22:23], v[2:3] neg_lo:[0,0,1] neg_hi:[0,0,1]
	s_delay_alu instid0(VALU_DEP_2)
	v_mov_b32_e32 v3, v25
	s_cbranch_vccnz .LBB216_33
; %bb.32:                               ;   in Loop: Header=BB216_6 Depth=1
	global_load_b64 v[22:23], v[0:1], off
	v_mov_b64_e32 v[24:25], s[6:7]
	v_mov_b64_e32 v[30:31], s[2:3]
	s_mov_b32 s13, 0
	s_wait_loadcnt 0x0
	s_delay_alu instid0(VALU_DEP_2) | instskip(NEXT) | instid1(VALU_DEP_1)
	v_pk_mul_f32 v[24:25], v[22:23], v[24:25]
	v_pk_fma_f32 v[32:33], v[22:23], v[30:31], v[24:25] op_sel:[0,0,1] op_sel_hi:[1,1,0]
	v_pk_fma_f32 v[22:23], v[22:23], v[30:31], v[24:25] op_sel:[0,0,1] op_sel_hi:[1,1,0] neg_lo:[0,0,1] neg_hi:[0,0,1]
	s_delay_alu instid0(VALU_DEP_2) | instskip(NEXT) | instid1(VALU_DEP_1)
	v_mov_b32_e32 v23, v33
	v_pk_add_f32 v[22:23], v[2:3], v[22:23]
	global_store_b64 v[0:1], v[22:23], off
.LBB216_33:                             ;   in Loop: Header=BB216_6 Depth=1
	s_and_not1_b32 vcc_lo, exec_lo, s13
	s_cbranch_vccnz .LBB216_5
; %bb.34:                               ;   in Loop: Header=BB216_6 Depth=1
	global_store_b64 v[0:1], v[2:3], off
	s_branch .LBB216_5
.LBB216_35:
	s_endpgm
	.section	.rodata,"a",@progbits
	.p2align	6, 0x0
	.amdhsa_kernel _ZL29rocblas_internal_gemmt_kernelIlLi16ELi32ELi8ELc78ELc78ELc85ELb0ELb0E19rocblas_complex_numIfEPKS1_S3_PS1_EviT_T9_T10_S5_lS7_S5_lS6_T11_S5_li
		.amdhsa_group_segment_fixed_size 4096
		.amdhsa_private_segment_fixed_size 0
		.amdhsa_kernarg_size 108
		.amdhsa_user_sgpr_count 2
		.amdhsa_user_sgpr_dispatch_ptr 0
		.amdhsa_user_sgpr_queue_ptr 0
		.amdhsa_user_sgpr_kernarg_segment_ptr 1
		.amdhsa_user_sgpr_dispatch_id 0
		.amdhsa_user_sgpr_kernarg_preload_length 0
		.amdhsa_user_sgpr_kernarg_preload_offset 0
		.amdhsa_user_sgpr_private_segment_size 0
		.amdhsa_wavefront_size32 1
		.amdhsa_uses_dynamic_stack 0
		.amdhsa_enable_private_segment 0
		.amdhsa_system_sgpr_workgroup_id_x 1
		.amdhsa_system_sgpr_workgroup_id_y 1
		.amdhsa_system_sgpr_workgroup_id_z 1
		.amdhsa_system_sgpr_workgroup_info 0
		.amdhsa_system_vgpr_workitem_id 1
		.amdhsa_next_free_vgpr 58
		.amdhsa_next_free_sgpr 37
		.amdhsa_named_barrier_count 0
		.amdhsa_reserve_vcc 1
		.amdhsa_float_round_mode_32 0
		.amdhsa_float_round_mode_16_64 0
		.amdhsa_float_denorm_mode_32 3
		.amdhsa_float_denorm_mode_16_64 3
		.amdhsa_fp16_overflow 0
		.amdhsa_memory_ordered 1
		.amdhsa_forward_progress 1
		.amdhsa_inst_pref_size 25
		.amdhsa_round_robin_scheduling 0
		.amdhsa_exception_fp_ieee_invalid_op 0
		.amdhsa_exception_fp_denorm_src 0
		.amdhsa_exception_fp_ieee_div_zero 0
		.amdhsa_exception_fp_ieee_overflow 0
		.amdhsa_exception_fp_ieee_underflow 0
		.amdhsa_exception_fp_ieee_inexact 0
		.amdhsa_exception_int_div_zero 0
	.end_amdhsa_kernel
	.section	.text._ZL29rocblas_internal_gemmt_kernelIlLi16ELi32ELi8ELc78ELc78ELc85ELb0ELb0E19rocblas_complex_numIfEPKS1_S3_PS1_EviT_T9_T10_S5_lS7_S5_lS6_T11_S5_li,"axG",@progbits,_ZL29rocblas_internal_gemmt_kernelIlLi16ELi32ELi8ELc78ELc78ELc85ELb0ELb0E19rocblas_complex_numIfEPKS1_S3_PS1_EviT_T9_T10_S5_lS7_S5_lS6_T11_S5_li,comdat
.Lfunc_end216:
	.size	_ZL29rocblas_internal_gemmt_kernelIlLi16ELi32ELi8ELc78ELc78ELc85ELb0ELb0E19rocblas_complex_numIfEPKS1_S3_PS1_EviT_T9_T10_S5_lS7_S5_lS6_T11_S5_li, .Lfunc_end216-_ZL29rocblas_internal_gemmt_kernelIlLi16ELi32ELi8ELc78ELc78ELc85ELb0ELb0E19rocblas_complex_numIfEPKS1_S3_PS1_EviT_T9_T10_S5_lS7_S5_lS6_T11_S5_li
                                        ; -- End function
	.set _ZL29rocblas_internal_gemmt_kernelIlLi16ELi32ELi8ELc78ELc78ELc85ELb0ELb0E19rocblas_complex_numIfEPKS1_S3_PS1_EviT_T9_T10_S5_lS7_S5_lS6_T11_S5_li.num_vgpr, 58
	.set _ZL29rocblas_internal_gemmt_kernelIlLi16ELi32ELi8ELc78ELc78ELc85ELb0ELb0E19rocblas_complex_numIfEPKS1_S3_PS1_EviT_T9_T10_S5_lS7_S5_lS6_T11_S5_li.num_agpr, 0
	.set _ZL29rocblas_internal_gemmt_kernelIlLi16ELi32ELi8ELc78ELc78ELc85ELb0ELb0E19rocblas_complex_numIfEPKS1_S3_PS1_EviT_T9_T10_S5_lS7_S5_lS6_T11_S5_li.numbered_sgpr, 37
	.set _ZL29rocblas_internal_gemmt_kernelIlLi16ELi32ELi8ELc78ELc78ELc85ELb0ELb0E19rocblas_complex_numIfEPKS1_S3_PS1_EviT_T9_T10_S5_lS7_S5_lS6_T11_S5_li.num_named_barrier, 0
	.set _ZL29rocblas_internal_gemmt_kernelIlLi16ELi32ELi8ELc78ELc78ELc85ELb0ELb0E19rocblas_complex_numIfEPKS1_S3_PS1_EviT_T9_T10_S5_lS7_S5_lS6_T11_S5_li.private_seg_size, 0
	.set _ZL29rocblas_internal_gemmt_kernelIlLi16ELi32ELi8ELc78ELc78ELc85ELb0ELb0E19rocblas_complex_numIfEPKS1_S3_PS1_EviT_T9_T10_S5_lS7_S5_lS6_T11_S5_li.uses_vcc, 1
	.set _ZL29rocblas_internal_gemmt_kernelIlLi16ELi32ELi8ELc78ELc78ELc85ELb0ELb0E19rocblas_complex_numIfEPKS1_S3_PS1_EviT_T9_T10_S5_lS7_S5_lS6_T11_S5_li.uses_flat_scratch, 0
	.set _ZL29rocblas_internal_gemmt_kernelIlLi16ELi32ELi8ELc78ELc78ELc85ELb0ELb0E19rocblas_complex_numIfEPKS1_S3_PS1_EviT_T9_T10_S5_lS7_S5_lS6_T11_S5_li.has_dyn_sized_stack, 0
	.set _ZL29rocblas_internal_gemmt_kernelIlLi16ELi32ELi8ELc78ELc78ELc85ELb0ELb0E19rocblas_complex_numIfEPKS1_S3_PS1_EviT_T9_T10_S5_lS7_S5_lS6_T11_S5_li.has_recursion, 0
	.set _ZL29rocblas_internal_gemmt_kernelIlLi16ELi32ELi8ELc78ELc78ELc85ELb0ELb0E19rocblas_complex_numIfEPKS1_S3_PS1_EviT_T9_T10_S5_lS7_S5_lS6_T11_S5_li.has_indirect_call, 0
	.section	.AMDGPU.csdata,"",@progbits
; Kernel info:
; codeLenInByte = 3172
; TotalNumSgprs: 39
; NumVgprs: 58
; ScratchSize: 0
; MemoryBound: 0
; FloatMode: 240
; IeeeMode: 1
; LDSByteSize: 4096 bytes/workgroup (compile time only)
; SGPRBlocks: 0
; VGPRBlocks: 3
; NumSGPRsForWavesPerEU: 39
; NumVGPRsForWavesPerEU: 58
; NamedBarCnt: 0
; Occupancy: 16
; WaveLimiterHint : 0
; COMPUTE_PGM_RSRC2:SCRATCH_EN: 0
; COMPUTE_PGM_RSRC2:USER_SGPR: 2
; COMPUTE_PGM_RSRC2:TRAP_HANDLER: 0
; COMPUTE_PGM_RSRC2:TGID_X_EN: 1
; COMPUTE_PGM_RSRC2:TGID_Y_EN: 1
; COMPUTE_PGM_RSRC2:TGID_Z_EN: 1
; COMPUTE_PGM_RSRC2:TIDIG_COMP_CNT: 1
	.section	.text._ZL29rocblas_internal_gemmt_kernelIlLi16ELi32ELi8ELc78ELc84ELc85ELb0ELb0E19rocblas_complex_numIfEPKS1_S3_PS1_EviT_T9_T10_S5_lS7_S5_lS6_T11_S5_li,"axG",@progbits,_ZL29rocblas_internal_gemmt_kernelIlLi16ELi32ELi8ELc78ELc84ELc85ELb0ELb0E19rocblas_complex_numIfEPKS1_S3_PS1_EviT_T9_T10_S5_lS7_S5_lS6_T11_S5_li,comdat
	.globl	_ZL29rocblas_internal_gemmt_kernelIlLi16ELi32ELi8ELc78ELc84ELc85ELb0ELb0E19rocblas_complex_numIfEPKS1_S3_PS1_EviT_T9_T10_S5_lS7_S5_lS6_T11_S5_li ; -- Begin function _ZL29rocblas_internal_gemmt_kernelIlLi16ELi32ELi8ELc78ELc84ELc85ELb0ELb0E19rocblas_complex_numIfEPKS1_S3_PS1_EviT_T9_T10_S5_lS7_S5_lS6_T11_S5_li
	.p2align	8
	.type	_ZL29rocblas_internal_gemmt_kernelIlLi16ELi32ELi8ELc78ELc84ELc85ELb0ELb0E19rocblas_complex_numIfEPKS1_S3_PS1_EviT_T9_T10_S5_lS7_S5_lS6_T11_S5_li,@function
_ZL29rocblas_internal_gemmt_kernelIlLi16ELi32ELi8ELc78ELc84ELc85ELb0ELb0E19rocblas_complex_numIfEPKS1_S3_PS1_EviT_T9_T10_S5_lS7_S5_lS6_T11_S5_li: ; @_ZL29rocblas_internal_gemmt_kernelIlLi16ELi32ELi8ELc78ELc84ELc85ELb0ELb0E19rocblas_complex_numIfEPKS1_S3_PS1_EviT_T9_T10_S5_lS7_S5_lS6_T11_S5_li
; %bb.0:
	s_load_b256 s[24:31], s[0:1], 0x48
	s_wait_kmcnt 0x0
	s_load_b64 s[6:7], s[24:25], 0x0
	s_load_b512 s[8:23], s[0:1], 0x8
	s_wait_kmcnt 0x0
	s_cmp_neq_f32 s6, 1.0
	s_load_b64 s[24:25], s[10:11], 0x0
	s_cselect_b32 s2, -1, 0
	s_and_b32 s4, s7, 0x7fffffff
	s_delay_alu instid0(SALU_CYCLE_1) | instskip(SKIP_3) | instid1(SALU_CYCLE_1)
	s_cmp_eq_u32 s4, 0
	s_cselect_b32 s3, -1, 0
	s_cmp_lg_u32 s4, 0
	s_cselect_b32 s4, -1, 0
	s_or_b32 s2, s2, s4
	s_delay_alu instid0(SALU_CYCLE_1)
	s_and_b32 vcc_lo, exec_lo, s2
	s_cbranch_vccnz .LBB217_2
; %bb.1:
	s_cmp_lg_u64 s[8:9], 0
	s_cselect_b32 s2, -1, 0
	s_wait_kmcnt 0x0
	s_cmp_neq_f32 s24, 0
	s_cselect_b32 s4, -1, 0
	s_cmp_neq_f32 s25, 0
	s_cselect_b32 s5, -1, 0
	s_delay_alu instid0(SALU_CYCLE_1) | instskip(NEXT) | instid1(SALU_CYCLE_1)
	s_or_b32 s4, s4, s5
	s_and_b32 s2, s2, s4
.LBB217_2:
	s_delay_alu instid0(SALU_CYCLE_1)
	s_and_not1_b32 vcc_lo, exec_lo, s2
	s_cbranch_vccnz .LBB217_35
; %bb.3:
	s_load_b32 s33, s[0:1], 0x68
	s_bfe_u32 s2, ttmp6, 0x40014
	s_lshr_b32 s4, ttmp7, 16
	s_add_co_i32 s2, s2, 1
	s_wait_xcnt 0x0
	s_bfe_u32 s10, ttmp6, 0x40008
	s_mul_i32 s5, s4, s2
	s_getreg_b32 s2, hwreg(HW_REG_IB_STS2, 6, 4)
	s_add_co_i32 s10, s10, s5
	s_cmp_eq_u32 s2, 0
	s_mov_b32 s11, 0
	s_cselect_b32 s10, s4, s10
	s_wait_kmcnt 0x0
	s_cmp_ge_u32 s10, s33
	s_cbranch_scc1 .LBB217_35
; %bb.4:
	s_bfe_u32 s4, ttmp6, 0x4000c
	s_bfe_u32 s34, ttmp6, 0x40010
	s_add_co_i32 s4, s4, 1
	s_and_b32 s35, ttmp7, 0xffff
	s_add_co_i32 s34, s34, 1
	v_and_b32_e32 v15, 0x3ff, v0
	v_bfe_u32 v19, v0, 10, 10
	s_and_b32 s5, ttmp6, 15
	s_mul_i32 s4, ttmp9, s4
	s_mul_i32 s34, s35, s34
	s_bfe_u32 s36, ttmp6, 0x40004
	s_add_co_i32 s5, s5, s4
	s_add_co_i32 s36, s36, s34
	s_cmp_eq_u32 s2, 0
	v_lshl_add_u32 v1, v19, 4, v15
	s_load_b32 s4, s[0:1], 0x0
	s_wait_xcnt 0x0
	s_cselect_b32 s0, ttmp9, s5
	s_cselect_b32 s1, s35, s36
	s_lshl_b32 s2, s0, 5
	s_lshl_b32 s0, s1, 5
	v_dual_lshrrev_b32 v3, 3, v1 :: v_dual_bitop2_b32 v5, 31, v1 bitop3:0x40
	v_dual_add_nc_u32 v20, s0, v19 :: v_dual_lshrrev_b32 v4, 5, v1
	v_dual_add_nc_u32 v14, s2, v15 :: v_dual_bitop2_b32 v6, 7, v0 bitop3:0x40
	s_delay_alu instid0(VALU_DEP_3) | instskip(NEXT) | instid1(VALU_DEP_3)
	v_dual_add_nc_u32 v2, s0, v3 :: v_dual_bitop2_b32 v0, s2, v5 bitop3:0x54
	v_dual_lshlrev_b32 v5, 3, v5 :: v_dual_add_nc_u32 v22, 16, v20
	v_ashrrev_i32_e32 v21, 31, v20
	s_cmp_neq_f32 s24, 0
	s_delay_alu instid0(VALU_DEP_3) | instskip(NEXT) | instid1(VALU_DEP_3)
	v_dual_ashrrev_i32 v1, 31, v0 :: v_dual_lshlrev_b32 v7, 3, v6
	v_ashrrev_i32_e32 v23, 31, v22
	s_delay_alu instid0(VALU_DEP_3)
	v_mul_u64_e32 v[10:11], s[28:29], v[20:21]
	s_cselect_b32 s1, -1, 0
	s_cmp_neq_f32 s25, 0
	s_wait_kmcnt 0x0
	v_cmp_gt_i32_e64 s0, s4, v0
	v_mul_u64_e32 v[12:13], s[28:29], v[22:23]
	v_lshl_add_u64 v[8:9], v[0:1], 3, s[12:13]
	s_cselect_b32 s5, -1, 0
	v_lshl_or_b32 v0, v3, 6, v7
	s_or_b32 s35, s1, s5
	s_cmp_neq_f32 s6, 0
	v_dual_ashrrev_i32 v3, 31, v2 :: v_dual_lshlrev_b32 v27, 3, v15
	v_cmp_gt_i32_e32 vcc_lo, s4, v20
	v_cmp_le_i32_e64 s2, v14, v20
	v_dual_add_nc_u32 v18, 16, v14 :: v_dual_ashrrev_i32 v15, 31, v14
	v_cmp_gt_i64_e64 s36, s[8:9], 0
	s_cselect_b32 s5, -1, 0
	s_xor_b32 s3, s3, -1
	v_cmp_gt_i32_e64 s1, s4, v2
	v_lshl_add_u64 v[16:17], v[2:3], 3, s[18:19]
	s_or_b32 s18, s5, s3
	s_and_b32 s19, vcc_lo, s2
	v_cmp_le_i32_e64 s2, v18, v20
	v_cmp_gt_i32_e64 s3, s4, v22
	v_cmp_le_i32_e64 s4, v14, v22
	v_cmp_le_i32_e64 s5, v18, v22
	v_lshl_or_b32 v5, v4, 8, v5
	v_add_nc_u32_e32 v7, 0x800, v0
	v_lshl_add_u32 v29, v19, 6, 0x800
	v_dual_ashrrev_i32 v19, 31, v18 :: v_dual_mov_b32 v21, 0
	s_and_b32 s28, vcc_lo, s2
	s_and_b32 s29, s3, s4
	s_and_b32 s34, s3, s5
	s_mov_b32 s2, s6
	s_mov_b32 s3, s6
	s_and_b32 s35, s35, s36
	s_mov_b32 s6, s7
	s_mov_b32 s4, s25
	;; [unrolled: 1-line block ×3, first 2 shown]
	s_branch .LBB217_6
.LBB217_5:                              ;   in Loop: Header=BB217_6 Depth=1
	s_wait_xcnt 0x0
	s_or_b32 exec_lo, exec_lo, s12
	s_add_co_i32 s10, s10, 0x10000
	s_delay_alu instid0(SALU_CYCLE_1)
	s_cmp_lt_u32 s10, s33
	s_cbranch_scc0 .LBB217_35
.LBB217_6:                              ; =>This Loop Header: Depth=1
                                        ;     Child Loop BB217_9 Depth 2
	v_dual_mov_b32 v38, v21 :: v_dual_mov_b32 v40, v21
	v_dual_mov_b32 v34, v21 :: v_dual_mov_b32 v36, v21
	;; [unrolled: 1-line block ×4, first 2 shown]
	s_and_not1_b32 vcc_lo, exec_lo, s35
	s_cbranch_vccnz .LBB217_15
; %bb.7:                                ;   in Loop: Header=BB217_6 Depth=1
	s_mul_u64 s[12:13], s[16:17], s[10:11]
	s_mul_u64 s[36:37], s[22:23], s[10:11]
	v_lshl_add_u64 v[22:23], s[12:13], 3, v[8:9]
	v_lshl_add_u64 v[24:25], s[36:37], 3, v[16:17]
	v_dual_mov_b32 v28, 0 :: v_dual_mov_b32 v26, 0
	v_dual_mov_b32 v32, 0 :: v_dual_mov_b32 v30, 0
	;; [unrolled: 1-line block ×4, first 2 shown]
	s_mov_b64 s[12:13], 0
	s_branch .LBB217_9
.LBB217_8:                              ;   in Loop: Header=BB217_9 Depth=2
	s_wait_xcnt 0x0
	s_or_b32 exec_lo, exec_lo, s36
	s_wait_loadcnt 0x0
	ds_store_b64 v7, v[2:3]
	s_wait_dscnt 0x0
	s_barrier_signal -1
	s_barrier_wait -1
	ds_load_b128 v[42:45], v29
	ds_load_b128 v[46:49], v29 offset:16
	ds_load_b128 v[50:53], v29 offset:32
	ds_load_b128 v[0:3], v29 offset:48
	ds_load_2addr_b64 v[54:57], v27 offset1:16
	s_add_nc_u64 s[12:13], s[12:13], 8
	s_delay_alu instid0(SALU_CYCLE_1) | instskip(SKIP_3) | instid1(VALU_DEP_1)
	v_cmp_gt_i64_e64 s36, s[8:9], s[12:13]
	s_and_b32 vcc_lo, exec_lo, s36
	s_wait_dscnt 0x0
	v_dual_mul_f32 v20, v43, v55 :: v_dual_mul_f32 v31, v42, v55
	v_dual_mul_f32 v33, v42, v57 :: v_dual_fma_f32 v20, v42, v54, -v20
	s_delay_alu instid0(VALU_DEP_1) | instskip(NEXT) | instid1(VALU_DEP_1)
	v_dual_fmac_f32 v31, v43, v54 :: v_dual_fmac_f32 v33, v43, v56
	v_dual_add_f32 v20, v38, v20 :: v_dual_add_f32 v38, v40, v31
	v_mul_f32_e32 v31, v43, v57
	s_delay_alu instid0(VALU_DEP_1) | instskip(NEXT) | instid1(VALU_DEP_1)
	v_dual_add_f32 v40, v36, v33 :: v_dual_fma_f32 v31, v42, v56, -v31
	v_add_f32_e32 v39, v34, v31
	ds_load_b128 v[34:37], v29 offset:1024
	s_wait_dscnt 0x0
	v_dual_mul_f32 v31, v35, v55 :: v_dual_mul_f32 v33, v34, v55
	s_delay_alu instid0(VALU_DEP_1) | instskip(NEXT) | instid1(VALU_DEP_1)
	v_dual_fma_f32 v31, v34, v54, -v31 :: v_dual_fmac_f32 v33, v35, v54
	v_dual_add_f32 v41, v30, v31 :: v_dual_add_f32 v42, v32, v33
	v_dual_mul_f32 v30, v35, v57 :: v_dual_mul_f32 v31, v34, v57
	s_delay_alu instid0(VALU_DEP_1) | instskip(NEXT) | instid1(VALU_DEP_1)
	v_dual_fma_f32 v30, v34, v56, -v30 :: v_dual_fmac_f32 v31, v35, v56
	v_dual_add_f32 v26, v26, v30 :: v_dual_add_f32 v28, v28, v31
	ds_load_2addr_b64 v[30:33], v27 offset0:32 offset1:48
	s_wait_dscnt 0x0
	v_dual_mul_f32 v34, v45, v31 :: v_dual_mul_f32 v35, v44, v31
	s_delay_alu instid0(VALU_DEP_1) | instskip(NEXT) | instid1(VALU_DEP_1)
	v_dual_fma_f32 v34, v44, v30, -v34 :: v_dual_fmac_f32 v35, v45, v30
	v_dual_add_f32 v20, v20, v34 :: v_dual_add_f32 v34, v38, v35
	v_dual_mul_f32 v35, v45, v33 :: v_dual_mul_f32 v38, v44, v33
	s_delay_alu instid0(VALU_DEP_1) | instskip(NEXT) | instid1(VALU_DEP_1)
	v_dual_fma_f32 v35, v44, v32, -v35 :: v_dual_fmac_f32 v38, v45, v32
	v_dual_add_f32 v35, v39, v35 :: v_dual_add_f32 v38, v40, v38
	v_dual_mul_f32 v39, v37, v31 :: v_dual_mul_f32 v31, v36, v31
	s_delay_alu instid0(VALU_DEP_1) | instskip(NEXT) | instid1(VALU_DEP_2)
	v_fmac_f32_e32 v31, v37, v30
	v_dual_fma_f32 v39, v36, v30, -v39 :: v_dual_mul_f32 v30, v37, v33
	s_delay_alu instid0(VALU_DEP_2) | instskip(NEXT) | instid1(VALU_DEP_2)
	v_add_f32_e32 v40, v42, v31
	v_dual_add_f32 v39, v41, v39 :: v_dual_fma_f32 v30, v36, v32, -v30
	s_delay_alu instid0(VALU_DEP_1) | instskip(NEXT) | instid1(VALU_DEP_1)
	v_dual_mul_f32 v31, v36, v33 :: v_dual_add_f32 v26, v26, v30
	v_fmac_f32_e32 v31, v37, v32
	s_delay_alu instid0(VALU_DEP_1) | instskip(SKIP_3) | instid1(VALU_DEP_1)
	v_add_f32_e32 v28, v28, v31
	ds_load_2addr_b64 v[30:33], v27 offset0:64 offset1:80
	s_wait_dscnt 0x0
	v_mul_f32_e32 v36, v47, v31
	v_dual_fma_f32 v36, v46, v30, -v36 :: v_dual_mul_f32 v37, v46, v31
	s_delay_alu instid0(VALU_DEP_1) | instskip(SKIP_1) | instid1(VALU_DEP_2)
	v_dual_add_f32 v20, v20, v36 :: v_dual_fmac_f32 v37, v47, v30
	v_mul_f32_e32 v36, v46, v33
	v_add_f32_e32 v41, v34, v37
	v_mul_f32_e32 v34, v47, v33
	s_delay_alu instid0(VALU_DEP_1) | instskip(NEXT) | instid1(VALU_DEP_1)
	v_fma_f32 v34, v46, v32, -v34
	v_add_f32_e32 v42, v35, v34
	v_fmac_f32_e32 v36, v47, v32
	s_delay_alu instid0(VALU_DEP_1) | instskip(SKIP_3) | instid1(VALU_DEP_1)
	v_add_f32_e32 v38, v38, v36
	ds_load_b128 v[34:37], v29 offset:1040
	s_wait_dscnt 0x0
	v_dual_mul_f32 v43, v35, v31 :: v_dual_mul_f32 v31, v34, v31
	v_fma_f32 v43, v34, v30, -v43
	s_delay_alu instid0(VALU_DEP_2) | instskip(NEXT) | instid1(VALU_DEP_2)
	v_dual_fmac_f32 v31, v35, v30 :: v_dual_mul_f32 v30, v35, v33
	v_add_f32_e32 v39, v39, v43
	s_delay_alu instid0(VALU_DEP_2) | instskip(NEXT) | instid1(VALU_DEP_1)
	v_dual_add_f32 v40, v40, v31 :: v_dual_mul_f32 v31, v34, v33
	v_dual_fma_f32 v30, v34, v32, -v30 :: v_dual_fmac_f32 v31, v35, v32
	s_delay_alu instid0(VALU_DEP_1) | instskip(SKIP_3) | instid1(VALU_DEP_1)
	v_dual_add_f32 v26, v26, v30 :: v_dual_add_f32 v28, v28, v31
	ds_load_2addr_b64 v[30:33], v27 offset0:96 offset1:112
	s_wait_dscnt 0x0
	v_dual_mul_f32 v34, v49, v31 :: v_dual_mul_f32 v35, v48, v31
	v_dual_fma_f32 v34, v48, v30, -v34 :: v_dual_fmac_f32 v35, v49, v30
	s_delay_alu instid0(VALU_DEP_1) | instskip(SKIP_1) | instid1(VALU_DEP_1)
	v_dual_add_f32 v20, v20, v34 :: v_dual_add_f32 v34, v41, v35
	v_mul_f32_e32 v41, v48, v33
	v_fmac_f32_e32 v41, v49, v32
	s_delay_alu instid0(VALU_DEP_1) | instskip(SKIP_1) | instid1(VALU_DEP_2)
	v_dual_add_f32 v38, v38, v41 :: v_dual_mul_f32 v41, v37, v31
	v_dual_mul_f32 v35, v49, v33 :: v_dual_mul_f32 v31, v36, v31
	v_fma_f32 v41, v36, v30, -v41
	s_delay_alu instid0(VALU_DEP_2) | instskip(NEXT) | instid1(VALU_DEP_3)
	v_fma_f32 v35, v48, v32, -v35
	v_dual_fmac_f32 v31, v37, v30 :: v_dual_mul_f32 v30, v37, v33
	s_delay_alu instid0(VALU_DEP_2) | instskip(NEXT) | instid1(VALU_DEP_2)
	v_dual_add_f32 v39, v39, v41 :: v_dual_add_f32 v35, v42, v35
	v_add_f32_e32 v40, v40, v31
	s_delay_alu instid0(VALU_DEP_3) | instskip(NEXT) | instid1(VALU_DEP_1)
	v_dual_fma_f32 v30, v36, v32, -v30 :: v_dual_mul_f32 v31, v36, v33
	v_dual_fmac_f32 v31, v37, v32 :: v_dual_add_f32 v26, v26, v30
	s_delay_alu instid0(VALU_DEP_1) | instskip(SKIP_3) | instid1(VALU_DEP_1)
	v_add_f32_e32 v28, v28, v31
	ds_load_2addr_b64 v[30:33], v27 offset0:128 offset1:144
	s_wait_dscnt 0x0
	v_dual_mul_f32 v36, v51, v31 :: v_dual_mul_f32 v37, v50, v31
	v_dual_fma_f32 v36, v50, v30, -v36 :: v_dual_fmac_f32 v37, v51, v30
	s_delay_alu instid0(VALU_DEP_1) | instskip(SKIP_1) | instid1(VALU_DEP_1)
	v_dual_add_f32 v20, v20, v36 :: v_dual_add_f32 v41, v34, v37
	v_dual_mul_f32 v34, v51, v33 :: v_dual_mul_f32 v36, v50, v33
	v_dual_fma_f32 v34, v50, v32, -v34 :: v_dual_fmac_f32 v36, v51, v32
	s_delay_alu instid0(VALU_DEP_1) | instskip(SKIP_3) | instid1(VALU_DEP_1)
	v_dual_add_f32 v42, v35, v34 :: v_dual_add_f32 v38, v38, v36
	ds_load_b128 v[34:37], v29 offset:1056
	s_wait_dscnt 0x0
	v_dual_mul_f32 v43, v35, v31 :: v_dual_mul_f32 v31, v34, v31
	v_fmac_f32_e32 v31, v35, v30
	s_delay_alu instid0(VALU_DEP_2) | instskip(NEXT) | instid1(VALU_DEP_2)
	v_dual_fma_f32 v43, v34, v30, -v43 :: v_dual_mul_f32 v30, v35, v33
	v_dual_add_f32 v40, v40, v31 :: v_dual_mul_f32 v31, v34, v33
	s_delay_alu instid0(VALU_DEP_2) | instskip(NEXT) | instid1(VALU_DEP_1)
	v_dual_add_f32 v39, v39, v43 :: v_dual_fma_f32 v30, v34, v32, -v30
	v_dual_fmac_f32 v31, v35, v32 :: v_dual_add_f32 v26, v26, v30
	s_delay_alu instid0(VALU_DEP_1) | instskip(SKIP_3) | instid1(VALU_DEP_1)
	v_add_f32_e32 v28, v28, v31
	ds_load_2addr_b64 v[30:33], v27 offset0:160 offset1:176
	s_wait_dscnt 0x0
	v_dual_mul_f32 v34, v53, v31 :: v_dual_mul_f32 v35, v52, v31
	v_dual_fma_f32 v34, v52, v30, -v34 :: v_dual_fmac_f32 v35, v53, v30
	s_delay_alu instid0(VALU_DEP_1) | instskip(SKIP_1) | instid1(VALU_DEP_1)
	v_dual_add_f32 v20, v20, v34 :: v_dual_add_f32 v34, v41, v35
	v_mul_f32_e32 v41, v52, v33
	v_fmac_f32_e32 v41, v53, v32
	s_delay_alu instid0(VALU_DEP_1) | instskip(SKIP_1) | instid1(VALU_DEP_2)
	v_dual_add_f32 v38, v38, v41 :: v_dual_mul_f32 v41, v37, v31
	v_dual_mul_f32 v35, v53, v33 :: v_dual_mul_f32 v31, v36, v31
	v_fma_f32 v41, v36, v30, -v41
	s_delay_alu instid0(VALU_DEP_2) | instskip(NEXT) | instid1(VALU_DEP_3)
	v_fma_f32 v35, v52, v32, -v35
	v_dual_fmac_f32 v31, v37, v30 :: v_dual_mul_f32 v30, v37, v33
	s_delay_alu instid0(VALU_DEP_2) | instskip(NEXT) | instid1(VALU_DEP_2)
	v_dual_add_f32 v39, v39, v41 :: v_dual_add_f32 v35, v42, v35
	v_add_f32_e32 v44, v40, v31
	s_delay_alu instid0(VALU_DEP_3) | instskip(SKIP_2) | instid1(VALU_DEP_1)
	v_dual_fma_f32 v30, v36, v32, -v30 :: v_dual_mul_f32 v31, v36, v33
	ds_load_b128 v[40:43], v29 offset:1072
	v_dual_fmac_f32 v31, v37, v32 :: v_dual_add_f32 v26, v26, v30
	v_add_f32_e32 v28, v28, v31
	ds_load_2addr_b64 v[30:33], v27 offset0:192 offset1:208
	s_wait_dscnt 0x0
	v_dual_mul_f32 v36, v1, v31 :: v_dual_mul_f32 v37, v0, v31
	s_delay_alu instid0(VALU_DEP_1) | instskip(NEXT) | instid1(VALU_DEP_1)
	v_dual_fma_f32 v36, v0, v30, -v36 :: v_dual_fmac_f32 v37, v1, v30
	v_dual_add_f32 v20, v20, v36 :: v_dual_add_f32 v34, v34, v37
	v_mul_f32_e32 v36, v1, v33
	s_delay_alu instid0(VALU_DEP_1) | instskip(NEXT) | instid1(VALU_DEP_1)
	v_dual_fma_f32 v36, v0, v32, -v36 :: v_dual_mul_f32 v0, v0, v33
	v_fmac_f32_e32 v0, v1, v32
	s_delay_alu instid0(VALU_DEP_2) | instskip(NEXT) | instid1(VALU_DEP_1)
	v_dual_add_f32 v1, v35, v36 :: v_dual_mul_f32 v35, v41, v31
	v_dual_mul_f32 v31, v40, v31 :: v_dual_fma_f32 v35, v40, v30, -v35
	s_delay_alu instid0(VALU_DEP_1) | instskip(NEXT) | instid1(VALU_DEP_2)
	v_dual_add_f32 v0, v38, v0 :: v_dual_fmac_f32 v31, v41, v30
	v_dual_add_f32 v30, v39, v35 :: v_dual_mul_f32 v35, v41, v33
	v_mul_f32_e32 v33, v40, v33
	s_delay_alu instid0(VALU_DEP_3)
	v_add_f32_e32 v31, v44, v31
	ds_load_2addr_b64 v[44:47], v27 offset0:224 offset1:240
	s_wait_dscnt 0x0
	v_dual_fma_f32 v35, v40, v32, -v35 :: v_dual_fmac_f32 v33, v41, v32
	s_barrier_signal -1
	s_barrier_wait -1
	s_delay_alu instid0(VALU_DEP_1) | instskip(SKIP_1) | instid1(VALU_DEP_1)
	v_dual_add_f32 v26, v26, v35 :: v_dual_add_f32 v28, v28, v33
	v_dual_mul_f32 v32, v3, v45 :: v_dual_mul_f32 v33, v2, v45
	v_dual_fma_f32 v32, v2, v44, -v32 :: v_dual_fmac_f32 v33, v3, v44
	s_delay_alu instid0(VALU_DEP_1) | instskip(SKIP_1) | instid1(VALU_DEP_1)
	v_dual_add_f32 v38, v20, v32 :: v_dual_add_f32 v40, v34, v33
	v_mul_f32_e32 v20, v3, v47
	v_dual_fma_f32 v20, v2, v46, -v20 :: v_dual_mul_f32 v2, v2, v47
	s_delay_alu instid0(VALU_DEP_1) | instskip(NEXT) | instid1(VALU_DEP_1)
	v_dual_fmac_f32 v2, v3, v46 :: v_dual_add_f32 v34, v1, v20
	v_dual_mul_f32 v1, v42, v45 :: v_dual_add_f32 v36, v0, v2
	s_delay_alu instid0(VALU_DEP_1) | instskip(NEXT) | instid1(VALU_DEP_1)
	v_dual_mul_f32 v0, v43, v45 :: v_dual_fmac_f32 v1, v43, v44
	v_dual_fma_f32 v0, v42, v44, -v0 :: v_dual_add_f32 v32, v31, v1
	v_mul_f32_e32 v1, v42, v47
	s_delay_alu instid0(VALU_DEP_2) | instskip(NEXT) | instid1(VALU_DEP_1)
	v_dual_add_f32 v30, v30, v0 :: v_dual_mul_f32 v0, v43, v47
	v_dual_fmac_f32 v1, v43, v46 :: v_dual_fma_f32 v0, v42, v46, -v0
	s_delay_alu instid0(VALU_DEP_1)
	v_dual_add_f32 v28, v28, v1 :: v_dual_add_f32 v26, v26, v0
	s_cbranch_vccz .LBB217_15
.LBB217_9:                              ;   Parent Loop BB217_6 Depth=1
                                        ; =>  This Inner Loop Header: Depth=2
	v_dual_mov_b32 v0, 0 :: v_dual_mov_b32 v1, 0
	s_and_saveexec_b32 s36, s0
	s_cbranch_execz .LBB217_13
; %bb.10:                               ;   in Loop: Header=BB217_9 Depth=2
	v_dual_mov_b32 v1, 0 :: v_dual_add_nc_u32 v20, s12, v4
	v_mov_b32_e32 v0, 0
	s_mov_b32 s37, exec_lo
	s_delay_alu instid0(VALU_DEP_2)
	v_cmpx_gt_u64_e64 s[8:9], v[20:21]
	s_cbranch_execz .LBB217_12
; %bb.11:                               ;   in Loop: Header=BB217_9 Depth=2
	v_mul_u64_e32 v[0:1], s[14:15], v[20:21]
	s_delay_alu instid0(VALU_DEP_1)
	v_lshl_add_u64 v[0:1], v[0:1], 3, v[22:23]
	global_load_b64 v[0:1], v[0:1], off
.LBB217_12:                             ;   in Loop: Header=BB217_9 Depth=2
	s_wait_xcnt 0x0
	s_or_b32 exec_lo, exec_lo, s37
.LBB217_13:                             ;   in Loop: Header=BB217_9 Depth=2
	s_delay_alu instid0(SALU_CYCLE_1)
	s_or_b32 exec_lo, exec_lo, s36
	v_dual_add_nc_u32 v20, s12, v6 :: v_dual_mov_b32 v2, 0
	v_mov_b32_e32 v3, 0
	s_wait_loadcnt 0x0
	ds_store_b64 v5, v[0:1]
	v_cmp_gt_u64_e32 vcc_lo, s[8:9], v[20:21]
	s_and_b32 s37, vcc_lo, s1
	s_delay_alu instid0(SALU_CYCLE_1)
	s_and_saveexec_b32 s36, s37
	s_cbranch_execz .LBB217_8
; %bb.14:                               ;   in Loop: Header=BB217_9 Depth=2
	v_mul_u64_e32 v[0:1], s[20:21], v[20:21]
	s_delay_alu instid0(VALU_DEP_1)
	v_lshl_add_u64 v[0:1], v[0:1], 3, v[24:25]
	global_load_b64 v[2:3], v[0:1], off
	s_branch .LBB217_8
.LBB217_15:                             ;   in Loop: Header=BB217_6 Depth=1
	s_mul_u64 s[12:13], s[30:31], s[10:11]
	s_delay_alu instid0(SALU_CYCLE_1) | instskip(NEXT) | instid1(SALU_CYCLE_1)
	s_lshl_b64 s[12:13], s[12:13], 3
	s_add_nc_u64 s[12:13], s[26:27], s[12:13]
	s_delay_alu instid0(SALU_CYCLE_1)
	v_lshl_add_u64 v[0:1], v[10:11], 3, s[12:13]
	s_and_saveexec_b32 s36, s19
	s_cbranch_execz .LBB217_20
; %bb.16:                               ;   in Loop: Header=BB217_6 Depth=1
	v_mov_b64_e32 v[2:3], s[4:5]
	v_mov_b64_e32 v[22:23], s[24:25]
	s_and_b32 vcc_lo, exec_lo, s18
	s_mov_b32 s37, -1
	s_delay_alu instid0(VALU_DEP_2) | instskip(NEXT) | instid1(VALU_DEP_1)
	v_pk_mul_f32 v[2:3], v[40:41], v[2:3] op_sel_hi:[0,1]
	v_pk_fma_f32 v[24:25], v[38:39], v[22:23], v[2:3] op_sel_hi:[0,1,1]
	v_pk_fma_f32 v[2:3], v[38:39], v[22:23], v[2:3] neg_lo:[0,0,1] neg_hi:[0,0,1]
	v_lshl_add_u64 v[22:23], v[14:15], 3, v[0:1]
	s_delay_alu instid0(VALU_DEP_3)
	v_mov_b32_e32 v3, v25
	s_cbranch_vccz .LBB217_18
; %bb.17:                               ;   in Loop: Header=BB217_6 Depth=1
	global_load_b64 v[24:25], v[22:23], off
	v_mov_b64_e32 v[38:39], s[6:7]
	v_mov_b64_e32 v[40:41], s[2:3]
	s_mov_b32 s37, 0
	s_wait_loadcnt 0x0
	s_delay_alu instid0(VALU_DEP_2) | instskip(NEXT) | instid1(VALU_DEP_1)
	v_pk_mul_f32 v[38:39], v[24:25], v[38:39]
	v_pk_fma_f32 v[42:43], v[24:25], v[40:41], v[38:39] op_sel:[0,0,1] op_sel_hi:[1,1,0]
	v_pk_fma_f32 v[24:25], v[24:25], v[40:41], v[38:39] op_sel:[0,0,1] op_sel_hi:[1,1,0] neg_lo:[0,0,1] neg_hi:[0,0,1]
	s_delay_alu instid0(VALU_DEP_2) | instskip(NEXT) | instid1(VALU_DEP_1)
	v_mov_b32_e32 v25, v43
	v_pk_add_f32 v[24:25], v[2:3], v[24:25]
	global_store_b64 v[22:23], v[24:25], off
.LBB217_18:                             ;   in Loop: Header=BB217_6 Depth=1
	s_and_not1_b32 vcc_lo, exec_lo, s37
	s_cbranch_vccnz .LBB217_20
; %bb.19:                               ;   in Loop: Header=BB217_6 Depth=1
	global_store_b64 v[22:23], v[2:3], off
.LBB217_20:                             ;   in Loop: Header=BB217_6 Depth=1
	s_wait_xcnt 0x0
	s_or_b32 exec_lo, exec_lo, s36
	s_and_saveexec_b32 s36, s28
	s_cbranch_execz .LBB217_25
; %bb.21:                               ;   in Loop: Header=BB217_6 Depth=1
	v_mov_b64_e32 v[2:3], s[4:5]
	v_mov_b64_e32 v[22:23], s[24:25]
	v_lshl_add_u64 v[0:1], v[18:19], 3, v[0:1]
	s_and_not1_b32 vcc_lo, exec_lo, s18
	s_mov_b32 s37, -1
	s_delay_alu instid0(VALU_DEP_3) | instskip(NEXT) | instid1(VALU_DEP_1)
	v_pk_mul_f32 v[2:3], v[36:37], v[2:3] op_sel_hi:[0,1]
	v_pk_fma_f32 v[24:25], v[34:35], v[22:23], v[2:3] op_sel_hi:[0,1,1]
	v_pk_fma_f32 v[2:3], v[34:35], v[22:23], v[2:3] neg_lo:[0,0,1] neg_hi:[0,0,1]
	s_delay_alu instid0(VALU_DEP_2)
	v_mov_b32_e32 v3, v25
	s_cbranch_vccnz .LBB217_23
; %bb.22:                               ;   in Loop: Header=BB217_6 Depth=1
	global_load_b64 v[22:23], v[0:1], off
	v_mov_b64_e32 v[24:25], s[6:7]
	v_mov_b64_e32 v[34:35], s[2:3]
	s_mov_b32 s37, 0
	s_wait_loadcnt 0x0
	s_delay_alu instid0(VALU_DEP_2) | instskip(NEXT) | instid1(VALU_DEP_1)
	v_pk_mul_f32 v[24:25], v[22:23], v[24:25]
	v_pk_fma_f32 v[36:37], v[22:23], v[34:35], v[24:25] op_sel:[0,0,1] op_sel_hi:[1,1,0]
	v_pk_fma_f32 v[22:23], v[22:23], v[34:35], v[24:25] op_sel:[0,0,1] op_sel_hi:[1,1,0] neg_lo:[0,0,1] neg_hi:[0,0,1]
	s_delay_alu instid0(VALU_DEP_2) | instskip(NEXT) | instid1(VALU_DEP_1)
	v_mov_b32_e32 v23, v37
	v_pk_add_f32 v[22:23], v[2:3], v[22:23]
	global_store_b64 v[0:1], v[22:23], off
.LBB217_23:                             ;   in Loop: Header=BB217_6 Depth=1
	s_and_not1_b32 vcc_lo, exec_lo, s37
	s_cbranch_vccnz .LBB217_25
; %bb.24:                               ;   in Loop: Header=BB217_6 Depth=1
	global_store_b64 v[0:1], v[2:3], off
.LBB217_25:                             ;   in Loop: Header=BB217_6 Depth=1
	s_wait_xcnt 0x0
	s_or_b32 exec_lo, exec_lo, s36
	v_lshl_add_u64 v[0:1], v[12:13], 3, s[12:13]
	s_and_saveexec_b32 s12, s29
	s_cbranch_execz .LBB217_30
; %bb.26:                               ;   in Loop: Header=BB217_6 Depth=1
	v_mov_b64_e32 v[2:3], s[4:5]
	v_mov_b64_e32 v[22:23], s[24:25]
	s_and_not1_b32 vcc_lo, exec_lo, s18
	s_mov_b32 s13, -1
	s_delay_alu instid0(VALU_DEP_2) | instskip(NEXT) | instid1(VALU_DEP_1)
	v_pk_mul_f32 v[2:3], v[32:33], v[2:3] op_sel_hi:[0,1]
	v_pk_fma_f32 v[24:25], v[30:31], v[22:23], v[2:3] op_sel_hi:[0,1,1]
	v_pk_fma_f32 v[2:3], v[30:31], v[22:23], v[2:3] neg_lo:[0,0,1] neg_hi:[0,0,1]
	v_lshl_add_u64 v[22:23], v[14:15], 3, v[0:1]
	s_delay_alu instid0(VALU_DEP_3)
	v_mov_b32_e32 v3, v25
	s_cbranch_vccnz .LBB217_28
; %bb.27:                               ;   in Loop: Header=BB217_6 Depth=1
	global_load_b64 v[24:25], v[22:23], off
	v_mov_b64_e32 v[30:31], s[6:7]
	v_mov_b64_e32 v[32:33], s[2:3]
	s_mov_b32 s13, 0
	s_wait_loadcnt 0x0
	s_delay_alu instid0(VALU_DEP_2) | instskip(NEXT) | instid1(VALU_DEP_1)
	v_pk_mul_f32 v[30:31], v[24:25], v[30:31]
	v_pk_fma_f32 v[34:35], v[24:25], v[32:33], v[30:31] op_sel:[0,0,1] op_sel_hi:[1,1,0]
	v_pk_fma_f32 v[24:25], v[24:25], v[32:33], v[30:31] op_sel:[0,0,1] op_sel_hi:[1,1,0] neg_lo:[0,0,1] neg_hi:[0,0,1]
	s_delay_alu instid0(VALU_DEP_2) | instskip(NEXT) | instid1(VALU_DEP_1)
	v_mov_b32_e32 v25, v35
	v_pk_add_f32 v[24:25], v[2:3], v[24:25]
	global_store_b64 v[22:23], v[24:25], off
.LBB217_28:                             ;   in Loop: Header=BB217_6 Depth=1
	s_and_not1_b32 vcc_lo, exec_lo, s13
	s_cbranch_vccnz .LBB217_30
; %bb.29:                               ;   in Loop: Header=BB217_6 Depth=1
	global_store_b64 v[22:23], v[2:3], off
.LBB217_30:                             ;   in Loop: Header=BB217_6 Depth=1
	s_wait_xcnt 0x0
	s_or_b32 exec_lo, exec_lo, s12
	s_and_saveexec_b32 s12, s34
	s_cbranch_execz .LBB217_5
; %bb.31:                               ;   in Loop: Header=BB217_6 Depth=1
	v_mov_b64_e32 v[2:3], s[4:5]
	v_mov_b64_e32 v[22:23], s[24:25]
	v_lshl_add_u64 v[0:1], v[18:19], 3, v[0:1]
	s_and_not1_b32 vcc_lo, exec_lo, s18
	s_mov_b32 s13, -1
	s_delay_alu instid0(VALU_DEP_3) | instskip(NEXT) | instid1(VALU_DEP_1)
	v_pk_mul_f32 v[2:3], v[28:29], v[2:3] op_sel_hi:[0,1]
	v_pk_fma_f32 v[24:25], v[26:27], v[22:23], v[2:3] op_sel_hi:[0,1,1]
	v_pk_fma_f32 v[2:3], v[26:27], v[22:23], v[2:3] neg_lo:[0,0,1] neg_hi:[0,0,1]
	s_delay_alu instid0(VALU_DEP_2)
	v_mov_b32_e32 v3, v25
	s_cbranch_vccnz .LBB217_33
; %bb.32:                               ;   in Loop: Header=BB217_6 Depth=1
	global_load_b64 v[22:23], v[0:1], off
	v_mov_b64_e32 v[24:25], s[6:7]
	v_mov_b64_e32 v[30:31], s[2:3]
	s_mov_b32 s13, 0
	s_wait_loadcnt 0x0
	s_delay_alu instid0(VALU_DEP_2) | instskip(NEXT) | instid1(VALU_DEP_1)
	v_pk_mul_f32 v[24:25], v[22:23], v[24:25]
	v_pk_fma_f32 v[32:33], v[22:23], v[30:31], v[24:25] op_sel:[0,0,1] op_sel_hi:[1,1,0]
	v_pk_fma_f32 v[22:23], v[22:23], v[30:31], v[24:25] op_sel:[0,0,1] op_sel_hi:[1,1,0] neg_lo:[0,0,1] neg_hi:[0,0,1]
	s_delay_alu instid0(VALU_DEP_2) | instskip(NEXT) | instid1(VALU_DEP_1)
	v_mov_b32_e32 v23, v33
	v_pk_add_f32 v[22:23], v[2:3], v[22:23]
	global_store_b64 v[0:1], v[22:23], off
.LBB217_33:                             ;   in Loop: Header=BB217_6 Depth=1
	s_and_not1_b32 vcc_lo, exec_lo, s13
	s_cbranch_vccnz .LBB217_5
; %bb.34:                               ;   in Loop: Header=BB217_6 Depth=1
	global_store_b64 v[0:1], v[2:3], off
	s_branch .LBB217_5
.LBB217_35:
	s_endpgm
	.section	.rodata,"a",@progbits
	.p2align	6, 0x0
	.amdhsa_kernel _ZL29rocblas_internal_gemmt_kernelIlLi16ELi32ELi8ELc78ELc84ELc85ELb0ELb0E19rocblas_complex_numIfEPKS1_S3_PS1_EviT_T9_T10_S5_lS7_S5_lS6_T11_S5_li
		.amdhsa_group_segment_fixed_size 4096
		.amdhsa_private_segment_fixed_size 0
		.amdhsa_kernarg_size 108
		.amdhsa_user_sgpr_count 2
		.amdhsa_user_sgpr_dispatch_ptr 0
		.amdhsa_user_sgpr_queue_ptr 0
		.amdhsa_user_sgpr_kernarg_segment_ptr 1
		.amdhsa_user_sgpr_dispatch_id 0
		.amdhsa_user_sgpr_kernarg_preload_length 0
		.amdhsa_user_sgpr_kernarg_preload_offset 0
		.amdhsa_user_sgpr_private_segment_size 0
		.amdhsa_wavefront_size32 1
		.amdhsa_uses_dynamic_stack 0
		.amdhsa_enable_private_segment 0
		.amdhsa_system_sgpr_workgroup_id_x 1
		.amdhsa_system_sgpr_workgroup_id_y 1
		.amdhsa_system_sgpr_workgroup_id_z 1
		.amdhsa_system_sgpr_workgroup_info 0
		.amdhsa_system_vgpr_workitem_id 1
		.amdhsa_next_free_vgpr 58
		.amdhsa_next_free_sgpr 38
		.amdhsa_named_barrier_count 0
		.amdhsa_reserve_vcc 1
		.amdhsa_float_round_mode_32 0
		.amdhsa_float_round_mode_16_64 0
		.amdhsa_float_denorm_mode_32 3
		.amdhsa_float_denorm_mode_16_64 3
		.amdhsa_fp16_overflow 0
		.amdhsa_memory_ordered 1
		.amdhsa_forward_progress 1
		.amdhsa_inst_pref_size 25
		.amdhsa_round_robin_scheduling 0
		.amdhsa_exception_fp_ieee_invalid_op 0
		.amdhsa_exception_fp_denorm_src 0
		.amdhsa_exception_fp_ieee_div_zero 0
		.amdhsa_exception_fp_ieee_overflow 0
		.amdhsa_exception_fp_ieee_underflow 0
		.amdhsa_exception_fp_ieee_inexact 0
		.amdhsa_exception_int_div_zero 0
	.end_amdhsa_kernel
	.section	.text._ZL29rocblas_internal_gemmt_kernelIlLi16ELi32ELi8ELc78ELc84ELc85ELb0ELb0E19rocblas_complex_numIfEPKS1_S3_PS1_EviT_T9_T10_S5_lS7_S5_lS6_T11_S5_li,"axG",@progbits,_ZL29rocblas_internal_gemmt_kernelIlLi16ELi32ELi8ELc78ELc84ELc85ELb0ELb0E19rocblas_complex_numIfEPKS1_S3_PS1_EviT_T9_T10_S5_lS7_S5_lS6_T11_S5_li,comdat
.Lfunc_end217:
	.size	_ZL29rocblas_internal_gemmt_kernelIlLi16ELi32ELi8ELc78ELc84ELc85ELb0ELb0E19rocblas_complex_numIfEPKS1_S3_PS1_EviT_T9_T10_S5_lS7_S5_lS6_T11_S5_li, .Lfunc_end217-_ZL29rocblas_internal_gemmt_kernelIlLi16ELi32ELi8ELc78ELc84ELc85ELb0ELb0E19rocblas_complex_numIfEPKS1_S3_PS1_EviT_T9_T10_S5_lS7_S5_lS6_T11_S5_li
                                        ; -- End function
	.set _ZL29rocblas_internal_gemmt_kernelIlLi16ELi32ELi8ELc78ELc84ELc85ELb0ELb0E19rocblas_complex_numIfEPKS1_S3_PS1_EviT_T9_T10_S5_lS7_S5_lS6_T11_S5_li.num_vgpr, 58
	.set _ZL29rocblas_internal_gemmt_kernelIlLi16ELi32ELi8ELc78ELc84ELc85ELb0ELb0E19rocblas_complex_numIfEPKS1_S3_PS1_EviT_T9_T10_S5_lS7_S5_lS6_T11_S5_li.num_agpr, 0
	.set _ZL29rocblas_internal_gemmt_kernelIlLi16ELi32ELi8ELc78ELc84ELc85ELb0ELb0E19rocblas_complex_numIfEPKS1_S3_PS1_EviT_T9_T10_S5_lS7_S5_lS6_T11_S5_li.numbered_sgpr, 38
	.set _ZL29rocblas_internal_gemmt_kernelIlLi16ELi32ELi8ELc78ELc84ELc85ELb0ELb0E19rocblas_complex_numIfEPKS1_S3_PS1_EviT_T9_T10_S5_lS7_S5_lS6_T11_S5_li.num_named_barrier, 0
	.set _ZL29rocblas_internal_gemmt_kernelIlLi16ELi32ELi8ELc78ELc84ELc85ELb0ELb0E19rocblas_complex_numIfEPKS1_S3_PS1_EviT_T9_T10_S5_lS7_S5_lS6_T11_S5_li.private_seg_size, 0
	.set _ZL29rocblas_internal_gemmt_kernelIlLi16ELi32ELi8ELc78ELc84ELc85ELb0ELb0E19rocblas_complex_numIfEPKS1_S3_PS1_EviT_T9_T10_S5_lS7_S5_lS6_T11_S5_li.uses_vcc, 1
	.set _ZL29rocblas_internal_gemmt_kernelIlLi16ELi32ELi8ELc78ELc84ELc85ELb0ELb0E19rocblas_complex_numIfEPKS1_S3_PS1_EviT_T9_T10_S5_lS7_S5_lS6_T11_S5_li.uses_flat_scratch, 0
	.set _ZL29rocblas_internal_gemmt_kernelIlLi16ELi32ELi8ELc78ELc84ELc85ELb0ELb0E19rocblas_complex_numIfEPKS1_S3_PS1_EviT_T9_T10_S5_lS7_S5_lS6_T11_S5_li.has_dyn_sized_stack, 0
	.set _ZL29rocblas_internal_gemmt_kernelIlLi16ELi32ELi8ELc78ELc84ELc85ELb0ELb0E19rocblas_complex_numIfEPKS1_S3_PS1_EviT_T9_T10_S5_lS7_S5_lS6_T11_S5_li.has_recursion, 0
	.set _ZL29rocblas_internal_gemmt_kernelIlLi16ELi32ELi8ELc78ELc84ELc85ELb0ELb0E19rocblas_complex_numIfEPKS1_S3_PS1_EviT_T9_T10_S5_lS7_S5_lS6_T11_S5_li.has_indirect_call, 0
	.section	.AMDGPU.csdata,"",@progbits
; Kernel info:
; codeLenInByte = 3180
; TotalNumSgprs: 40
; NumVgprs: 58
; ScratchSize: 0
; MemoryBound: 0
; FloatMode: 240
; IeeeMode: 1
; LDSByteSize: 4096 bytes/workgroup (compile time only)
; SGPRBlocks: 0
; VGPRBlocks: 3
; NumSGPRsForWavesPerEU: 40
; NumVGPRsForWavesPerEU: 58
; NamedBarCnt: 0
; Occupancy: 16
; WaveLimiterHint : 0
; COMPUTE_PGM_RSRC2:SCRATCH_EN: 0
; COMPUTE_PGM_RSRC2:USER_SGPR: 2
; COMPUTE_PGM_RSRC2:TRAP_HANDLER: 0
; COMPUTE_PGM_RSRC2:TGID_X_EN: 1
; COMPUTE_PGM_RSRC2:TGID_Y_EN: 1
; COMPUTE_PGM_RSRC2:TGID_Z_EN: 1
; COMPUTE_PGM_RSRC2:TIDIG_COMP_CNT: 1
	.section	.text._ZL29rocblas_internal_gemmt_kernelIlLi16ELi32ELi8ELc78ELc67ELc85ELb0ELb1E19rocblas_complex_numIfEPKS1_S3_PS1_EviT_T9_T10_S5_lS7_S5_lS6_T11_S5_li,"axG",@progbits,_ZL29rocblas_internal_gemmt_kernelIlLi16ELi32ELi8ELc78ELc67ELc85ELb0ELb1E19rocblas_complex_numIfEPKS1_S3_PS1_EviT_T9_T10_S5_lS7_S5_lS6_T11_S5_li,comdat
	.globl	_ZL29rocblas_internal_gemmt_kernelIlLi16ELi32ELi8ELc78ELc67ELc85ELb0ELb1E19rocblas_complex_numIfEPKS1_S3_PS1_EviT_T9_T10_S5_lS7_S5_lS6_T11_S5_li ; -- Begin function _ZL29rocblas_internal_gemmt_kernelIlLi16ELi32ELi8ELc78ELc67ELc85ELb0ELb1E19rocblas_complex_numIfEPKS1_S3_PS1_EviT_T9_T10_S5_lS7_S5_lS6_T11_S5_li
	.p2align	8
	.type	_ZL29rocblas_internal_gemmt_kernelIlLi16ELi32ELi8ELc78ELc67ELc85ELb0ELb1E19rocblas_complex_numIfEPKS1_S3_PS1_EviT_T9_T10_S5_lS7_S5_lS6_T11_S5_li,@function
_ZL29rocblas_internal_gemmt_kernelIlLi16ELi32ELi8ELc78ELc67ELc85ELb0ELb1E19rocblas_complex_numIfEPKS1_S3_PS1_EviT_T9_T10_S5_lS7_S5_lS6_T11_S5_li: ; @_ZL29rocblas_internal_gemmt_kernelIlLi16ELi32ELi8ELc78ELc67ELc85ELb0ELb1E19rocblas_complex_numIfEPKS1_S3_PS1_EviT_T9_T10_S5_lS7_S5_lS6_T11_S5_li
; %bb.0:
	s_load_b256 s[24:31], s[0:1], 0x48
	s_wait_kmcnt 0x0
	s_load_b64 s[6:7], s[24:25], 0x0
	s_load_b512 s[8:23], s[0:1], 0x8
	s_wait_kmcnt 0x0
	s_cmp_neq_f32 s6, 1.0
	s_load_b64 s[24:25], s[10:11], 0x0
	s_cselect_b32 s2, -1, 0
	s_and_b32 s4, s7, 0x7fffffff
	s_delay_alu instid0(SALU_CYCLE_1) | instskip(SKIP_3) | instid1(SALU_CYCLE_1)
	s_cmp_eq_u32 s4, 0
	s_cselect_b32 s3, -1, 0
	s_cmp_lg_u32 s4, 0
	s_cselect_b32 s4, -1, 0
	s_or_b32 s2, s2, s4
	s_delay_alu instid0(SALU_CYCLE_1)
	s_and_b32 vcc_lo, exec_lo, s2
	s_cbranch_vccnz .LBB218_2
; %bb.1:
	s_cmp_lg_u64 s[8:9], 0
	s_cselect_b32 s2, -1, 0
	s_wait_kmcnt 0x0
	s_cmp_neq_f32 s24, 0
	s_cselect_b32 s4, -1, 0
	s_cmp_neq_f32 s25, 0
	s_cselect_b32 s5, -1, 0
	s_delay_alu instid0(SALU_CYCLE_1) | instskip(NEXT) | instid1(SALU_CYCLE_1)
	s_or_b32 s4, s4, s5
	s_and_b32 s2, s2, s4
.LBB218_2:
	s_delay_alu instid0(SALU_CYCLE_1)
	s_and_not1_b32 vcc_lo, exec_lo, s2
	s_cbranch_vccnz .LBB218_37
; %bb.3:
	s_load_b32 s33, s[0:1], 0x68
	s_bfe_u32 s2, ttmp6, 0x40014
	s_lshr_b32 s4, ttmp7, 16
	s_add_co_i32 s2, s2, 1
	s_wait_xcnt 0x0
	s_bfe_u32 s10, ttmp6, 0x40008
	s_mul_i32 s5, s4, s2
	s_getreg_b32 s2, hwreg(HW_REG_IB_STS2, 6, 4)
	s_add_co_i32 s10, s10, s5
	s_cmp_eq_u32 s2, 0
	s_mov_b32 s11, 0
	s_cselect_b32 s10, s4, s10
	s_wait_kmcnt 0x0
	s_cmp_ge_u32 s10, s33
	s_cbranch_scc1 .LBB218_37
; %bb.4:
	s_bfe_u32 s4, ttmp6, 0x4000c
	s_bfe_u32 s34, ttmp6, 0x40010
	s_add_co_i32 s4, s4, 1
	s_and_b32 s35, ttmp7, 0xffff
	s_add_co_i32 s34, s34, 1
	v_and_b32_e32 v15, 0x3ff, v0
	v_bfe_u32 v19, v0, 10, 10
	s_and_b32 s5, ttmp6, 15
	s_mul_i32 s4, ttmp9, s4
	s_mul_i32 s34, s35, s34
	s_bfe_u32 s36, ttmp6, 0x40004
	s_add_co_i32 s5, s5, s4
	s_add_co_i32 s36, s36, s34
	s_cmp_eq_u32 s2, 0
	v_lshl_add_u32 v1, v19, 4, v15
	s_load_b32 s4, s[0:1], 0x0
	s_wait_xcnt 0x0
	s_cselect_b32 s0, ttmp9, s5
	s_cselect_b32 s1, s35, s36
	s_lshl_b32 s2, s0, 5
	s_lshl_b32 s0, s1, 5
	v_dual_lshrrev_b32 v3, 3, v1 :: v_dual_bitop2_b32 v5, 31, v1 bitop3:0x40
	v_dual_add_nc_u32 v20, s0, v19 :: v_dual_lshrrev_b32 v4, 5, v1
	v_dual_add_nc_u32 v14, s2, v15 :: v_dual_bitop2_b32 v6, 7, v0 bitop3:0x40
	s_delay_alu instid0(VALU_DEP_3) | instskip(NEXT) | instid1(VALU_DEP_3)
	v_dual_add_nc_u32 v2, s0, v3 :: v_dual_bitop2_b32 v0, s2, v5 bitop3:0x54
	v_dual_lshlrev_b32 v5, 3, v5 :: v_dual_add_nc_u32 v22, 16, v20
	v_ashrrev_i32_e32 v21, 31, v20
	s_cmp_neq_f32 s24, 0
	s_delay_alu instid0(VALU_DEP_3) | instskip(NEXT) | instid1(VALU_DEP_3)
	v_dual_lshlrev_b32 v7, 3, v6 :: v_dual_ashrrev_i32 v1, 31, v0
	v_ashrrev_i32_e32 v23, 31, v22
	s_delay_alu instid0(VALU_DEP_3)
	v_mul_u64_e32 v[10:11], s[28:29], v[20:21]
	s_cselect_b32 s1, -1, 0
	s_cmp_neq_f32 s25, 0
	v_lshl_or_b32 v3, v3, 6, v7
	v_mul_u64_e32 v[12:13], s[28:29], v[22:23]
	v_cmp_le_i32_e64 s2, v14, v20
	s_cselect_b32 s5, -1, 0
	v_add_nc_u32_e32 v18, 16, v14
	s_or_b32 s34, s1, s5
	s_cmp_neq_f32 s6, 0
	v_add_nc_u32_e32 v7, 0x800, v3
	v_dual_ashrrev_i32 v3, 31, v2 :: v_dual_lshlrev_b32 v27, 3, v15
	s_wait_kmcnt 0x0
	v_cmp_gt_i32_e64 s1, s4, v20
	v_cmp_gt_i64_e64 s35, s[8:9], 0
	s_cselect_b32 s5, -1, 0
	s_xor_b32 s3, s3, -1
	v_cmp_gt_i32_e64 s0, s4, v0
	v_cmp_gt_i32_e32 vcc_lo, s4, v2
	v_lshl_add_u64 v[16:17], v[2:3], 3, s[18:19]
	s_or_b32 s18, s5, s3
	s_and_b32 s19, s1, s2
	v_cmp_gt_i32_e64 s3, s4, v22
	v_cmp_le_i32_e64 s4, v14, v22
	v_ashrrev_i32_e32 v15, 31, v14
	v_cmp_le_i32_e64 s2, v18, v20
	v_cmp_le_i32_e64 s5, v18, v22
	v_lshl_or_b32 v5, v4, 8, v5
	v_lshl_add_u64 v[8:9], v[0:1], 3, s[12:13]
	v_lshl_add_u32 v29, v19, 6, 0x800
	v_dual_ashrrev_i32 v19, 31, v18 :: v_dual_mov_b32 v21, 0
	s_and_b32 s1, s1, s2
	s_and_b32 s28, s3, s4
	;; [unrolled: 1-line block ×3, first 2 shown]
	s_mov_b32 s2, s6
	s_mov_b32 s3, s6
	;; [unrolled: 1-line block ×3, first 2 shown]
	s_and_b32 s34, s34, s35
	s_mov_b32 s4, s25
	s_mov_b32 s5, s24
	s_xor_b32 s35, vcc_lo, -1
	s_branch .LBB218_6
.LBB218_5:                              ;   in Loop: Header=BB218_6 Depth=1
	s_wait_xcnt 0x0
	s_or_b32 exec_lo, exec_lo, s12
	s_add_co_i32 s10, s10, 0x10000
	s_delay_alu instid0(SALU_CYCLE_1)
	s_cmp_lt_u32 s10, s33
	s_cbranch_scc0 .LBB218_37
.LBB218_6:                              ; =>This Loop Header: Depth=1
                                        ;     Child Loop BB218_9 Depth 2
	v_dual_mov_b32 v38, v21 :: v_dual_mov_b32 v40, v21
	v_dual_mov_b32 v34, v21 :: v_dual_mov_b32 v36, v21
	v_dual_mov_b32 v30, v21 :: v_dual_mov_b32 v32, v21
	v_dual_mov_b32 v26, v21 :: v_dual_mov_b32 v28, v21
	s_and_not1_b32 vcc_lo, exec_lo, s34
	s_cbranch_vccnz .LBB218_17
; %bb.7:                                ;   in Loop: Header=BB218_6 Depth=1
	s_mul_u64 s[12:13], s[16:17], s[10:11]
	s_mul_u64 s[36:37], s[22:23], s[10:11]
	v_lshl_add_u64 v[22:23], s[12:13], 3, v[8:9]
	v_lshl_add_u64 v[24:25], s[36:37], 3, v[16:17]
	v_dual_mov_b32 v28, 0 :: v_dual_mov_b32 v26, 0
	v_dual_mov_b32 v32, 0 :: v_dual_mov_b32 v30, 0
	;; [unrolled: 1-line block ×4, first 2 shown]
	s_mov_b64 s[12:13], 0
	s_branch .LBB218_9
.LBB218_8:                              ;   in Loop: Header=BB218_9 Depth=2
	s_or_b32 exec_lo, exec_lo, s36
	ds_store_b32 v7, v0 offset:4
	s_wait_dscnt 0x0
	s_barrier_signal -1
	s_barrier_wait -1
	ds_load_b128 v[42:45], v29
	ds_load_b128 v[46:49], v29 offset:16
	ds_load_b128 v[50:53], v29 offset:32
	;; [unrolled: 1-line block ×3, first 2 shown]
	ds_load_2addr_b64 v[54:57], v27 offset1:16
	s_add_nc_u64 s[12:13], s[12:13], 8
	s_delay_alu instid0(SALU_CYCLE_1) | instskip(SKIP_3) | instid1(VALU_DEP_1)
	v_cmp_gt_i64_e64 s36, s[8:9], s[12:13]
	s_and_b32 vcc_lo, exec_lo, s36
	s_wait_dscnt 0x0
	v_dual_mul_f32 v20, v43, v55 :: v_dual_mul_f32 v31, v42, v55
	v_dual_mul_f32 v33, v42, v57 :: v_dual_fma_f32 v20, v42, v54, -v20
	s_delay_alu instid0(VALU_DEP_1) | instskip(NEXT) | instid1(VALU_DEP_1)
	v_dual_fmac_f32 v31, v43, v54 :: v_dual_fmac_f32 v33, v43, v56
	v_dual_add_f32 v20, v38, v20 :: v_dual_add_f32 v38, v40, v31
	v_mul_f32_e32 v31, v43, v57
	s_delay_alu instid0(VALU_DEP_1) | instskip(NEXT) | instid1(VALU_DEP_1)
	v_dual_add_f32 v40, v36, v33 :: v_dual_fma_f32 v31, v42, v56, -v31
	v_add_f32_e32 v39, v34, v31
	ds_load_b128 v[34:37], v29 offset:1024
	s_wait_dscnt 0x0
	v_dual_mul_f32 v31, v35, v55 :: v_dual_mul_f32 v33, v34, v55
	s_delay_alu instid0(VALU_DEP_1) | instskip(NEXT) | instid1(VALU_DEP_1)
	v_dual_fma_f32 v31, v34, v54, -v31 :: v_dual_fmac_f32 v33, v35, v54
	v_dual_add_f32 v41, v30, v31 :: v_dual_add_f32 v42, v32, v33
	v_dual_mul_f32 v30, v35, v57 :: v_dual_mul_f32 v31, v34, v57
	s_delay_alu instid0(VALU_DEP_1) | instskip(NEXT) | instid1(VALU_DEP_1)
	v_dual_fma_f32 v30, v34, v56, -v30 :: v_dual_fmac_f32 v31, v35, v56
	v_dual_add_f32 v26, v26, v30 :: v_dual_add_f32 v28, v28, v31
	ds_load_2addr_b64 v[30:33], v27 offset0:32 offset1:48
	s_wait_dscnt 0x0
	v_dual_mul_f32 v34, v45, v31 :: v_dual_mul_f32 v35, v44, v31
	s_delay_alu instid0(VALU_DEP_1) | instskip(NEXT) | instid1(VALU_DEP_1)
	v_dual_fma_f32 v34, v44, v30, -v34 :: v_dual_fmac_f32 v35, v45, v30
	v_dual_add_f32 v20, v20, v34 :: v_dual_add_f32 v34, v38, v35
	v_dual_mul_f32 v35, v45, v33 :: v_dual_mul_f32 v38, v44, v33
	s_delay_alu instid0(VALU_DEP_1) | instskip(NEXT) | instid1(VALU_DEP_1)
	v_dual_fma_f32 v35, v44, v32, -v35 :: v_dual_fmac_f32 v38, v45, v32
	v_dual_add_f32 v35, v39, v35 :: v_dual_add_f32 v38, v40, v38
	v_dual_mul_f32 v39, v37, v31 :: v_dual_mul_f32 v31, v36, v31
	s_delay_alu instid0(VALU_DEP_1) | instskip(NEXT) | instid1(VALU_DEP_2)
	v_fmac_f32_e32 v31, v37, v30
	v_dual_fma_f32 v39, v36, v30, -v39 :: v_dual_mul_f32 v30, v37, v33
	s_delay_alu instid0(VALU_DEP_2) | instskip(NEXT) | instid1(VALU_DEP_2)
	v_add_f32_e32 v40, v42, v31
	v_dual_add_f32 v39, v41, v39 :: v_dual_fma_f32 v30, v36, v32, -v30
	s_delay_alu instid0(VALU_DEP_1) | instskip(NEXT) | instid1(VALU_DEP_1)
	v_dual_mul_f32 v31, v36, v33 :: v_dual_add_f32 v26, v26, v30
	v_fmac_f32_e32 v31, v37, v32
	s_delay_alu instid0(VALU_DEP_1) | instskip(SKIP_3) | instid1(VALU_DEP_1)
	v_add_f32_e32 v28, v28, v31
	ds_load_2addr_b64 v[30:33], v27 offset0:64 offset1:80
	s_wait_dscnt 0x0
	v_mul_f32_e32 v36, v47, v31
	v_dual_fma_f32 v36, v46, v30, -v36 :: v_dual_mul_f32 v37, v46, v31
	s_delay_alu instid0(VALU_DEP_1) | instskip(SKIP_1) | instid1(VALU_DEP_2)
	v_dual_add_f32 v20, v20, v36 :: v_dual_fmac_f32 v37, v47, v30
	v_mul_f32_e32 v36, v46, v33
	v_add_f32_e32 v41, v34, v37
	v_mul_f32_e32 v34, v47, v33
	s_delay_alu instid0(VALU_DEP_1) | instskip(NEXT) | instid1(VALU_DEP_1)
	v_fma_f32 v34, v46, v32, -v34
	v_add_f32_e32 v42, v35, v34
	v_fmac_f32_e32 v36, v47, v32
	s_delay_alu instid0(VALU_DEP_1) | instskip(SKIP_3) | instid1(VALU_DEP_1)
	v_add_f32_e32 v38, v38, v36
	ds_load_b128 v[34:37], v29 offset:1040
	s_wait_dscnt 0x0
	v_dual_mul_f32 v43, v35, v31 :: v_dual_mul_f32 v31, v34, v31
	v_fma_f32 v43, v34, v30, -v43
	s_delay_alu instid0(VALU_DEP_2) | instskip(NEXT) | instid1(VALU_DEP_2)
	v_dual_fmac_f32 v31, v35, v30 :: v_dual_mul_f32 v30, v35, v33
	v_add_f32_e32 v39, v39, v43
	s_delay_alu instid0(VALU_DEP_2) | instskip(NEXT) | instid1(VALU_DEP_1)
	v_dual_add_f32 v40, v40, v31 :: v_dual_mul_f32 v31, v34, v33
	v_dual_fma_f32 v30, v34, v32, -v30 :: v_dual_fmac_f32 v31, v35, v32
	s_delay_alu instid0(VALU_DEP_1) | instskip(SKIP_3) | instid1(VALU_DEP_1)
	v_dual_add_f32 v26, v26, v30 :: v_dual_add_f32 v28, v28, v31
	ds_load_2addr_b64 v[30:33], v27 offset0:96 offset1:112
	s_wait_dscnt 0x0
	v_dual_mul_f32 v34, v49, v31 :: v_dual_mul_f32 v35, v48, v31
	v_dual_fma_f32 v34, v48, v30, -v34 :: v_dual_fmac_f32 v35, v49, v30
	s_delay_alu instid0(VALU_DEP_1) | instskip(SKIP_1) | instid1(VALU_DEP_1)
	v_dual_add_f32 v20, v20, v34 :: v_dual_add_f32 v34, v41, v35
	v_mul_f32_e32 v41, v48, v33
	v_fmac_f32_e32 v41, v49, v32
	s_delay_alu instid0(VALU_DEP_1) | instskip(SKIP_1) | instid1(VALU_DEP_2)
	v_dual_add_f32 v38, v38, v41 :: v_dual_mul_f32 v41, v37, v31
	v_dual_mul_f32 v35, v49, v33 :: v_dual_mul_f32 v31, v36, v31
	v_fma_f32 v41, v36, v30, -v41
	s_delay_alu instid0(VALU_DEP_2) | instskip(NEXT) | instid1(VALU_DEP_3)
	v_fma_f32 v35, v48, v32, -v35
	v_dual_fmac_f32 v31, v37, v30 :: v_dual_mul_f32 v30, v37, v33
	s_delay_alu instid0(VALU_DEP_2) | instskip(NEXT) | instid1(VALU_DEP_2)
	v_dual_add_f32 v39, v39, v41 :: v_dual_add_f32 v35, v42, v35
	v_add_f32_e32 v40, v40, v31
	s_delay_alu instid0(VALU_DEP_3) | instskip(NEXT) | instid1(VALU_DEP_1)
	v_dual_fma_f32 v30, v36, v32, -v30 :: v_dual_mul_f32 v31, v36, v33
	v_dual_fmac_f32 v31, v37, v32 :: v_dual_add_f32 v26, v26, v30
	s_delay_alu instid0(VALU_DEP_1) | instskip(SKIP_3) | instid1(VALU_DEP_1)
	v_add_f32_e32 v28, v28, v31
	ds_load_2addr_b64 v[30:33], v27 offset0:128 offset1:144
	s_wait_dscnt 0x0
	v_dual_mul_f32 v36, v51, v31 :: v_dual_mul_f32 v37, v50, v31
	v_dual_fma_f32 v36, v50, v30, -v36 :: v_dual_fmac_f32 v37, v51, v30
	s_delay_alu instid0(VALU_DEP_1) | instskip(SKIP_1) | instid1(VALU_DEP_1)
	v_dual_add_f32 v20, v20, v36 :: v_dual_add_f32 v41, v34, v37
	v_dual_mul_f32 v34, v51, v33 :: v_dual_mul_f32 v36, v50, v33
	v_dual_fma_f32 v34, v50, v32, -v34 :: v_dual_fmac_f32 v36, v51, v32
	s_delay_alu instid0(VALU_DEP_1) | instskip(SKIP_3) | instid1(VALU_DEP_1)
	v_dual_add_f32 v42, v35, v34 :: v_dual_add_f32 v38, v38, v36
	ds_load_b128 v[34:37], v29 offset:1056
	s_wait_dscnt 0x0
	v_dual_mul_f32 v43, v35, v31 :: v_dual_mul_f32 v31, v34, v31
	v_fmac_f32_e32 v31, v35, v30
	s_delay_alu instid0(VALU_DEP_2) | instskip(NEXT) | instid1(VALU_DEP_2)
	v_dual_fma_f32 v43, v34, v30, -v43 :: v_dual_mul_f32 v30, v35, v33
	v_dual_add_f32 v40, v40, v31 :: v_dual_mul_f32 v31, v34, v33
	s_delay_alu instid0(VALU_DEP_2) | instskip(NEXT) | instid1(VALU_DEP_1)
	v_dual_add_f32 v39, v39, v43 :: v_dual_fma_f32 v30, v34, v32, -v30
	v_dual_fmac_f32 v31, v35, v32 :: v_dual_add_f32 v26, v26, v30
	s_delay_alu instid0(VALU_DEP_1) | instskip(SKIP_3) | instid1(VALU_DEP_1)
	v_add_f32_e32 v28, v28, v31
	ds_load_2addr_b64 v[30:33], v27 offset0:160 offset1:176
	s_wait_dscnt 0x0
	v_dual_mul_f32 v34, v53, v31 :: v_dual_mul_f32 v35, v52, v31
	v_dual_fma_f32 v34, v52, v30, -v34 :: v_dual_fmac_f32 v35, v53, v30
	s_delay_alu instid0(VALU_DEP_1) | instskip(SKIP_1) | instid1(VALU_DEP_1)
	v_dual_add_f32 v20, v20, v34 :: v_dual_add_f32 v34, v41, v35
	v_mul_f32_e32 v41, v52, v33
	v_fmac_f32_e32 v41, v53, v32
	s_delay_alu instid0(VALU_DEP_1) | instskip(SKIP_1) | instid1(VALU_DEP_2)
	v_dual_add_f32 v38, v38, v41 :: v_dual_mul_f32 v41, v37, v31
	v_dual_mul_f32 v35, v53, v33 :: v_dual_mul_f32 v31, v36, v31
	v_fma_f32 v41, v36, v30, -v41
	s_delay_alu instid0(VALU_DEP_2) | instskip(NEXT) | instid1(VALU_DEP_3)
	v_fma_f32 v35, v52, v32, -v35
	v_dual_fmac_f32 v31, v37, v30 :: v_dual_mul_f32 v30, v37, v33
	s_delay_alu instid0(VALU_DEP_2) | instskip(NEXT) | instid1(VALU_DEP_2)
	v_dual_add_f32 v39, v39, v41 :: v_dual_add_f32 v35, v42, v35
	v_add_f32_e32 v44, v40, v31
	s_delay_alu instid0(VALU_DEP_3) | instskip(SKIP_2) | instid1(VALU_DEP_1)
	v_dual_fma_f32 v30, v36, v32, -v30 :: v_dual_mul_f32 v31, v36, v33
	ds_load_b128 v[40:43], v29 offset:1072
	v_dual_fmac_f32 v31, v37, v32 :: v_dual_add_f32 v26, v26, v30
	v_add_f32_e32 v28, v28, v31
	ds_load_2addr_b64 v[30:33], v27 offset0:192 offset1:208
	s_wait_dscnt 0x0
	v_dual_mul_f32 v36, v1, v31 :: v_dual_mul_f32 v37, v0, v31
	s_delay_alu instid0(VALU_DEP_1) | instskip(NEXT) | instid1(VALU_DEP_1)
	v_dual_fma_f32 v36, v0, v30, -v36 :: v_dual_fmac_f32 v37, v1, v30
	v_dual_add_f32 v20, v20, v36 :: v_dual_add_f32 v34, v34, v37
	v_mul_f32_e32 v36, v1, v33
	s_delay_alu instid0(VALU_DEP_1) | instskip(NEXT) | instid1(VALU_DEP_1)
	v_dual_fma_f32 v36, v0, v32, -v36 :: v_dual_mul_f32 v0, v0, v33
	v_fmac_f32_e32 v0, v1, v32
	s_delay_alu instid0(VALU_DEP_2) | instskip(NEXT) | instid1(VALU_DEP_1)
	v_dual_add_f32 v1, v35, v36 :: v_dual_mul_f32 v35, v41, v31
	v_dual_mul_f32 v31, v40, v31 :: v_dual_fma_f32 v35, v40, v30, -v35
	s_delay_alu instid0(VALU_DEP_1) | instskip(NEXT) | instid1(VALU_DEP_2)
	v_dual_add_f32 v0, v38, v0 :: v_dual_fmac_f32 v31, v41, v30
	v_dual_add_f32 v30, v39, v35 :: v_dual_mul_f32 v35, v41, v33
	v_mul_f32_e32 v33, v40, v33
	s_delay_alu instid0(VALU_DEP_3)
	v_add_f32_e32 v31, v44, v31
	ds_load_2addr_b64 v[44:47], v27 offset0:224 offset1:240
	s_wait_dscnt 0x0
	v_dual_fma_f32 v35, v40, v32, -v35 :: v_dual_fmac_f32 v33, v41, v32
	s_barrier_signal -1
	s_barrier_wait -1
	s_delay_alu instid0(VALU_DEP_1) | instskip(SKIP_1) | instid1(VALU_DEP_1)
	v_dual_add_f32 v26, v26, v35 :: v_dual_add_f32 v28, v28, v33
	v_dual_mul_f32 v32, v3, v45 :: v_dual_mul_f32 v33, v2, v45
	v_dual_fma_f32 v32, v2, v44, -v32 :: v_dual_fmac_f32 v33, v3, v44
	s_delay_alu instid0(VALU_DEP_1) | instskip(SKIP_1) | instid1(VALU_DEP_1)
	v_dual_add_f32 v38, v20, v32 :: v_dual_add_f32 v40, v34, v33
	v_mul_f32_e32 v20, v3, v47
	v_dual_fma_f32 v20, v2, v46, -v20 :: v_dual_mul_f32 v2, v2, v47
	s_delay_alu instid0(VALU_DEP_1) | instskip(NEXT) | instid1(VALU_DEP_1)
	v_dual_fmac_f32 v2, v3, v46 :: v_dual_add_f32 v34, v1, v20
	v_dual_mul_f32 v1, v42, v45 :: v_dual_add_f32 v36, v0, v2
	s_delay_alu instid0(VALU_DEP_1) | instskip(NEXT) | instid1(VALU_DEP_1)
	v_dual_mul_f32 v0, v43, v45 :: v_dual_fmac_f32 v1, v43, v44
	v_dual_fma_f32 v0, v42, v44, -v0 :: v_dual_add_f32 v32, v31, v1
	v_mul_f32_e32 v1, v42, v47
	s_delay_alu instid0(VALU_DEP_2) | instskip(NEXT) | instid1(VALU_DEP_1)
	v_dual_add_f32 v30, v30, v0 :: v_dual_mul_f32 v0, v43, v47
	v_dual_fmac_f32 v1, v43, v46 :: v_dual_fma_f32 v0, v42, v46, -v0
	s_delay_alu instid0(VALU_DEP_1)
	v_dual_add_f32 v28, v28, v1 :: v_dual_add_f32 v26, v26, v0
	s_cbranch_vccz .LBB218_17
.LBB218_9:                              ;   Parent Loop BB218_6 Depth=1
                                        ; =>  This Inner Loop Header: Depth=2
	v_dual_mov_b32 v0, 0 :: v_dual_mov_b32 v1, 0
	s_and_saveexec_b32 s36, s0
	s_cbranch_execz .LBB218_13
; %bb.10:                               ;   in Loop: Header=BB218_9 Depth=2
	v_dual_mov_b32 v1, 0 :: v_dual_add_nc_u32 v20, s12, v4
	v_mov_b32_e32 v0, 0
	s_mov_b32 s37, exec_lo
	s_delay_alu instid0(VALU_DEP_2)
	v_cmpx_gt_u64_e64 s[8:9], v[20:21]
	s_cbranch_execz .LBB218_12
; %bb.11:                               ;   in Loop: Header=BB218_9 Depth=2
	v_mul_u64_e32 v[0:1], s[14:15], v[20:21]
	s_delay_alu instid0(VALU_DEP_1)
	v_lshl_add_u64 v[0:1], v[0:1], 3, v[22:23]
	global_load_b64 v[0:1], v[0:1], off
.LBB218_12:                             ;   in Loop: Header=BB218_9 Depth=2
	s_wait_xcnt 0x0
	s_or_b32 exec_lo, exec_lo, s37
.LBB218_13:                             ;   in Loop: Header=BB218_9 Depth=2
	s_delay_alu instid0(SALU_CYCLE_1)
	s_or_b32 exec_lo, exec_lo, s36
	v_add_nc_u32_e32 v20, s12, v6
	s_wait_loadcnt 0x0
	ds_store_b64 v5, v[0:1]
	v_cmp_le_u64_e32 vcc_lo, s[8:9], v[20:21]
	s_or_b32 s36, vcc_lo, s35
	s_delay_alu instid0(SALU_CYCLE_1) | instskip(NEXT) | instid1(SALU_CYCLE_1)
	s_and_saveexec_b32 s37, s36
	s_xor_b32 s36, exec_lo, s37
; %bb.14:                               ;   in Loop: Header=BB218_9 Depth=2
	ds_store_b32 v7, v21
; %bb.15:                               ;   in Loop: Header=BB218_9 Depth=2
	s_or_saveexec_b32 s36, s36
	v_mov_b32_e32 v0, 0
	s_xor_b32 exec_lo, exec_lo, s36
	s_cbranch_execz .LBB218_8
; %bb.16:                               ;   in Loop: Header=BB218_9 Depth=2
	v_mul_u64_e32 v[0:1], s[20:21], v[20:21]
	s_delay_alu instid0(VALU_DEP_1)
	v_lshl_add_u64 v[0:1], v[0:1], 3, v[24:25]
	global_load_b64 v[2:3], v[0:1], off
	s_wait_loadcnt 0x0
	s_wait_xcnt 0x0
	v_xor_b32_e32 v0, 0x80000000, v3
	ds_store_b32 v7, v2
	s_branch .LBB218_8
.LBB218_17:                             ;   in Loop: Header=BB218_6 Depth=1
	s_mul_u64 s[12:13], s[30:31], s[10:11]
	s_delay_alu instid0(SALU_CYCLE_1) | instskip(NEXT) | instid1(SALU_CYCLE_1)
	s_lshl_b64 s[12:13], s[12:13], 3
	s_add_nc_u64 s[12:13], s[26:27], s[12:13]
	s_delay_alu instid0(SALU_CYCLE_1)
	v_lshl_add_u64 v[0:1], v[10:11], 3, s[12:13]
	s_and_saveexec_b32 s36, s19
	s_cbranch_execz .LBB218_22
; %bb.18:                               ;   in Loop: Header=BB218_6 Depth=1
	v_mov_b64_e32 v[2:3], s[4:5]
	v_mov_b64_e32 v[22:23], s[24:25]
	s_and_b32 vcc_lo, exec_lo, s18
	s_mov_b32 s37, -1
	s_delay_alu instid0(VALU_DEP_2) | instskip(NEXT) | instid1(VALU_DEP_1)
	v_pk_mul_f32 v[2:3], v[40:41], v[2:3] op_sel_hi:[0,1]
	v_pk_fma_f32 v[24:25], v[38:39], v[22:23], v[2:3] op_sel_hi:[0,1,1]
	v_pk_fma_f32 v[2:3], v[38:39], v[22:23], v[2:3] neg_lo:[0,0,1] neg_hi:[0,0,1]
	v_lshl_add_u64 v[22:23], v[14:15], 3, v[0:1]
	s_delay_alu instid0(VALU_DEP_3)
	v_mov_b32_e32 v3, v25
	s_cbranch_vccz .LBB218_20
; %bb.19:                               ;   in Loop: Header=BB218_6 Depth=1
	global_load_b64 v[24:25], v[22:23], off
	v_mov_b64_e32 v[38:39], s[6:7]
	v_mov_b64_e32 v[40:41], s[2:3]
	s_mov_b32 s37, 0
	s_wait_loadcnt 0x0
	s_delay_alu instid0(VALU_DEP_2) | instskip(NEXT) | instid1(VALU_DEP_1)
	v_pk_mul_f32 v[38:39], v[24:25], v[38:39]
	v_pk_fma_f32 v[42:43], v[24:25], v[40:41], v[38:39] op_sel:[0,0,1] op_sel_hi:[1,1,0]
	v_pk_fma_f32 v[24:25], v[24:25], v[40:41], v[38:39] op_sel:[0,0,1] op_sel_hi:[1,1,0] neg_lo:[0,0,1] neg_hi:[0,0,1]
	s_delay_alu instid0(VALU_DEP_2) | instskip(NEXT) | instid1(VALU_DEP_1)
	v_mov_b32_e32 v25, v43
	v_pk_add_f32 v[24:25], v[2:3], v[24:25]
	global_store_b64 v[22:23], v[24:25], off
.LBB218_20:                             ;   in Loop: Header=BB218_6 Depth=1
	s_and_not1_b32 vcc_lo, exec_lo, s37
	s_cbranch_vccnz .LBB218_22
; %bb.21:                               ;   in Loop: Header=BB218_6 Depth=1
	global_store_b64 v[22:23], v[2:3], off
.LBB218_22:                             ;   in Loop: Header=BB218_6 Depth=1
	s_wait_xcnt 0x0
	s_or_b32 exec_lo, exec_lo, s36
	s_and_saveexec_b32 s36, s1
	s_cbranch_execz .LBB218_27
; %bb.23:                               ;   in Loop: Header=BB218_6 Depth=1
	v_mov_b64_e32 v[2:3], s[4:5]
	v_mov_b64_e32 v[22:23], s[24:25]
	v_lshl_add_u64 v[0:1], v[18:19], 3, v[0:1]
	s_and_not1_b32 vcc_lo, exec_lo, s18
	s_mov_b32 s37, -1
	s_delay_alu instid0(VALU_DEP_3) | instskip(NEXT) | instid1(VALU_DEP_1)
	v_pk_mul_f32 v[2:3], v[36:37], v[2:3] op_sel_hi:[0,1]
	v_pk_fma_f32 v[24:25], v[34:35], v[22:23], v[2:3] op_sel_hi:[0,1,1]
	v_pk_fma_f32 v[2:3], v[34:35], v[22:23], v[2:3] neg_lo:[0,0,1] neg_hi:[0,0,1]
	s_delay_alu instid0(VALU_DEP_2)
	v_mov_b32_e32 v3, v25
	s_cbranch_vccnz .LBB218_25
; %bb.24:                               ;   in Loop: Header=BB218_6 Depth=1
	global_load_b64 v[22:23], v[0:1], off
	v_mov_b64_e32 v[24:25], s[6:7]
	v_mov_b64_e32 v[34:35], s[2:3]
	s_mov_b32 s37, 0
	s_wait_loadcnt 0x0
	s_delay_alu instid0(VALU_DEP_2) | instskip(NEXT) | instid1(VALU_DEP_1)
	v_pk_mul_f32 v[24:25], v[22:23], v[24:25]
	v_pk_fma_f32 v[36:37], v[22:23], v[34:35], v[24:25] op_sel:[0,0,1] op_sel_hi:[1,1,0]
	v_pk_fma_f32 v[22:23], v[22:23], v[34:35], v[24:25] op_sel:[0,0,1] op_sel_hi:[1,1,0] neg_lo:[0,0,1] neg_hi:[0,0,1]
	s_delay_alu instid0(VALU_DEP_2) | instskip(NEXT) | instid1(VALU_DEP_1)
	v_mov_b32_e32 v23, v37
	v_pk_add_f32 v[22:23], v[2:3], v[22:23]
	global_store_b64 v[0:1], v[22:23], off
.LBB218_25:                             ;   in Loop: Header=BB218_6 Depth=1
	s_and_not1_b32 vcc_lo, exec_lo, s37
	s_cbranch_vccnz .LBB218_27
; %bb.26:                               ;   in Loop: Header=BB218_6 Depth=1
	global_store_b64 v[0:1], v[2:3], off
.LBB218_27:                             ;   in Loop: Header=BB218_6 Depth=1
	s_wait_xcnt 0x0
	s_or_b32 exec_lo, exec_lo, s36
	v_lshl_add_u64 v[0:1], v[12:13], 3, s[12:13]
	s_and_saveexec_b32 s12, s28
	s_cbranch_execz .LBB218_32
; %bb.28:                               ;   in Loop: Header=BB218_6 Depth=1
	v_mov_b64_e32 v[2:3], s[4:5]
	v_mov_b64_e32 v[22:23], s[24:25]
	s_and_not1_b32 vcc_lo, exec_lo, s18
	s_mov_b32 s13, -1
	s_delay_alu instid0(VALU_DEP_2) | instskip(NEXT) | instid1(VALU_DEP_1)
	v_pk_mul_f32 v[2:3], v[32:33], v[2:3] op_sel_hi:[0,1]
	v_pk_fma_f32 v[24:25], v[30:31], v[22:23], v[2:3] op_sel_hi:[0,1,1]
	v_pk_fma_f32 v[2:3], v[30:31], v[22:23], v[2:3] neg_lo:[0,0,1] neg_hi:[0,0,1]
	v_lshl_add_u64 v[22:23], v[14:15], 3, v[0:1]
	s_delay_alu instid0(VALU_DEP_3)
	v_mov_b32_e32 v3, v25
	s_cbranch_vccnz .LBB218_30
; %bb.29:                               ;   in Loop: Header=BB218_6 Depth=1
	global_load_b64 v[24:25], v[22:23], off
	v_mov_b64_e32 v[30:31], s[6:7]
	v_mov_b64_e32 v[32:33], s[2:3]
	s_mov_b32 s13, 0
	s_wait_loadcnt 0x0
	s_delay_alu instid0(VALU_DEP_2) | instskip(NEXT) | instid1(VALU_DEP_1)
	v_pk_mul_f32 v[30:31], v[24:25], v[30:31]
	v_pk_fma_f32 v[34:35], v[24:25], v[32:33], v[30:31] op_sel:[0,0,1] op_sel_hi:[1,1,0]
	v_pk_fma_f32 v[24:25], v[24:25], v[32:33], v[30:31] op_sel:[0,0,1] op_sel_hi:[1,1,0] neg_lo:[0,0,1] neg_hi:[0,0,1]
	s_delay_alu instid0(VALU_DEP_2) | instskip(NEXT) | instid1(VALU_DEP_1)
	v_mov_b32_e32 v25, v35
	v_pk_add_f32 v[24:25], v[2:3], v[24:25]
	global_store_b64 v[22:23], v[24:25], off
.LBB218_30:                             ;   in Loop: Header=BB218_6 Depth=1
	s_and_not1_b32 vcc_lo, exec_lo, s13
	s_cbranch_vccnz .LBB218_32
; %bb.31:                               ;   in Loop: Header=BB218_6 Depth=1
	global_store_b64 v[22:23], v[2:3], off
.LBB218_32:                             ;   in Loop: Header=BB218_6 Depth=1
	s_wait_xcnt 0x0
	s_or_b32 exec_lo, exec_lo, s12
	s_and_saveexec_b32 s12, s29
	s_cbranch_execz .LBB218_5
; %bb.33:                               ;   in Loop: Header=BB218_6 Depth=1
	v_mov_b64_e32 v[2:3], s[4:5]
	v_mov_b64_e32 v[22:23], s[24:25]
	v_lshl_add_u64 v[0:1], v[18:19], 3, v[0:1]
	s_and_not1_b32 vcc_lo, exec_lo, s18
	s_mov_b32 s13, -1
	s_delay_alu instid0(VALU_DEP_3) | instskip(NEXT) | instid1(VALU_DEP_1)
	v_pk_mul_f32 v[2:3], v[28:29], v[2:3] op_sel_hi:[0,1]
	v_pk_fma_f32 v[24:25], v[26:27], v[22:23], v[2:3] op_sel_hi:[0,1,1]
	v_pk_fma_f32 v[2:3], v[26:27], v[22:23], v[2:3] neg_lo:[0,0,1] neg_hi:[0,0,1]
	s_delay_alu instid0(VALU_DEP_2)
	v_mov_b32_e32 v3, v25
	s_cbranch_vccnz .LBB218_35
; %bb.34:                               ;   in Loop: Header=BB218_6 Depth=1
	global_load_b64 v[22:23], v[0:1], off
	v_mov_b64_e32 v[24:25], s[6:7]
	v_mov_b64_e32 v[30:31], s[2:3]
	s_mov_b32 s13, 0
	s_wait_loadcnt 0x0
	s_delay_alu instid0(VALU_DEP_2) | instskip(NEXT) | instid1(VALU_DEP_1)
	v_pk_mul_f32 v[24:25], v[22:23], v[24:25]
	v_pk_fma_f32 v[32:33], v[22:23], v[30:31], v[24:25] op_sel:[0,0,1] op_sel_hi:[1,1,0]
	v_pk_fma_f32 v[22:23], v[22:23], v[30:31], v[24:25] op_sel:[0,0,1] op_sel_hi:[1,1,0] neg_lo:[0,0,1] neg_hi:[0,0,1]
	s_delay_alu instid0(VALU_DEP_2) | instskip(NEXT) | instid1(VALU_DEP_1)
	v_mov_b32_e32 v23, v33
	v_pk_add_f32 v[22:23], v[2:3], v[22:23]
	global_store_b64 v[0:1], v[22:23], off
.LBB218_35:                             ;   in Loop: Header=BB218_6 Depth=1
	s_and_not1_b32 vcc_lo, exec_lo, s13
	s_cbranch_vccnz .LBB218_5
; %bb.36:                               ;   in Loop: Header=BB218_6 Depth=1
	global_store_b64 v[0:1], v[2:3], off
	s_branch .LBB218_5
.LBB218_37:
	s_endpgm
	.section	.rodata,"a",@progbits
	.p2align	6, 0x0
	.amdhsa_kernel _ZL29rocblas_internal_gemmt_kernelIlLi16ELi32ELi8ELc78ELc67ELc85ELb0ELb1E19rocblas_complex_numIfEPKS1_S3_PS1_EviT_T9_T10_S5_lS7_S5_lS6_T11_S5_li
		.amdhsa_group_segment_fixed_size 4096
		.amdhsa_private_segment_fixed_size 0
		.amdhsa_kernarg_size 108
		.amdhsa_user_sgpr_count 2
		.amdhsa_user_sgpr_dispatch_ptr 0
		.amdhsa_user_sgpr_queue_ptr 0
		.amdhsa_user_sgpr_kernarg_segment_ptr 1
		.amdhsa_user_sgpr_dispatch_id 0
		.amdhsa_user_sgpr_kernarg_preload_length 0
		.amdhsa_user_sgpr_kernarg_preload_offset 0
		.amdhsa_user_sgpr_private_segment_size 0
		.amdhsa_wavefront_size32 1
		.amdhsa_uses_dynamic_stack 0
		.amdhsa_enable_private_segment 0
		.amdhsa_system_sgpr_workgroup_id_x 1
		.amdhsa_system_sgpr_workgroup_id_y 1
		.amdhsa_system_sgpr_workgroup_id_z 1
		.amdhsa_system_sgpr_workgroup_info 0
		.amdhsa_system_vgpr_workitem_id 1
		.amdhsa_next_free_vgpr 58
		.amdhsa_next_free_sgpr 38
		.amdhsa_named_barrier_count 0
		.amdhsa_reserve_vcc 1
		.amdhsa_float_round_mode_32 0
		.amdhsa_float_round_mode_16_64 0
		.amdhsa_float_denorm_mode_32 3
		.amdhsa_float_denorm_mode_16_64 3
		.amdhsa_fp16_overflow 0
		.amdhsa_memory_ordered 1
		.amdhsa_forward_progress 1
		.amdhsa_inst_pref_size 26
		.amdhsa_round_robin_scheduling 0
		.amdhsa_exception_fp_ieee_invalid_op 0
		.amdhsa_exception_fp_denorm_src 0
		.amdhsa_exception_fp_ieee_div_zero 0
		.amdhsa_exception_fp_ieee_overflow 0
		.amdhsa_exception_fp_ieee_underflow 0
		.amdhsa_exception_fp_ieee_inexact 0
		.amdhsa_exception_int_div_zero 0
	.end_amdhsa_kernel
	.section	.text._ZL29rocblas_internal_gemmt_kernelIlLi16ELi32ELi8ELc78ELc67ELc85ELb0ELb1E19rocblas_complex_numIfEPKS1_S3_PS1_EviT_T9_T10_S5_lS7_S5_lS6_T11_S5_li,"axG",@progbits,_ZL29rocblas_internal_gemmt_kernelIlLi16ELi32ELi8ELc78ELc67ELc85ELb0ELb1E19rocblas_complex_numIfEPKS1_S3_PS1_EviT_T9_T10_S5_lS7_S5_lS6_T11_S5_li,comdat
.Lfunc_end218:
	.size	_ZL29rocblas_internal_gemmt_kernelIlLi16ELi32ELi8ELc78ELc67ELc85ELb0ELb1E19rocblas_complex_numIfEPKS1_S3_PS1_EviT_T9_T10_S5_lS7_S5_lS6_T11_S5_li, .Lfunc_end218-_ZL29rocblas_internal_gemmt_kernelIlLi16ELi32ELi8ELc78ELc67ELc85ELb0ELb1E19rocblas_complex_numIfEPKS1_S3_PS1_EviT_T9_T10_S5_lS7_S5_lS6_T11_S5_li
                                        ; -- End function
	.set _ZL29rocblas_internal_gemmt_kernelIlLi16ELi32ELi8ELc78ELc67ELc85ELb0ELb1E19rocblas_complex_numIfEPKS1_S3_PS1_EviT_T9_T10_S5_lS7_S5_lS6_T11_S5_li.num_vgpr, 58
	.set _ZL29rocblas_internal_gemmt_kernelIlLi16ELi32ELi8ELc78ELc67ELc85ELb0ELb1E19rocblas_complex_numIfEPKS1_S3_PS1_EviT_T9_T10_S5_lS7_S5_lS6_T11_S5_li.num_agpr, 0
	.set _ZL29rocblas_internal_gemmt_kernelIlLi16ELi32ELi8ELc78ELc67ELc85ELb0ELb1E19rocblas_complex_numIfEPKS1_S3_PS1_EviT_T9_T10_S5_lS7_S5_lS6_T11_S5_li.numbered_sgpr, 38
	.set _ZL29rocblas_internal_gemmt_kernelIlLi16ELi32ELi8ELc78ELc67ELc85ELb0ELb1E19rocblas_complex_numIfEPKS1_S3_PS1_EviT_T9_T10_S5_lS7_S5_lS6_T11_S5_li.num_named_barrier, 0
	.set _ZL29rocblas_internal_gemmt_kernelIlLi16ELi32ELi8ELc78ELc67ELc85ELb0ELb1E19rocblas_complex_numIfEPKS1_S3_PS1_EviT_T9_T10_S5_lS7_S5_lS6_T11_S5_li.private_seg_size, 0
	.set _ZL29rocblas_internal_gemmt_kernelIlLi16ELi32ELi8ELc78ELc67ELc85ELb0ELb1E19rocblas_complex_numIfEPKS1_S3_PS1_EviT_T9_T10_S5_lS7_S5_lS6_T11_S5_li.uses_vcc, 1
	.set _ZL29rocblas_internal_gemmt_kernelIlLi16ELi32ELi8ELc78ELc67ELc85ELb0ELb1E19rocblas_complex_numIfEPKS1_S3_PS1_EviT_T9_T10_S5_lS7_S5_lS6_T11_S5_li.uses_flat_scratch, 0
	.set _ZL29rocblas_internal_gemmt_kernelIlLi16ELi32ELi8ELc78ELc67ELc85ELb0ELb1E19rocblas_complex_numIfEPKS1_S3_PS1_EviT_T9_T10_S5_lS7_S5_lS6_T11_S5_li.has_dyn_sized_stack, 0
	.set _ZL29rocblas_internal_gemmt_kernelIlLi16ELi32ELi8ELc78ELc67ELc85ELb0ELb1E19rocblas_complex_numIfEPKS1_S3_PS1_EviT_T9_T10_S5_lS7_S5_lS6_T11_S5_li.has_recursion, 0
	.set _ZL29rocblas_internal_gemmt_kernelIlLi16ELi32ELi8ELc78ELc67ELc85ELb0ELb1E19rocblas_complex_numIfEPKS1_S3_PS1_EviT_T9_T10_S5_lS7_S5_lS6_T11_S5_li.has_indirect_call, 0
	.section	.AMDGPU.csdata,"",@progbits
; Kernel info:
; codeLenInByte = 3208
; TotalNumSgprs: 40
; NumVgprs: 58
; ScratchSize: 0
; MemoryBound: 0
; FloatMode: 240
; IeeeMode: 1
; LDSByteSize: 4096 bytes/workgroup (compile time only)
; SGPRBlocks: 0
; VGPRBlocks: 3
; NumSGPRsForWavesPerEU: 40
; NumVGPRsForWavesPerEU: 58
; NamedBarCnt: 0
; Occupancy: 16
; WaveLimiterHint : 0
; COMPUTE_PGM_RSRC2:SCRATCH_EN: 0
; COMPUTE_PGM_RSRC2:USER_SGPR: 2
; COMPUTE_PGM_RSRC2:TRAP_HANDLER: 0
; COMPUTE_PGM_RSRC2:TGID_X_EN: 1
; COMPUTE_PGM_RSRC2:TGID_Y_EN: 1
; COMPUTE_PGM_RSRC2:TGID_Z_EN: 1
; COMPUTE_PGM_RSRC2:TIDIG_COMP_CNT: 1
	.section	.text._ZL29rocblas_internal_gemmt_kernelIlLi16ELi32ELi8ELc84ELc78ELc85ELb0ELb0E19rocblas_complex_numIfEPKS1_S3_PS1_EviT_T9_T10_S5_lS7_S5_lS6_T11_S5_li,"axG",@progbits,_ZL29rocblas_internal_gemmt_kernelIlLi16ELi32ELi8ELc84ELc78ELc85ELb0ELb0E19rocblas_complex_numIfEPKS1_S3_PS1_EviT_T9_T10_S5_lS7_S5_lS6_T11_S5_li,comdat
	.globl	_ZL29rocblas_internal_gemmt_kernelIlLi16ELi32ELi8ELc84ELc78ELc85ELb0ELb0E19rocblas_complex_numIfEPKS1_S3_PS1_EviT_T9_T10_S5_lS7_S5_lS6_T11_S5_li ; -- Begin function _ZL29rocblas_internal_gemmt_kernelIlLi16ELi32ELi8ELc84ELc78ELc85ELb0ELb0E19rocblas_complex_numIfEPKS1_S3_PS1_EviT_T9_T10_S5_lS7_S5_lS6_T11_S5_li
	.p2align	8
	.type	_ZL29rocblas_internal_gemmt_kernelIlLi16ELi32ELi8ELc84ELc78ELc85ELb0ELb0E19rocblas_complex_numIfEPKS1_S3_PS1_EviT_T9_T10_S5_lS7_S5_lS6_T11_S5_li,@function
_ZL29rocblas_internal_gemmt_kernelIlLi16ELi32ELi8ELc84ELc78ELc85ELb0ELb0E19rocblas_complex_numIfEPKS1_S3_PS1_EviT_T9_T10_S5_lS7_S5_lS6_T11_S5_li: ; @_ZL29rocblas_internal_gemmt_kernelIlLi16ELi32ELi8ELc84ELc78ELc85ELb0ELb0E19rocblas_complex_numIfEPKS1_S3_PS1_EviT_T9_T10_S5_lS7_S5_lS6_T11_S5_li
; %bb.0:
	s_load_b256 s[24:31], s[0:1], 0x48
	s_wait_kmcnt 0x0
	s_load_b64 s[6:7], s[24:25], 0x0
	s_load_b512 s[8:23], s[0:1], 0x8
	s_wait_kmcnt 0x0
	s_cmp_neq_f32 s6, 1.0
	s_load_b64 s[24:25], s[10:11], 0x0
	s_cselect_b32 s2, -1, 0
	s_and_b32 s4, s7, 0x7fffffff
	s_delay_alu instid0(SALU_CYCLE_1) | instskip(SKIP_3) | instid1(SALU_CYCLE_1)
	s_cmp_eq_u32 s4, 0
	s_cselect_b32 s3, -1, 0
	s_cmp_lg_u32 s4, 0
	s_cselect_b32 s4, -1, 0
	s_or_b32 s2, s2, s4
	s_delay_alu instid0(SALU_CYCLE_1)
	s_and_b32 vcc_lo, exec_lo, s2
	s_cbranch_vccnz .LBB219_2
; %bb.1:
	s_cmp_lg_u64 s[8:9], 0
	s_cselect_b32 s2, -1, 0
	s_wait_kmcnt 0x0
	s_cmp_neq_f32 s24, 0
	s_cselect_b32 s4, -1, 0
	s_cmp_neq_f32 s25, 0
	s_cselect_b32 s5, -1, 0
	s_delay_alu instid0(SALU_CYCLE_1) | instskip(NEXT) | instid1(SALU_CYCLE_1)
	s_or_b32 s4, s4, s5
	s_and_b32 s2, s2, s4
.LBB219_2:
	s_delay_alu instid0(SALU_CYCLE_1)
	s_and_not1_b32 vcc_lo, exec_lo, s2
	s_cbranch_vccnz .LBB219_35
; %bb.3:
	s_load_b32 s33, s[0:1], 0x68
	s_bfe_u32 s2, ttmp6, 0x40014
	s_lshr_b32 s4, ttmp7, 16
	s_add_co_i32 s2, s2, 1
	s_wait_xcnt 0x0
	s_bfe_u32 s10, ttmp6, 0x40008
	s_mul_i32 s5, s4, s2
	s_getreg_b32 s2, hwreg(HW_REG_IB_STS2, 6, 4)
	s_add_co_i32 s10, s10, s5
	s_cmp_eq_u32 s2, 0
	s_mov_b32 s11, 0
	s_cselect_b32 s10, s4, s10
	s_wait_kmcnt 0x0
	s_cmp_ge_u32 s10, s33
	s_cbranch_scc1 .LBB219_35
; %bb.4:
	v_and_b32_e32 v7, 0x3ff, v0
	v_bfe_u32 v9, v0, 10, 10
	s_bfe_u32 s5, ttmp6, 0x4000c
	s_bfe_u32 s35, ttmp6, 0x40010
	s_and_b32 s34, ttmp7, 0xffff
	s_add_co_i32 s5, s5, 1
	s_add_co_i32 s35, s35, 1
	v_lshl_add_u32 v6, v9, 4, v7
	s_and_b32 s4, ttmp6, 15
	s_mul_i32 s5, ttmp9, s5
	s_mul_i32 s35, s34, s35
	s_bfe_u32 s36, ttmp6, 0x40004
	s_add_co_i32 s4, s4, s5
	s_add_co_i32 s36, s36, s35
	s_cmp_eq_u32 s2, 0
	v_dual_lshrrev_b32 v10, 3, v6 :: v_dual_bitop2_b32 v11, 31, v6 bitop3:0x40
	s_cselect_b32 s2, ttmp9, s4
	s_cselect_b32 s4, s34, s36
	s_lshl_b32 s2, s2, 5
	s_lshl_b32 s4, s4, 5
	s_delay_alu instid0(SALU_CYCLE_1) | instskip(SKIP_2) | instid1(VALU_DEP_3)
	v_dual_add_nc_u32 v16, s4, v10 :: v_dual_bitop2_b32 v2, s2, v11 bitop3:0x54
	v_dual_add_nc_u32 v20, s4, v9 :: v_dual_add_nc_u32 v8, s2, v7
	v_dual_lshlrev_b32 v5, 3, v7 :: v_dual_bitop2_b32 v4, 7, v0 bitop3:0x40
	v_dual_ashrrev_i32 v3, 31, v2 :: v_dual_ashrrev_i32 v17, 31, v16
	s_delay_alu instid0(VALU_DEP_3) | instskip(SKIP_1) | instid1(VALU_DEP_3)
	v_dual_lshlrev_b32 v7, 3, v11 :: v_dual_add_nc_u32 v22, 16, v20
	v_ashrrev_i32_e32 v21, 31, v20
	v_mul_u64_e32 v[0:1], s[14:15], v[2:3]
	s_delay_alu instid0(VALU_DEP_4)
	v_mul_u64_e32 v[18:19], s[20:21], v[16:17]
	s_load_b32 s5, s[0:1], 0x0
	v_ashrrev_i32_e32 v23, 31, v22
	v_mul_u64_e32 v[12:13], s[28:29], v[20:21]
	s_cmp_neq_f32 s24, 0
	v_dual_lshlrev_b32 v3, 3, v4 :: v_dual_lshrrev_b32 v6, 5, v6
	s_delay_alu instid0(VALU_DEP_3)
	v_mul_u64_e32 v[14:15], s[28:29], v[22:23]
	s_wait_xcnt 0x0
	s_cselect_b32 s1, -1, 0
	s_cmp_neq_f32 s25, 0
	v_lshl_or_b32 v3, v10, 6, v3
	v_cmp_le_i32_e32 vcc_lo, v8, v20
	v_add_nc_u32_e32 v10, 16, v8
	s_cselect_b32 s2, -1, 0
	v_cmp_gt_i64_e64 s21, s[8:9], 0
	s_or_b32 s28, s1, s2
	s_cmp_neq_f32 s6, 0
	v_lshl_add_u32 v29, v9, 6, 0x800
	v_ashrrev_i32_e32 v9, 31, v8
	v_lshl_or_b32 v7, v6, 8, v7
	s_cselect_b32 s4, -1, 0
	s_wait_kmcnt 0x0
	v_cmp_gt_i32_e64 s2, s5, v20
	s_xor_b32 s3, s3, -1
	v_cmp_gt_i32_e64 s0, s5, v2
	v_cmp_gt_i32_e64 s1, s5, v16
	s_or_b32 s14, s4, s3
	s_and_b32 s15, s2, vcc_lo
	v_cmp_le_i32_e32 vcc_lo, v10, v20
	v_cmp_gt_i32_e64 s3, s5, v22
	v_cmp_le_i32_e64 s4, v8, v22
	v_cmp_le_i32_e64 s5, v10, v22
	v_add_nc_u32_e32 v27, 0x800, v3
	v_lshl_add_u64 v[16:17], v[0:1], 3, s[12:13]
	v_lshl_add_u64 v[18:19], v[18:19], 3, s[18:19]
	v_dual_ashrrev_i32 v11, 31, v10 :: v_dual_mov_b32 v21, 0
	s_and_b32 s18, s2, vcc_lo
	s_and_b32 s19, s3, s4
	s_and_b32 s20, s3, s5
	s_mov_b32 s2, s6
	s_mov_b32 s3, s6
	s_and_b32 s21, s28, s21
	s_mov_b32 s6, s7
	s_mov_b32 s4, s25
	;; [unrolled: 1-line block ×3, first 2 shown]
	s_branch .LBB219_6
.LBB219_5:                              ;   in Loop: Header=BB219_6 Depth=1
	s_wait_xcnt 0x0
	s_or_b32 exec_lo, exec_lo, s12
	s_add_co_i32 s10, s10, 0x10000
	s_delay_alu instid0(SALU_CYCLE_1)
	s_cmp_lt_u32 s10, s33
	s_cbranch_scc0 .LBB219_35
.LBB219_6:                              ; =>This Loop Header: Depth=1
                                        ;     Child Loop BB219_9 Depth 2
	v_dual_mov_b32 v38, v21 :: v_dual_mov_b32 v40, v21
	v_dual_mov_b32 v34, v21 :: v_dual_mov_b32 v36, v21
	;; [unrolled: 1-line block ×4, first 2 shown]
	s_and_not1_b32 vcc_lo, exec_lo, s21
	s_cbranch_vccnz .LBB219_15
; %bb.7:                                ;   in Loop: Header=BB219_6 Depth=1
	s_mul_u64 s[12:13], s[16:17], s[10:11]
	s_mul_u64 s[28:29], s[22:23], s[10:11]
	v_lshl_add_u64 v[22:23], s[12:13], 3, v[16:17]
	v_lshl_add_u64 v[24:25], s[28:29], 3, v[18:19]
	v_dual_mov_b32 v28, 0 :: v_dual_mov_b32 v26, 0
	v_dual_mov_b32 v32, 0 :: v_dual_mov_b32 v30, 0
	;; [unrolled: 1-line block ×4, first 2 shown]
	s_mov_b64 s[12:13], 0
	s_branch .LBB219_9
.LBB219_8:                              ;   in Loop: Header=BB219_9 Depth=2
	s_wait_xcnt 0x0
	s_or_b32 exec_lo, exec_lo, s28
	s_wait_loadcnt 0x0
	ds_store_b64 v27, v[2:3]
	s_wait_dscnt 0x0
	s_barrier_signal -1
	s_barrier_wait -1
	ds_load_b128 v[42:45], v29
	ds_load_b128 v[46:49], v29 offset:16
	ds_load_b128 v[50:53], v29 offset:32
	;; [unrolled: 1-line block ×3, first 2 shown]
	ds_load_2addr_b64 v[54:57], v5 offset1:16
	s_add_nc_u64 s[12:13], s[12:13], 8
	s_delay_alu instid0(SALU_CYCLE_1) | instskip(SKIP_3) | instid1(VALU_DEP_1)
	v_cmp_gt_i64_e64 s28, s[8:9], s[12:13]
	s_and_b32 vcc_lo, exec_lo, s28
	s_wait_dscnt 0x0
	v_dual_mul_f32 v20, v43, v55 :: v_dual_mul_f32 v31, v42, v55
	v_dual_mul_f32 v33, v42, v57 :: v_dual_fma_f32 v20, v42, v54, -v20
	s_delay_alu instid0(VALU_DEP_1) | instskip(NEXT) | instid1(VALU_DEP_1)
	v_dual_fmac_f32 v31, v43, v54 :: v_dual_fmac_f32 v33, v43, v56
	v_dual_add_f32 v20, v38, v20 :: v_dual_add_f32 v38, v40, v31
	v_mul_f32_e32 v31, v43, v57
	s_delay_alu instid0(VALU_DEP_1) | instskip(NEXT) | instid1(VALU_DEP_1)
	v_dual_add_f32 v40, v36, v33 :: v_dual_fma_f32 v31, v42, v56, -v31
	v_add_f32_e32 v39, v34, v31
	ds_load_b128 v[34:37], v29 offset:1024
	s_wait_dscnt 0x0
	v_dual_mul_f32 v31, v35, v55 :: v_dual_mul_f32 v33, v34, v55
	s_delay_alu instid0(VALU_DEP_1) | instskip(NEXT) | instid1(VALU_DEP_1)
	v_dual_fma_f32 v31, v34, v54, -v31 :: v_dual_fmac_f32 v33, v35, v54
	v_dual_add_f32 v41, v30, v31 :: v_dual_add_f32 v42, v32, v33
	v_dual_mul_f32 v30, v35, v57 :: v_dual_mul_f32 v31, v34, v57
	s_delay_alu instid0(VALU_DEP_1) | instskip(NEXT) | instid1(VALU_DEP_1)
	v_dual_fma_f32 v30, v34, v56, -v30 :: v_dual_fmac_f32 v31, v35, v56
	v_dual_add_f32 v26, v26, v30 :: v_dual_add_f32 v28, v28, v31
	ds_load_2addr_b64 v[30:33], v5 offset0:32 offset1:48
	s_wait_dscnt 0x0
	v_dual_mul_f32 v34, v45, v31 :: v_dual_mul_f32 v35, v44, v31
	s_delay_alu instid0(VALU_DEP_1) | instskip(NEXT) | instid1(VALU_DEP_1)
	v_dual_fma_f32 v34, v44, v30, -v34 :: v_dual_fmac_f32 v35, v45, v30
	v_dual_add_f32 v20, v20, v34 :: v_dual_add_f32 v34, v38, v35
	v_dual_mul_f32 v35, v45, v33 :: v_dual_mul_f32 v38, v44, v33
	s_delay_alu instid0(VALU_DEP_1) | instskip(NEXT) | instid1(VALU_DEP_1)
	v_dual_fma_f32 v35, v44, v32, -v35 :: v_dual_fmac_f32 v38, v45, v32
	v_dual_add_f32 v35, v39, v35 :: v_dual_add_f32 v38, v40, v38
	v_dual_mul_f32 v39, v37, v31 :: v_dual_mul_f32 v31, v36, v31
	s_delay_alu instid0(VALU_DEP_1) | instskip(NEXT) | instid1(VALU_DEP_2)
	v_fmac_f32_e32 v31, v37, v30
	v_dual_fma_f32 v39, v36, v30, -v39 :: v_dual_mul_f32 v30, v37, v33
	s_delay_alu instid0(VALU_DEP_2) | instskip(NEXT) | instid1(VALU_DEP_2)
	v_add_f32_e32 v40, v42, v31
	v_dual_add_f32 v39, v41, v39 :: v_dual_fma_f32 v30, v36, v32, -v30
	s_delay_alu instid0(VALU_DEP_1) | instskip(NEXT) | instid1(VALU_DEP_1)
	v_dual_mul_f32 v31, v36, v33 :: v_dual_add_f32 v26, v26, v30
	v_fmac_f32_e32 v31, v37, v32
	s_delay_alu instid0(VALU_DEP_1) | instskip(SKIP_3) | instid1(VALU_DEP_1)
	v_add_f32_e32 v28, v28, v31
	ds_load_2addr_b64 v[30:33], v5 offset0:64 offset1:80
	s_wait_dscnt 0x0
	v_mul_f32_e32 v36, v47, v31
	v_dual_fma_f32 v36, v46, v30, -v36 :: v_dual_mul_f32 v37, v46, v31
	s_delay_alu instid0(VALU_DEP_1) | instskip(SKIP_1) | instid1(VALU_DEP_2)
	v_dual_add_f32 v20, v20, v36 :: v_dual_fmac_f32 v37, v47, v30
	v_mul_f32_e32 v36, v46, v33
	v_add_f32_e32 v41, v34, v37
	v_mul_f32_e32 v34, v47, v33
	s_delay_alu instid0(VALU_DEP_1) | instskip(NEXT) | instid1(VALU_DEP_1)
	v_fma_f32 v34, v46, v32, -v34
	v_add_f32_e32 v42, v35, v34
	v_fmac_f32_e32 v36, v47, v32
	s_delay_alu instid0(VALU_DEP_1) | instskip(SKIP_3) | instid1(VALU_DEP_1)
	v_add_f32_e32 v38, v38, v36
	ds_load_b128 v[34:37], v29 offset:1040
	s_wait_dscnt 0x0
	v_dual_mul_f32 v43, v35, v31 :: v_dual_mul_f32 v31, v34, v31
	v_fma_f32 v43, v34, v30, -v43
	s_delay_alu instid0(VALU_DEP_2) | instskip(NEXT) | instid1(VALU_DEP_2)
	v_dual_fmac_f32 v31, v35, v30 :: v_dual_mul_f32 v30, v35, v33
	v_add_f32_e32 v39, v39, v43
	s_delay_alu instid0(VALU_DEP_2) | instskip(NEXT) | instid1(VALU_DEP_1)
	v_dual_add_f32 v40, v40, v31 :: v_dual_mul_f32 v31, v34, v33
	v_dual_fma_f32 v30, v34, v32, -v30 :: v_dual_fmac_f32 v31, v35, v32
	s_delay_alu instid0(VALU_DEP_1) | instskip(SKIP_3) | instid1(VALU_DEP_1)
	v_dual_add_f32 v26, v26, v30 :: v_dual_add_f32 v28, v28, v31
	ds_load_2addr_b64 v[30:33], v5 offset0:96 offset1:112
	s_wait_dscnt 0x0
	v_dual_mul_f32 v34, v49, v31 :: v_dual_mul_f32 v35, v48, v31
	v_dual_fma_f32 v34, v48, v30, -v34 :: v_dual_fmac_f32 v35, v49, v30
	s_delay_alu instid0(VALU_DEP_1) | instskip(SKIP_1) | instid1(VALU_DEP_1)
	v_dual_add_f32 v20, v20, v34 :: v_dual_add_f32 v34, v41, v35
	v_mul_f32_e32 v41, v48, v33
	v_fmac_f32_e32 v41, v49, v32
	s_delay_alu instid0(VALU_DEP_1) | instskip(SKIP_1) | instid1(VALU_DEP_2)
	v_dual_add_f32 v38, v38, v41 :: v_dual_mul_f32 v41, v37, v31
	v_dual_mul_f32 v35, v49, v33 :: v_dual_mul_f32 v31, v36, v31
	v_fma_f32 v41, v36, v30, -v41
	s_delay_alu instid0(VALU_DEP_2) | instskip(NEXT) | instid1(VALU_DEP_3)
	v_fma_f32 v35, v48, v32, -v35
	v_dual_fmac_f32 v31, v37, v30 :: v_dual_mul_f32 v30, v37, v33
	s_delay_alu instid0(VALU_DEP_2) | instskip(NEXT) | instid1(VALU_DEP_2)
	v_dual_add_f32 v39, v39, v41 :: v_dual_add_f32 v35, v42, v35
	v_add_f32_e32 v40, v40, v31
	s_delay_alu instid0(VALU_DEP_3) | instskip(NEXT) | instid1(VALU_DEP_1)
	v_dual_fma_f32 v30, v36, v32, -v30 :: v_dual_mul_f32 v31, v36, v33
	v_dual_fmac_f32 v31, v37, v32 :: v_dual_add_f32 v26, v26, v30
	s_delay_alu instid0(VALU_DEP_1) | instskip(SKIP_3) | instid1(VALU_DEP_1)
	v_add_f32_e32 v28, v28, v31
	ds_load_2addr_b64 v[30:33], v5 offset0:128 offset1:144
	s_wait_dscnt 0x0
	v_dual_mul_f32 v36, v51, v31 :: v_dual_mul_f32 v37, v50, v31
	v_dual_fma_f32 v36, v50, v30, -v36 :: v_dual_fmac_f32 v37, v51, v30
	s_delay_alu instid0(VALU_DEP_1) | instskip(SKIP_1) | instid1(VALU_DEP_1)
	v_dual_add_f32 v20, v20, v36 :: v_dual_add_f32 v41, v34, v37
	v_dual_mul_f32 v34, v51, v33 :: v_dual_mul_f32 v36, v50, v33
	v_dual_fma_f32 v34, v50, v32, -v34 :: v_dual_fmac_f32 v36, v51, v32
	s_delay_alu instid0(VALU_DEP_1) | instskip(SKIP_3) | instid1(VALU_DEP_1)
	v_dual_add_f32 v42, v35, v34 :: v_dual_add_f32 v38, v38, v36
	ds_load_b128 v[34:37], v29 offset:1056
	s_wait_dscnt 0x0
	v_dual_mul_f32 v43, v35, v31 :: v_dual_mul_f32 v31, v34, v31
	v_fmac_f32_e32 v31, v35, v30
	s_delay_alu instid0(VALU_DEP_2) | instskip(NEXT) | instid1(VALU_DEP_2)
	v_dual_fma_f32 v43, v34, v30, -v43 :: v_dual_mul_f32 v30, v35, v33
	v_dual_add_f32 v40, v40, v31 :: v_dual_mul_f32 v31, v34, v33
	s_delay_alu instid0(VALU_DEP_2) | instskip(NEXT) | instid1(VALU_DEP_1)
	v_dual_add_f32 v39, v39, v43 :: v_dual_fma_f32 v30, v34, v32, -v30
	v_dual_fmac_f32 v31, v35, v32 :: v_dual_add_f32 v26, v26, v30
	s_delay_alu instid0(VALU_DEP_1) | instskip(SKIP_3) | instid1(VALU_DEP_1)
	v_add_f32_e32 v28, v28, v31
	ds_load_2addr_b64 v[30:33], v5 offset0:160 offset1:176
	s_wait_dscnt 0x0
	v_dual_mul_f32 v34, v53, v31 :: v_dual_mul_f32 v35, v52, v31
	v_dual_fma_f32 v34, v52, v30, -v34 :: v_dual_fmac_f32 v35, v53, v30
	s_delay_alu instid0(VALU_DEP_1) | instskip(SKIP_1) | instid1(VALU_DEP_1)
	v_dual_add_f32 v20, v20, v34 :: v_dual_add_f32 v34, v41, v35
	v_mul_f32_e32 v41, v52, v33
	v_fmac_f32_e32 v41, v53, v32
	s_delay_alu instid0(VALU_DEP_1) | instskip(SKIP_1) | instid1(VALU_DEP_2)
	v_dual_add_f32 v38, v38, v41 :: v_dual_mul_f32 v41, v37, v31
	v_dual_mul_f32 v35, v53, v33 :: v_dual_mul_f32 v31, v36, v31
	v_fma_f32 v41, v36, v30, -v41
	s_delay_alu instid0(VALU_DEP_2) | instskip(NEXT) | instid1(VALU_DEP_3)
	v_fma_f32 v35, v52, v32, -v35
	v_dual_fmac_f32 v31, v37, v30 :: v_dual_mul_f32 v30, v37, v33
	s_delay_alu instid0(VALU_DEP_2) | instskip(NEXT) | instid1(VALU_DEP_2)
	v_dual_add_f32 v39, v39, v41 :: v_dual_add_f32 v35, v42, v35
	v_add_f32_e32 v44, v40, v31
	s_delay_alu instid0(VALU_DEP_3) | instskip(SKIP_2) | instid1(VALU_DEP_1)
	v_dual_fma_f32 v30, v36, v32, -v30 :: v_dual_mul_f32 v31, v36, v33
	ds_load_b128 v[40:43], v29 offset:1072
	v_dual_fmac_f32 v31, v37, v32 :: v_dual_add_f32 v26, v26, v30
	v_add_f32_e32 v28, v28, v31
	ds_load_2addr_b64 v[30:33], v5 offset0:192 offset1:208
	s_wait_dscnt 0x0
	v_dual_mul_f32 v36, v1, v31 :: v_dual_mul_f32 v37, v0, v31
	s_delay_alu instid0(VALU_DEP_1) | instskip(NEXT) | instid1(VALU_DEP_1)
	v_dual_fma_f32 v36, v0, v30, -v36 :: v_dual_fmac_f32 v37, v1, v30
	v_dual_add_f32 v20, v20, v36 :: v_dual_add_f32 v34, v34, v37
	v_mul_f32_e32 v36, v1, v33
	s_delay_alu instid0(VALU_DEP_1) | instskip(NEXT) | instid1(VALU_DEP_1)
	v_dual_fma_f32 v36, v0, v32, -v36 :: v_dual_mul_f32 v0, v0, v33
	v_fmac_f32_e32 v0, v1, v32
	s_delay_alu instid0(VALU_DEP_2) | instskip(NEXT) | instid1(VALU_DEP_1)
	v_dual_add_f32 v1, v35, v36 :: v_dual_mul_f32 v35, v41, v31
	v_dual_mul_f32 v31, v40, v31 :: v_dual_fma_f32 v35, v40, v30, -v35
	s_delay_alu instid0(VALU_DEP_1) | instskip(NEXT) | instid1(VALU_DEP_2)
	v_dual_add_f32 v0, v38, v0 :: v_dual_fmac_f32 v31, v41, v30
	v_dual_add_f32 v30, v39, v35 :: v_dual_mul_f32 v35, v41, v33
	v_mul_f32_e32 v33, v40, v33
	s_delay_alu instid0(VALU_DEP_3)
	v_add_f32_e32 v31, v44, v31
	ds_load_2addr_b64 v[44:47], v5 offset0:224 offset1:240
	s_wait_dscnt 0x0
	v_dual_fma_f32 v35, v40, v32, -v35 :: v_dual_fmac_f32 v33, v41, v32
	s_barrier_signal -1
	s_barrier_wait -1
	s_delay_alu instid0(VALU_DEP_1) | instskip(SKIP_1) | instid1(VALU_DEP_1)
	v_dual_add_f32 v26, v26, v35 :: v_dual_add_f32 v28, v28, v33
	v_dual_mul_f32 v32, v3, v45 :: v_dual_mul_f32 v33, v2, v45
	v_dual_fma_f32 v32, v2, v44, -v32 :: v_dual_fmac_f32 v33, v3, v44
	s_delay_alu instid0(VALU_DEP_1) | instskip(SKIP_1) | instid1(VALU_DEP_1)
	v_dual_add_f32 v38, v20, v32 :: v_dual_add_f32 v40, v34, v33
	v_mul_f32_e32 v20, v3, v47
	v_dual_fma_f32 v20, v2, v46, -v20 :: v_dual_mul_f32 v2, v2, v47
	s_delay_alu instid0(VALU_DEP_1) | instskip(NEXT) | instid1(VALU_DEP_1)
	v_dual_fmac_f32 v2, v3, v46 :: v_dual_add_f32 v34, v1, v20
	v_dual_mul_f32 v1, v42, v45 :: v_dual_add_f32 v36, v0, v2
	s_delay_alu instid0(VALU_DEP_1) | instskip(NEXT) | instid1(VALU_DEP_1)
	v_dual_mul_f32 v0, v43, v45 :: v_dual_fmac_f32 v1, v43, v44
	v_dual_fma_f32 v0, v42, v44, -v0 :: v_dual_add_f32 v32, v31, v1
	v_mul_f32_e32 v1, v42, v47
	s_delay_alu instid0(VALU_DEP_2) | instskip(NEXT) | instid1(VALU_DEP_1)
	v_dual_add_f32 v30, v30, v0 :: v_dual_mul_f32 v0, v43, v47
	v_dual_fmac_f32 v1, v43, v46 :: v_dual_fma_f32 v0, v42, v46, -v0
	s_delay_alu instid0(VALU_DEP_1)
	v_dual_add_f32 v28, v28, v1 :: v_dual_add_f32 v26, v26, v0
	s_cbranch_vccz .LBB219_15
.LBB219_9:                              ;   Parent Loop BB219_6 Depth=1
                                        ; =>  This Inner Loop Header: Depth=2
	v_dual_mov_b32 v0, 0 :: v_dual_mov_b32 v1, 0
	s_and_saveexec_b32 s28, s0
	s_cbranch_execz .LBB219_13
; %bb.10:                               ;   in Loop: Header=BB219_9 Depth=2
	v_dual_mov_b32 v1, 0 :: v_dual_add_nc_u32 v20, s12, v6
	v_mov_b32_e32 v0, 0
	s_mov_b32 s29, exec_lo
	s_delay_alu instid0(VALU_DEP_2)
	v_cmpx_gt_u64_e64 s[8:9], v[20:21]
	s_cbranch_execz .LBB219_12
; %bb.11:                               ;   in Loop: Header=BB219_9 Depth=2
	v_lshl_add_u64 v[0:1], v[20:21], 3, v[22:23]
	global_load_b64 v[0:1], v[0:1], off
.LBB219_12:                             ;   in Loop: Header=BB219_9 Depth=2
	s_wait_xcnt 0x0
	s_or_b32 exec_lo, exec_lo, s29
.LBB219_13:                             ;   in Loop: Header=BB219_9 Depth=2
	s_delay_alu instid0(SALU_CYCLE_1)
	s_or_b32 exec_lo, exec_lo, s28
	v_dual_add_nc_u32 v20, s12, v4 :: v_dual_mov_b32 v2, 0
	v_mov_b32_e32 v3, 0
	s_wait_loadcnt 0x0
	ds_store_b64 v7, v[0:1]
	v_cmp_gt_u64_e32 vcc_lo, s[8:9], v[20:21]
	s_and_b32 s29, vcc_lo, s1
	s_delay_alu instid0(SALU_CYCLE_1)
	s_and_saveexec_b32 s28, s29
	s_cbranch_execz .LBB219_8
; %bb.14:                               ;   in Loop: Header=BB219_9 Depth=2
	v_lshl_add_u64 v[0:1], v[20:21], 3, v[24:25]
	global_load_b64 v[2:3], v[0:1], off
	s_branch .LBB219_8
.LBB219_15:                             ;   in Loop: Header=BB219_6 Depth=1
	s_mul_u64 s[12:13], s[30:31], s[10:11]
	s_delay_alu instid0(SALU_CYCLE_1) | instskip(NEXT) | instid1(SALU_CYCLE_1)
	s_lshl_b64 s[12:13], s[12:13], 3
	s_add_nc_u64 s[12:13], s[26:27], s[12:13]
	s_delay_alu instid0(SALU_CYCLE_1)
	v_lshl_add_u64 v[0:1], v[12:13], 3, s[12:13]
	s_and_saveexec_b32 s28, s15
	s_cbranch_execz .LBB219_20
; %bb.16:                               ;   in Loop: Header=BB219_6 Depth=1
	v_mov_b64_e32 v[2:3], s[4:5]
	v_mov_b64_e32 v[22:23], s[24:25]
	s_and_b32 vcc_lo, exec_lo, s14
	s_mov_b32 s29, -1
	s_delay_alu instid0(VALU_DEP_2) | instskip(NEXT) | instid1(VALU_DEP_1)
	v_pk_mul_f32 v[2:3], v[40:41], v[2:3] op_sel_hi:[0,1]
	v_pk_fma_f32 v[24:25], v[38:39], v[22:23], v[2:3] op_sel_hi:[0,1,1]
	v_pk_fma_f32 v[2:3], v[38:39], v[22:23], v[2:3] neg_lo:[0,0,1] neg_hi:[0,0,1]
	v_lshl_add_u64 v[22:23], v[8:9], 3, v[0:1]
	s_delay_alu instid0(VALU_DEP_3)
	v_mov_b32_e32 v3, v25
	s_cbranch_vccz .LBB219_18
; %bb.17:                               ;   in Loop: Header=BB219_6 Depth=1
	global_load_b64 v[24:25], v[22:23], off
	v_mov_b64_e32 v[38:39], s[6:7]
	v_mov_b64_e32 v[40:41], s[2:3]
	s_mov_b32 s29, 0
	s_wait_loadcnt 0x0
	s_delay_alu instid0(VALU_DEP_2) | instskip(NEXT) | instid1(VALU_DEP_1)
	v_pk_mul_f32 v[38:39], v[24:25], v[38:39]
	v_pk_fma_f32 v[42:43], v[24:25], v[40:41], v[38:39] op_sel:[0,0,1] op_sel_hi:[1,1,0]
	v_pk_fma_f32 v[24:25], v[24:25], v[40:41], v[38:39] op_sel:[0,0,1] op_sel_hi:[1,1,0] neg_lo:[0,0,1] neg_hi:[0,0,1]
	s_delay_alu instid0(VALU_DEP_2) | instskip(NEXT) | instid1(VALU_DEP_1)
	v_mov_b32_e32 v25, v43
	v_pk_add_f32 v[24:25], v[2:3], v[24:25]
	global_store_b64 v[22:23], v[24:25], off
.LBB219_18:                             ;   in Loop: Header=BB219_6 Depth=1
	s_and_not1_b32 vcc_lo, exec_lo, s29
	s_cbranch_vccnz .LBB219_20
; %bb.19:                               ;   in Loop: Header=BB219_6 Depth=1
	global_store_b64 v[22:23], v[2:3], off
.LBB219_20:                             ;   in Loop: Header=BB219_6 Depth=1
	s_wait_xcnt 0x0
	s_or_b32 exec_lo, exec_lo, s28
	s_and_saveexec_b32 s28, s18
	s_cbranch_execz .LBB219_25
; %bb.21:                               ;   in Loop: Header=BB219_6 Depth=1
	v_mov_b64_e32 v[2:3], s[4:5]
	v_mov_b64_e32 v[22:23], s[24:25]
	v_lshl_add_u64 v[0:1], v[10:11], 3, v[0:1]
	s_and_not1_b32 vcc_lo, exec_lo, s14
	s_mov_b32 s29, -1
	s_delay_alu instid0(VALU_DEP_3) | instskip(NEXT) | instid1(VALU_DEP_1)
	v_pk_mul_f32 v[2:3], v[36:37], v[2:3] op_sel_hi:[0,1]
	v_pk_fma_f32 v[24:25], v[34:35], v[22:23], v[2:3] op_sel_hi:[0,1,1]
	v_pk_fma_f32 v[2:3], v[34:35], v[22:23], v[2:3] neg_lo:[0,0,1] neg_hi:[0,0,1]
	s_delay_alu instid0(VALU_DEP_2)
	v_mov_b32_e32 v3, v25
	s_cbranch_vccnz .LBB219_23
; %bb.22:                               ;   in Loop: Header=BB219_6 Depth=1
	global_load_b64 v[22:23], v[0:1], off
	v_mov_b64_e32 v[24:25], s[6:7]
	v_mov_b64_e32 v[34:35], s[2:3]
	s_mov_b32 s29, 0
	s_wait_loadcnt 0x0
	s_delay_alu instid0(VALU_DEP_2) | instskip(NEXT) | instid1(VALU_DEP_1)
	v_pk_mul_f32 v[24:25], v[22:23], v[24:25]
	v_pk_fma_f32 v[36:37], v[22:23], v[34:35], v[24:25] op_sel:[0,0,1] op_sel_hi:[1,1,0]
	v_pk_fma_f32 v[22:23], v[22:23], v[34:35], v[24:25] op_sel:[0,0,1] op_sel_hi:[1,1,0] neg_lo:[0,0,1] neg_hi:[0,0,1]
	s_delay_alu instid0(VALU_DEP_2) | instskip(NEXT) | instid1(VALU_DEP_1)
	v_mov_b32_e32 v23, v37
	v_pk_add_f32 v[22:23], v[2:3], v[22:23]
	global_store_b64 v[0:1], v[22:23], off
.LBB219_23:                             ;   in Loop: Header=BB219_6 Depth=1
	s_and_not1_b32 vcc_lo, exec_lo, s29
	s_cbranch_vccnz .LBB219_25
; %bb.24:                               ;   in Loop: Header=BB219_6 Depth=1
	global_store_b64 v[0:1], v[2:3], off
.LBB219_25:                             ;   in Loop: Header=BB219_6 Depth=1
	s_wait_xcnt 0x0
	s_or_b32 exec_lo, exec_lo, s28
	v_lshl_add_u64 v[0:1], v[14:15], 3, s[12:13]
	s_and_saveexec_b32 s12, s19
	s_cbranch_execz .LBB219_30
; %bb.26:                               ;   in Loop: Header=BB219_6 Depth=1
	v_mov_b64_e32 v[2:3], s[4:5]
	v_mov_b64_e32 v[22:23], s[24:25]
	s_and_not1_b32 vcc_lo, exec_lo, s14
	s_mov_b32 s13, -1
	s_delay_alu instid0(VALU_DEP_2) | instskip(NEXT) | instid1(VALU_DEP_1)
	v_pk_mul_f32 v[2:3], v[32:33], v[2:3] op_sel_hi:[0,1]
	v_pk_fma_f32 v[24:25], v[30:31], v[22:23], v[2:3] op_sel_hi:[0,1,1]
	v_pk_fma_f32 v[2:3], v[30:31], v[22:23], v[2:3] neg_lo:[0,0,1] neg_hi:[0,0,1]
	v_lshl_add_u64 v[22:23], v[8:9], 3, v[0:1]
	s_delay_alu instid0(VALU_DEP_3)
	v_mov_b32_e32 v3, v25
	s_cbranch_vccnz .LBB219_28
; %bb.27:                               ;   in Loop: Header=BB219_6 Depth=1
	global_load_b64 v[24:25], v[22:23], off
	v_mov_b64_e32 v[30:31], s[6:7]
	v_mov_b64_e32 v[32:33], s[2:3]
	s_mov_b32 s13, 0
	s_wait_loadcnt 0x0
	s_delay_alu instid0(VALU_DEP_2) | instskip(NEXT) | instid1(VALU_DEP_1)
	v_pk_mul_f32 v[30:31], v[24:25], v[30:31]
	v_pk_fma_f32 v[34:35], v[24:25], v[32:33], v[30:31] op_sel:[0,0,1] op_sel_hi:[1,1,0]
	v_pk_fma_f32 v[24:25], v[24:25], v[32:33], v[30:31] op_sel:[0,0,1] op_sel_hi:[1,1,0] neg_lo:[0,0,1] neg_hi:[0,0,1]
	s_delay_alu instid0(VALU_DEP_2) | instskip(NEXT) | instid1(VALU_DEP_1)
	v_mov_b32_e32 v25, v35
	v_pk_add_f32 v[24:25], v[2:3], v[24:25]
	global_store_b64 v[22:23], v[24:25], off
.LBB219_28:                             ;   in Loop: Header=BB219_6 Depth=1
	s_and_not1_b32 vcc_lo, exec_lo, s13
	s_cbranch_vccnz .LBB219_30
; %bb.29:                               ;   in Loop: Header=BB219_6 Depth=1
	global_store_b64 v[22:23], v[2:3], off
.LBB219_30:                             ;   in Loop: Header=BB219_6 Depth=1
	s_wait_xcnt 0x0
	s_or_b32 exec_lo, exec_lo, s12
	s_and_saveexec_b32 s12, s20
	s_cbranch_execz .LBB219_5
; %bb.31:                               ;   in Loop: Header=BB219_6 Depth=1
	v_mov_b64_e32 v[2:3], s[4:5]
	v_mov_b64_e32 v[22:23], s[24:25]
	v_lshl_add_u64 v[0:1], v[10:11], 3, v[0:1]
	s_and_not1_b32 vcc_lo, exec_lo, s14
	s_mov_b32 s13, -1
	s_delay_alu instid0(VALU_DEP_3) | instskip(NEXT) | instid1(VALU_DEP_1)
	v_pk_mul_f32 v[2:3], v[28:29], v[2:3] op_sel_hi:[0,1]
	v_pk_fma_f32 v[24:25], v[26:27], v[22:23], v[2:3] op_sel_hi:[0,1,1]
	v_pk_fma_f32 v[2:3], v[26:27], v[22:23], v[2:3] neg_lo:[0,0,1] neg_hi:[0,0,1]
	s_delay_alu instid0(VALU_DEP_2)
	v_mov_b32_e32 v3, v25
	s_cbranch_vccnz .LBB219_33
; %bb.32:                               ;   in Loop: Header=BB219_6 Depth=1
	global_load_b64 v[22:23], v[0:1], off
	v_mov_b64_e32 v[24:25], s[6:7]
	v_mov_b64_e32 v[30:31], s[2:3]
	s_mov_b32 s13, 0
	s_wait_loadcnt 0x0
	s_delay_alu instid0(VALU_DEP_2) | instskip(NEXT) | instid1(VALU_DEP_1)
	v_pk_mul_f32 v[24:25], v[22:23], v[24:25]
	v_pk_fma_f32 v[32:33], v[22:23], v[30:31], v[24:25] op_sel:[0,0,1] op_sel_hi:[1,1,0]
	v_pk_fma_f32 v[22:23], v[22:23], v[30:31], v[24:25] op_sel:[0,0,1] op_sel_hi:[1,1,0] neg_lo:[0,0,1] neg_hi:[0,0,1]
	s_delay_alu instid0(VALU_DEP_2) | instskip(NEXT) | instid1(VALU_DEP_1)
	v_mov_b32_e32 v23, v33
	v_pk_add_f32 v[22:23], v[2:3], v[22:23]
	global_store_b64 v[0:1], v[22:23], off
.LBB219_33:                             ;   in Loop: Header=BB219_6 Depth=1
	s_and_not1_b32 vcc_lo, exec_lo, s13
	s_cbranch_vccnz .LBB219_5
; %bb.34:                               ;   in Loop: Header=BB219_6 Depth=1
	global_store_b64 v[0:1], v[2:3], off
	s_branch .LBB219_5
.LBB219_35:
	s_endpgm
	.section	.rodata,"a",@progbits
	.p2align	6, 0x0
	.amdhsa_kernel _ZL29rocblas_internal_gemmt_kernelIlLi16ELi32ELi8ELc84ELc78ELc85ELb0ELb0E19rocblas_complex_numIfEPKS1_S3_PS1_EviT_T9_T10_S5_lS7_S5_lS6_T11_S5_li
		.amdhsa_group_segment_fixed_size 4096
		.amdhsa_private_segment_fixed_size 0
		.amdhsa_kernarg_size 108
		.amdhsa_user_sgpr_count 2
		.amdhsa_user_sgpr_dispatch_ptr 0
		.amdhsa_user_sgpr_queue_ptr 0
		.amdhsa_user_sgpr_kernarg_segment_ptr 1
		.amdhsa_user_sgpr_dispatch_id 0
		.amdhsa_user_sgpr_kernarg_preload_length 0
		.amdhsa_user_sgpr_kernarg_preload_offset 0
		.amdhsa_user_sgpr_private_segment_size 0
		.amdhsa_wavefront_size32 1
		.amdhsa_uses_dynamic_stack 0
		.amdhsa_enable_private_segment 0
		.amdhsa_system_sgpr_workgroup_id_x 1
		.amdhsa_system_sgpr_workgroup_id_y 1
		.amdhsa_system_sgpr_workgroup_id_z 1
		.amdhsa_system_sgpr_workgroup_info 0
		.amdhsa_system_vgpr_workitem_id 1
		.amdhsa_next_free_vgpr 58
		.amdhsa_next_free_sgpr 37
		.amdhsa_named_barrier_count 0
		.amdhsa_reserve_vcc 1
		.amdhsa_float_round_mode_32 0
		.amdhsa_float_round_mode_16_64 0
		.amdhsa_float_denorm_mode_32 3
		.amdhsa_float_denorm_mode_16_64 3
		.amdhsa_fp16_overflow 0
		.amdhsa_memory_ordered 1
		.amdhsa_forward_progress 1
		.amdhsa_inst_pref_size 25
		.amdhsa_round_robin_scheduling 0
		.amdhsa_exception_fp_ieee_invalid_op 0
		.amdhsa_exception_fp_denorm_src 0
		.amdhsa_exception_fp_ieee_div_zero 0
		.amdhsa_exception_fp_ieee_overflow 0
		.amdhsa_exception_fp_ieee_underflow 0
		.amdhsa_exception_fp_ieee_inexact 0
		.amdhsa_exception_int_div_zero 0
	.end_amdhsa_kernel
	.section	.text._ZL29rocblas_internal_gemmt_kernelIlLi16ELi32ELi8ELc84ELc78ELc85ELb0ELb0E19rocblas_complex_numIfEPKS1_S3_PS1_EviT_T9_T10_S5_lS7_S5_lS6_T11_S5_li,"axG",@progbits,_ZL29rocblas_internal_gemmt_kernelIlLi16ELi32ELi8ELc84ELc78ELc85ELb0ELb0E19rocblas_complex_numIfEPKS1_S3_PS1_EviT_T9_T10_S5_lS7_S5_lS6_T11_S5_li,comdat
.Lfunc_end219:
	.size	_ZL29rocblas_internal_gemmt_kernelIlLi16ELi32ELi8ELc84ELc78ELc85ELb0ELb0E19rocblas_complex_numIfEPKS1_S3_PS1_EviT_T9_T10_S5_lS7_S5_lS6_T11_S5_li, .Lfunc_end219-_ZL29rocblas_internal_gemmt_kernelIlLi16ELi32ELi8ELc84ELc78ELc85ELb0ELb0E19rocblas_complex_numIfEPKS1_S3_PS1_EviT_T9_T10_S5_lS7_S5_lS6_T11_S5_li
                                        ; -- End function
	.set _ZL29rocblas_internal_gemmt_kernelIlLi16ELi32ELi8ELc84ELc78ELc85ELb0ELb0E19rocblas_complex_numIfEPKS1_S3_PS1_EviT_T9_T10_S5_lS7_S5_lS6_T11_S5_li.num_vgpr, 58
	.set _ZL29rocblas_internal_gemmt_kernelIlLi16ELi32ELi8ELc84ELc78ELc85ELb0ELb0E19rocblas_complex_numIfEPKS1_S3_PS1_EviT_T9_T10_S5_lS7_S5_lS6_T11_S5_li.num_agpr, 0
	.set _ZL29rocblas_internal_gemmt_kernelIlLi16ELi32ELi8ELc84ELc78ELc85ELb0ELb0E19rocblas_complex_numIfEPKS1_S3_PS1_EviT_T9_T10_S5_lS7_S5_lS6_T11_S5_li.numbered_sgpr, 37
	.set _ZL29rocblas_internal_gemmt_kernelIlLi16ELi32ELi8ELc84ELc78ELc85ELb0ELb0E19rocblas_complex_numIfEPKS1_S3_PS1_EviT_T9_T10_S5_lS7_S5_lS6_T11_S5_li.num_named_barrier, 0
	.set _ZL29rocblas_internal_gemmt_kernelIlLi16ELi32ELi8ELc84ELc78ELc85ELb0ELb0E19rocblas_complex_numIfEPKS1_S3_PS1_EviT_T9_T10_S5_lS7_S5_lS6_T11_S5_li.private_seg_size, 0
	.set _ZL29rocblas_internal_gemmt_kernelIlLi16ELi32ELi8ELc84ELc78ELc85ELb0ELb0E19rocblas_complex_numIfEPKS1_S3_PS1_EviT_T9_T10_S5_lS7_S5_lS6_T11_S5_li.uses_vcc, 1
	.set _ZL29rocblas_internal_gemmt_kernelIlLi16ELi32ELi8ELc84ELc78ELc85ELb0ELb0E19rocblas_complex_numIfEPKS1_S3_PS1_EviT_T9_T10_S5_lS7_S5_lS6_T11_S5_li.uses_flat_scratch, 0
	.set _ZL29rocblas_internal_gemmt_kernelIlLi16ELi32ELi8ELc84ELc78ELc85ELb0ELb0E19rocblas_complex_numIfEPKS1_S3_PS1_EviT_T9_T10_S5_lS7_S5_lS6_T11_S5_li.has_dyn_sized_stack, 0
	.set _ZL29rocblas_internal_gemmt_kernelIlLi16ELi32ELi8ELc84ELc78ELc85ELb0ELb0E19rocblas_complex_numIfEPKS1_S3_PS1_EviT_T9_T10_S5_lS7_S5_lS6_T11_S5_li.has_recursion, 0
	.set _ZL29rocblas_internal_gemmt_kernelIlLi16ELi32ELi8ELc84ELc78ELc85ELb0ELb0E19rocblas_complex_numIfEPKS1_S3_PS1_EviT_T9_T10_S5_lS7_S5_lS6_T11_S5_li.has_indirect_call, 0
	.section	.AMDGPU.csdata,"",@progbits
; Kernel info:
; codeLenInByte = 3168
; TotalNumSgprs: 39
; NumVgprs: 58
; ScratchSize: 0
; MemoryBound: 0
; FloatMode: 240
; IeeeMode: 1
; LDSByteSize: 4096 bytes/workgroup (compile time only)
; SGPRBlocks: 0
; VGPRBlocks: 3
; NumSGPRsForWavesPerEU: 39
; NumVGPRsForWavesPerEU: 58
; NamedBarCnt: 0
; Occupancy: 16
; WaveLimiterHint : 0
; COMPUTE_PGM_RSRC2:SCRATCH_EN: 0
; COMPUTE_PGM_RSRC2:USER_SGPR: 2
; COMPUTE_PGM_RSRC2:TRAP_HANDLER: 0
; COMPUTE_PGM_RSRC2:TGID_X_EN: 1
; COMPUTE_PGM_RSRC2:TGID_Y_EN: 1
; COMPUTE_PGM_RSRC2:TGID_Z_EN: 1
; COMPUTE_PGM_RSRC2:TIDIG_COMP_CNT: 1
	.section	.text._ZL29rocblas_internal_gemmt_kernelIlLi16ELi32ELi8ELc84ELc84ELc85ELb0ELb0E19rocblas_complex_numIfEPKS1_S3_PS1_EviT_T9_T10_S5_lS7_S5_lS6_T11_S5_li,"axG",@progbits,_ZL29rocblas_internal_gemmt_kernelIlLi16ELi32ELi8ELc84ELc84ELc85ELb0ELb0E19rocblas_complex_numIfEPKS1_S3_PS1_EviT_T9_T10_S5_lS7_S5_lS6_T11_S5_li,comdat
	.globl	_ZL29rocblas_internal_gemmt_kernelIlLi16ELi32ELi8ELc84ELc84ELc85ELb0ELb0E19rocblas_complex_numIfEPKS1_S3_PS1_EviT_T9_T10_S5_lS7_S5_lS6_T11_S5_li ; -- Begin function _ZL29rocblas_internal_gemmt_kernelIlLi16ELi32ELi8ELc84ELc84ELc85ELb0ELb0E19rocblas_complex_numIfEPKS1_S3_PS1_EviT_T9_T10_S5_lS7_S5_lS6_T11_S5_li
	.p2align	8
	.type	_ZL29rocblas_internal_gemmt_kernelIlLi16ELi32ELi8ELc84ELc84ELc85ELb0ELb0E19rocblas_complex_numIfEPKS1_S3_PS1_EviT_T9_T10_S5_lS7_S5_lS6_T11_S5_li,@function
_ZL29rocblas_internal_gemmt_kernelIlLi16ELi32ELi8ELc84ELc84ELc85ELb0ELb0E19rocblas_complex_numIfEPKS1_S3_PS1_EviT_T9_T10_S5_lS7_S5_lS6_T11_S5_li: ; @_ZL29rocblas_internal_gemmt_kernelIlLi16ELi32ELi8ELc84ELc84ELc85ELb0ELb0E19rocblas_complex_numIfEPKS1_S3_PS1_EviT_T9_T10_S5_lS7_S5_lS6_T11_S5_li
; %bb.0:
	s_load_b256 s[24:31], s[0:1], 0x48
	s_wait_kmcnt 0x0
	s_load_b64 s[6:7], s[24:25], 0x0
	s_load_b512 s[8:23], s[0:1], 0x8
	s_wait_kmcnt 0x0
	s_cmp_neq_f32 s6, 1.0
	s_load_b64 s[24:25], s[10:11], 0x0
	s_cselect_b32 s2, -1, 0
	s_and_b32 s4, s7, 0x7fffffff
	s_delay_alu instid0(SALU_CYCLE_1) | instskip(SKIP_3) | instid1(SALU_CYCLE_1)
	s_cmp_eq_u32 s4, 0
	s_cselect_b32 s3, -1, 0
	s_cmp_lg_u32 s4, 0
	s_cselect_b32 s4, -1, 0
	s_or_b32 s2, s2, s4
	s_delay_alu instid0(SALU_CYCLE_1)
	s_and_b32 vcc_lo, exec_lo, s2
	s_cbranch_vccnz .LBB220_2
; %bb.1:
	s_cmp_lg_u64 s[8:9], 0
	s_cselect_b32 s2, -1, 0
	s_wait_kmcnt 0x0
	s_cmp_neq_f32 s24, 0
	s_cselect_b32 s4, -1, 0
	s_cmp_neq_f32 s25, 0
	s_cselect_b32 s5, -1, 0
	s_delay_alu instid0(SALU_CYCLE_1) | instskip(NEXT) | instid1(SALU_CYCLE_1)
	s_or_b32 s4, s4, s5
	s_and_b32 s2, s2, s4
.LBB220_2:
	s_delay_alu instid0(SALU_CYCLE_1)
	s_and_not1_b32 vcc_lo, exec_lo, s2
	s_cbranch_vccnz .LBB220_35
; %bb.3:
	s_load_b32 s33, s[0:1], 0x68
	s_bfe_u32 s2, ttmp6, 0x40014
	s_lshr_b32 s4, ttmp7, 16
	s_add_co_i32 s2, s2, 1
	s_wait_xcnt 0x0
	s_bfe_u32 s10, ttmp6, 0x40008
	s_mul_i32 s5, s4, s2
	s_getreg_b32 s2, hwreg(HW_REG_IB_STS2, 6, 4)
	s_add_co_i32 s10, s10, s5
	s_cmp_eq_u32 s2, 0
	s_mov_b32 s11, 0
	s_cselect_b32 s10, s4, s10
	s_wait_kmcnt 0x0
	s_cmp_ge_u32 s10, s33
	s_cbranch_scc1 .LBB220_35
; %bb.4:
	v_and_b32_e32 v7, 0x3ff, v0
	v_bfe_u32 v9, v0, 10, 10
	s_bfe_u32 s4, ttmp6, 0x4000c
	s_bfe_u32 s34, ttmp6, 0x40010
	s_add_co_i32 s4, s4, 1
	s_and_b32 s35, ttmp7, 0xffff
	s_add_co_i32 s34, s34, 1
	v_lshl_add_u32 v8, v9, 4, v7
	s_and_b32 s5, ttmp6, 15
	s_mul_i32 s4, ttmp9, s4
	s_mul_i32 s34, s35, s34
	s_bfe_u32 s36, ttmp6, 0x40004
	s_add_co_i32 s5, s5, s4
	s_add_co_i32 s36, s36, s34
	s_cmp_eq_u32 s2, 0
	v_and_b32_e32 v10, 31, v8
	s_cselect_b32 s2, ttmp9, s5
	s_cselect_b32 s4, s35, s36
	s_lshl_b32 s2, s2, 5
	v_dual_lshlrev_b32 v5, 3, v7 :: v_dual_bitop2_b32 v4, 7, v0 bitop3:0x40
	v_or_b32_e32 v2, s2, v10
	s_load_b32 s5, s[0:1], 0x0
	s_wait_xcnt 0x0
	s_lshl_b32 s0, s4, 5
	v_lshlrev_b32_e32 v11, 3, v4
	v_dual_lshrrev_b32 v6, 5, v8 :: v_dual_ashrrev_i32 v3, 31, v2
	v_add_nc_u32_e32 v20, s0, v9
	s_cmp_neq_f32 s24, 0
	v_cmp_gt_i64_e64 s34, s[8:9], 0
	v_lshl_add_u32 v29, v9, 6, 0x800
	v_mul_u64_e32 v[0:1], s[14:15], v[2:3]
	v_dual_lshrrev_b32 v3, 3, v8 :: v_dual_add_nc_u32 v8, s2, v7
	v_dual_add_nc_u32 v22, 16, v20 :: v_dual_ashrrev_i32 v21, 31, v20
	s_delay_alu instid0(VALU_DEP_2) | instskip(NEXT) | instid1(VALU_DEP_2)
	v_dual_lshlrev_b32 v7, 3, v10 :: v_dual_add_nc_u32 v16, s0, v3
	v_dual_add_nc_u32 v10, 16, v8 :: v_dual_ashrrev_i32 v23, 31, v22
	s_delay_alu instid0(VALU_DEP_3)
	v_mul_u64_e32 v[12:13], s[28:29], v[20:21]
	s_cselect_b32 s2, -1, 0
	s_cmp_neq_f32 s25, 0
	v_cmp_le_i32_e32 vcc_lo, v8, v20
	v_mul_u64_e32 v[14:15], s[28:29], v[22:23]
	v_lshl_or_b32 v3, v3, 6, v11
	s_cselect_b32 s4, -1, 0
	v_dual_ashrrev_i32 v17, 31, v16 :: v_dual_ashrrev_i32 v11, 31, v10
	s_or_b32 s29, s2, s4
	s_cmp_neq_f32 s6, 0
	s_wait_kmcnt 0x0
	v_cmp_gt_i32_e64 s2, s5, v20
	v_cmp_gt_i32_e64 s0, s5, v2
	;; [unrolled: 1-line block ×3, first 2 shown]
	s_cselect_b32 s4, -1, 0
	s_xor_b32 s3, s3, -1
	s_and_b32 s15, s2, vcc_lo
	s_or_b32 s14, s4, s3
	v_cmp_le_i32_e32 vcc_lo, v10, v20
	v_cmp_gt_i32_e64 s3, s5, v22
	v_cmp_le_i32_e64 s4, v8, v22
	v_cmp_le_i32_e64 s5, v10, v22
	v_lshl_or_b32 v7, v6, 8, v7
	v_add_nc_u32_e32 v27, 0x800, v3
	v_lshl_add_u64 v[16:17], v[16:17], 3, s[18:19]
	v_lshl_add_u64 v[18:19], v[0:1], 3, s[12:13]
	v_dual_ashrrev_i32 v9, 31, v8 :: v_dual_mov_b32 v21, 0
	s_and_b32 s18, s2, vcc_lo
	s_and_b32 s19, s3, s4
	s_and_b32 s28, s3, s5
	s_mov_b32 s2, s6
	s_mov_b32 s3, s6
	s_and_b32 s29, s29, s34
	s_mov_b32 s6, s7
	s_mov_b32 s4, s25
	;; [unrolled: 1-line block ×3, first 2 shown]
	s_branch .LBB220_6
.LBB220_5:                              ;   in Loop: Header=BB220_6 Depth=1
	s_wait_xcnt 0x0
	s_or_b32 exec_lo, exec_lo, s12
	s_add_co_i32 s10, s10, 0x10000
	s_delay_alu instid0(SALU_CYCLE_1)
	s_cmp_lt_u32 s10, s33
	s_cbranch_scc0 .LBB220_35
.LBB220_6:                              ; =>This Loop Header: Depth=1
                                        ;     Child Loop BB220_9 Depth 2
	v_dual_mov_b32 v38, v21 :: v_dual_mov_b32 v40, v21
	v_dual_mov_b32 v34, v21 :: v_dual_mov_b32 v36, v21
	;; [unrolled: 1-line block ×4, first 2 shown]
	s_and_not1_b32 vcc_lo, exec_lo, s29
	s_cbranch_vccnz .LBB220_15
; %bb.7:                                ;   in Loop: Header=BB220_6 Depth=1
	s_mul_u64 s[12:13], s[16:17], s[10:11]
	s_mul_u64 s[34:35], s[22:23], s[10:11]
	v_lshl_add_u64 v[22:23], s[12:13], 3, v[18:19]
	v_lshl_add_u64 v[24:25], s[34:35], 3, v[16:17]
	v_dual_mov_b32 v28, 0 :: v_dual_mov_b32 v26, 0
	v_dual_mov_b32 v32, 0 :: v_dual_mov_b32 v30, 0
	;; [unrolled: 1-line block ×4, first 2 shown]
	s_mov_b64 s[12:13], 0
	s_branch .LBB220_9
.LBB220_8:                              ;   in Loop: Header=BB220_9 Depth=2
	s_wait_xcnt 0x0
	s_or_b32 exec_lo, exec_lo, s34
	s_wait_loadcnt 0x0
	ds_store_b64 v27, v[2:3]
	s_wait_dscnt 0x0
	s_barrier_signal -1
	s_barrier_wait -1
	ds_load_b128 v[42:45], v29
	ds_load_b128 v[46:49], v29 offset:16
	ds_load_b128 v[50:53], v29 offset:32
	;; [unrolled: 1-line block ×3, first 2 shown]
	ds_load_2addr_b64 v[54:57], v5 offset1:16
	s_add_nc_u64 s[12:13], s[12:13], 8
	s_delay_alu instid0(SALU_CYCLE_1) | instskip(SKIP_3) | instid1(VALU_DEP_1)
	v_cmp_gt_i64_e64 s34, s[8:9], s[12:13]
	s_and_b32 vcc_lo, exec_lo, s34
	s_wait_dscnt 0x0
	v_dual_mul_f32 v20, v43, v55 :: v_dual_mul_f32 v31, v42, v55
	v_dual_mul_f32 v33, v42, v57 :: v_dual_fma_f32 v20, v42, v54, -v20
	s_delay_alu instid0(VALU_DEP_1) | instskip(NEXT) | instid1(VALU_DEP_1)
	v_dual_fmac_f32 v31, v43, v54 :: v_dual_fmac_f32 v33, v43, v56
	v_dual_add_f32 v20, v38, v20 :: v_dual_add_f32 v38, v40, v31
	v_mul_f32_e32 v31, v43, v57
	s_delay_alu instid0(VALU_DEP_1) | instskip(NEXT) | instid1(VALU_DEP_1)
	v_dual_add_f32 v40, v36, v33 :: v_dual_fma_f32 v31, v42, v56, -v31
	v_add_f32_e32 v39, v34, v31
	ds_load_b128 v[34:37], v29 offset:1024
	s_wait_dscnt 0x0
	v_dual_mul_f32 v31, v35, v55 :: v_dual_mul_f32 v33, v34, v55
	s_delay_alu instid0(VALU_DEP_1) | instskip(NEXT) | instid1(VALU_DEP_1)
	v_dual_fma_f32 v31, v34, v54, -v31 :: v_dual_fmac_f32 v33, v35, v54
	v_dual_add_f32 v41, v30, v31 :: v_dual_add_f32 v42, v32, v33
	v_dual_mul_f32 v30, v35, v57 :: v_dual_mul_f32 v31, v34, v57
	s_delay_alu instid0(VALU_DEP_1) | instskip(NEXT) | instid1(VALU_DEP_1)
	v_dual_fma_f32 v30, v34, v56, -v30 :: v_dual_fmac_f32 v31, v35, v56
	v_dual_add_f32 v26, v26, v30 :: v_dual_add_f32 v28, v28, v31
	ds_load_2addr_b64 v[30:33], v5 offset0:32 offset1:48
	s_wait_dscnt 0x0
	v_dual_mul_f32 v34, v45, v31 :: v_dual_mul_f32 v35, v44, v31
	s_delay_alu instid0(VALU_DEP_1) | instskip(NEXT) | instid1(VALU_DEP_1)
	v_dual_fma_f32 v34, v44, v30, -v34 :: v_dual_fmac_f32 v35, v45, v30
	v_dual_add_f32 v20, v20, v34 :: v_dual_add_f32 v34, v38, v35
	v_dual_mul_f32 v35, v45, v33 :: v_dual_mul_f32 v38, v44, v33
	s_delay_alu instid0(VALU_DEP_1) | instskip(NEXT) | instid1(VALU_DEP_1)
	v_dual_fma_f32 v35, v44, v32, -v35 :: v_dual_fmac_f32 v38, v45, v32
	v_dual_add_f32 v35, v39, v35 :: v_dual_add_f32 v38, v40, v38
	v_dual_mul_f32 v39, v37, v31 :: v_dual_mul_f32 v31, v36, v31
	s_delay_alu instid0(VALU_DEP_1) | instskip(NEXT) | instid1(VALU_DEP_2)
	v_fmac_f32_e32 v31, v37, v30
	v_dual_fma_f32 v39, v36, v30, -v39 :: v_dual_mul_f32 v30, v37, v33
	s_delay_alu instid0(VALU_DEP_2) | instskip(NEXT) | instid1(VALU_DEP_2)
	v_add_f32_e32 v40, v42, v31
	v_dual_add_f32 v39, v41, v39 :: v_dual_fma_f32 v30, v36, v32, -v30
	s_delay_alu instid0(VALU_DEP_1) | instskip(NEXT) | instid1(VALU_DEP_1)
	v_dual_mul_f32 v31, v36, v33 :: v_dual_add_f32 v26, v26, v30
	v_fmac_f32_e32 v31, v37, v32
	s_delay_alu instid0(VALU_DEP_1) | instskip(SKIP_3) | instid1(VALU_DEP_1)
	v_add_f32_e32 v28, v28, v31
	ds_load_2addr_b64 v[30:33], v5 offset0:64 offset1:80
	s_wait_dscnt 0x0
	v_mul_f32_e32 v36, v47, v31
	v_dual_fma_f32 v36, v46, v30, -v36 :: v_dual_mul_f32 v37, v46, v31
	s_delay_alu instid0(VALU_DEP_1) | instskip(SKIP_1) | instid1(VALU_DEP_2)
	v_dual_add_f32 v20, v20, v36 :: v_dual_fmac_f32 v37, v47, v30
	v_mul_f32_e32 v36, v46, v33
	v_add_f32_e32 v41, v34, v37
	v_mul_f32_e32 v34, v47, v33
	s_delay_alu instid0(VALU_DEP_1) | instskip(NEXT) | instid1(VALU_DEP_1)
	v_fma_f32 v34, v46, v32, -v34
	v_add_f32_e32 v42, v35, v34
	v_fmac_f32_e32 v36, v47, v32
	s_delay_alu instid0(VALU_DEP_1) | instskip(SKIP_3) | instid1(VALU_DEP_1)
	v_add_f32_e32 v38, v38, v36
	ds_load_b128 v[34:37], v29 offset:1040
	s_wait_dscnt 0x0
	v_dual_mul_f32 v43, v35, v31 :: v_dual_mul_f32 v31, v34, v31
	v_fma_f32 v43, v34, v30, -v43
	s_delay_alu instid0(VALU_DEP_2) | instskip(NEXT) | instid1(VALU_DEP_2)
	v_dual_fmac_f32 v31, v35, v30 :: v_dual_mul_f32 v30, v35, v33
	v_add_f32_e32 v39, v39, v43
	s_delay_alu instid0(VALU_DEP_2) | instskip(NEXT) | instid1(VALU_DEP_1)
	v_dual_add_f32 v40, v40, v31 :: v_dual_mul_f32 v31, v34, v33
	v_dual_fma_f32 v30, v34, v32, -v30 :: v_dual_fmac_f32 v31, v35, v32
	s_delay_alu instid0(VALU_DEP_1) | instskip(SKIP_3) | instid1(VALU_DEP_1)
	v_dual_add_f32 v26, v26, v30 :: v_dual_add_f32 v28, v28, v31
	ds_load_2addr_b64 v[30:33], v5 offset0:96 offset1:112
	s_wait_dscnt 0x0
	v_dual_mul_f32 v34, v49, v31 :: v_dual_mul_f32 v35, v48, v31
	v_dual_fma_f32 v34, v48, v30, -v34 :: v_dual_fmac_f32 v35, v49, v30
	s_delay_alu instid0(VALU_DEP_1) | instskip(SKIP_1) | instid1(VALU_DEP_1)
	v_dual_add_f32 v20, v20, v34 :: v_dual_add_f32 v34, v41, v35
	v_mul_f32_e32 v41, v48, v33
	v_fmac_f32_e32 v41, v49, v32
	s_delay_alu instid0(VALU_DEP_1) | instskip(SKIP_1) | instid1(VALU_DEP_2)
	v_dual_add_f32 v38, v38, v41 :: v_dual_mul_f32 v41, v37, v31
	v_dual_mul_f32 v35, v49, v33 :: v_dual_mul_f32 v31, v36, v31
	v_fma_f32 v41, v36, v30, -v41
	s_delay_alu instid0(VALU_DEP_2) | instskip(NEXT) | instid1(VALU_DEP_3)
	v_fma_f32 v35, v48, v32, -v35
	v_dual_fmac_f32 v31, v37, v30 :: v_dual_mul_f32 v30, v37, v33
	s_delay_alu instid0(VALU_DEP_2) | instskip(NEXT) | instid1(VALU_DEP_2)
	v_dual_add_f32 v39, v39, v41 :: v_dual_add_f32 v35, v42, v35
	v_add_f32_e32 v40, v40, v31
	s_delay_alu instid0(VALU_DEP_3) | instskip(NEXT) | instid1(VALU_DEP_1)
	v_dual_fma_f32 v30, v36, v32, -v30 :: v_dual_mul_f32 v31, v36, v33
	v_dual_fmac_f32 v31, v37, v32 :: v_dual_add_f32 v26, v26, v30
	s_delay_alu instid0(VALU_DEP_1) | instskip(SKIP_3) | instid1(VALU_DEP_1)
	v_add_f32_e32 v28, v28, v31
	ds_load_2addr_b64 v[30:33], v5 offset0:128 offset1:144
	s_wait_dscnt 0x0
	v_dual_mul_f32 v36, v51, v31 :: v_dual_mul_f32 v37, v50, v31
	v_dual_fma_f32 v36, v50, v30, -v36 :: v_dual_fmac_f32 v37, v51, v30
	s_delay_alu instid0(VALU_DEP_1) | instskip(SKIP_1) | instid1(VALU_DEP_1)
	v_dual_add_f32 v20, v20, v36 :: v_dual_add_f32 v41, v34, v37
	v_dual_mul_f32 v34, v51, v33 :: v_dual_mul_f32 v36, v50, v33
	v_dual_fma_f32 v34, v50, v32, -v34 :: v_dual_fmac_f32 v36, v51, v32
	s_delay_alu instid0(VALU_DEP_1) | instskip(SKIP_3) | instid1(VALU_DEP_1)
	v_dual_add_f32 v42, v35, v34 :: v_dual_add_f32 v38, v38, v36
	ds_load_b128 v[34:37], v29 offset:1056
	s_wait_dscnt 0x0
	v_dual_mul_f32 v43, v35, v31 :: v_dual_mul_f32 v31, v34, v31
	v_fmac_f32_e32 v31, v35, v30
	s_delay_alu instid0(VALU_DEP_2) | instskip(NEXT) | instid1(VALU_DEP_2)
	v_dual_fma_f32 v43, v34, v30, -v43 :: v_dual_mul_f32 v30, v35, v33
	v_dual_add_f32 v40, v40, v31 :: v_dual_mul_f32 v31, v34, v33
	s_delay_alu instid0(VALU_DEP_2) | instskip(NEXT) | instid1(VALU_DEP_1)
	v_dual_add_f32 v39, v39, v43 :: v_dual_fma_f32 v30, v34, v32, -v30
	v_dual_fmac_f32 v31, v35, v32 :: v_dual_add_f32 v26, v26, v30
	s_delay_alu instid0(VALU_DEP_1) | instskip(SKIP_3) | instid1(VALU_DEP_1)
	v_add_f32_e32 v28, v28, v31
	ds_load_2addr_b64 v[30:33], v5 offset0:160 offset1:176
	s_wait_dscnt 0x0
	v_dual_mul_f32 v34, v53, v31 :: v_dual_mul_f32 v35, v52, v31
	v_dual_fma_f32 v34, v52, v30, -v34 :: v_dual_fmac_f32 v35, v53, v30
	s_delay_alu instid0(VALU_DEP_1) | instskip(SKIP_1) | instid1(VALU_DEP_1)
	v_dual_add_f32 v20, v20, v34 :: v_dual_add_f32 v34, v41, v35
	v_mul_f32_e32 v41, v52, v33
	v_fmac_f32_e32 v41, v53, v32
	s_delay_alu instid0(VALU_DEP_1) | instskip(SKIP_1) | instid1(VALU_DEP_2)
	v_dual_add_f32 v38, v38, v41 :: v_dual_mul_f32 v41, v37, v31
	v_dual_mul_f32 v35, v53, v33 :: v_dual_mul_f32 v31, v36, v31
	v_fma_f32 v41, v36, v30, -v41
	s_delay_alu instid0(VALU_DEP_2) | instskip(NEXT) | instid1(VALU_DEP_3)
	v_fma_f32 v35, v52, v32, -v35
	v_dual_fmac_f32 v31, v37, v30 :: v_dual_mul_f32 v30, v37, v33
	s_delay_alu instid0(VALU_DEP_2) | instskip(NEXT) | instid1(VALU_DEP_2)
	v_dual_add_f32 v39, v39, v41 :: v_dual_add_f32 v35, v42, v35
	v_add_f32_e32 v44, v40, v31
	s_delay_alu instid0(VALU_DEP_3) | instskip(SKIP_2) | instid1(VALU_DEP_1)
	v_dual_fma_f32 v30, v36, v32, -v30 :: v_dual_mul_f32 v31, v36, v33
	ds_load_b128 v[40:43], v29 offset:1072
	v_dual_fmac_f32 v31, v37, v32 :: v_dual_add_f32 v26, v26, v30
	v_add_f32_e32 v28, v28, v31
	ds_load_2addr_b64 v[30:33], v5 offset0:192 offset1:208
	s_wait_dscnt 0x0
	v_dual_mul_f32 v36, v1, v31 :: v_dual_mul_f32 v37, v0, v31
	s_delay_alu instid0(VALU_DEP_1) | instskip(NEXT) | instid1(VALU_DEP_1)
	v_dual_fma_f32 v36, v0, v30, -v36 :: v_dual_fmac_f32 v37, v1, v30
	v_dual_add_f32 v20, v20, v36 :: v_dual_add_f32 v34, v34, v37
	v_mul_f32_e32 v36, v1, v33
	s_delay_alu instid0(VALU_DEP_1) | instskip(NEXT) | instid1(VALU_DEP_1)
	v_dual_fma_f32 v36, v0, v32, -v36 :: v_dual_mul_f32 v0, v0, v33
	v_fmac_f32_e32 v0, v1, v32
	s_delay_alu instid0(VALU_DEP_2) | instskip(NEXT) | instid1(VALU_DEP_1)
	v_dual_add_f32 v1, v35, v36 :: v_dual_mul_f32 v35, v41, v31
	v_dual_mul_f32 v31, v40, v31 :: v_dual_fma_f32 v35, v40, v30, -v35
	s_delay_alu instid0(VALU_DEP_1) | instskip(NEXT) | instid1(VALU_DEP_2)
	v_dual_add_f32 v0, v38, v0 :: v_dual_fmac_f32 v31, v41, v30
	v_dual_add_f32 v30, v39, v35 :: v_dual_mul_f32 v35, v41, v33
	v_mul_f32_e32 v33, v40, v33
	s_delay_alu instid0(VALU_DEP_3)
	v_add_f32_e32 v31, v44, v31
	ds_load_2addr_b64 v[44:47], v5 offset0:224 offset1:240
	s_wait_dscnt 0x0
	v_dual_fma_f32 v35, v40, v32, -v35 :: v_dual_fmac_f32 v33, v41, v32
	s_barrier_signal -1
	s_barrier_wait -1
	s_delay_alu instid0(VALU_DEP_1) | instskip(SKIP_1) | instid1(VALU_DEP_1)
	v_dual_add_f32 v26, v26, v35 :: v_dual_add_f32 v28, v28, v33
	v_dual_mul_f32 v32, v3, v45 :: v_dual_mul_f32 v33, v2, v45
	v_dual_fma_f32 v32, v2, v44, -v32 :: v_dual_fmac_f32 v33, v3, v44
	s_delay_alu instid0(VALU_DEP_1) | instskip(SKIP_1) | instid1(VALU_DEP_1)
	v_dual_add_f32 v38, v20, v32 :: v_dual_add_f32 v40, v34, v33
	v_mul_f32_e32 v20, v3, v47
	v_dual_fma_f32 v20, v2, v46, -v20 :: v_dual_mul_f32 v2, v2, v47
	s_delay_alu instid0(VALU_DEP_1) | instskip(NEXT) | instid1(VALU_DEP_1)
	v_dual_fmac_f32 v2, v3, v46 :: v_dual_add_f32 v34, v1, v20
	v_dual_mul_f32 v1, v42, v45 :: v_dual_add_f32 v36, v0, v2
	s_delay_alu instid0(VALU_DEP_1) | instskip(NEXT) | instid1(VALU_DEP_1)
	v_dual_mul_f32 v0, v43, v45 :: v_dual_fmac_f32 v1, v43, v44
	v_dual_fma_f32 v0, v42, v44, -v0 :: v_dual_add_f32 v32, v31, v1
	v_mul_f32_e32 v1, v42, v47
	s_delay_alu instid0(VALU_DEP_2) | instskip(NEXT) | instid1(VALU_DEP_1)
	v_dual_add_f32 v30, v30, v0 :: v_dual_mul_f32 v0, v43, v47
	v_dual_fmac_f32 v1, v43, v46 :: v_dual_fma_f32 v0, v42, v46, -v0
	s_delay_alu instid0(VALU_DEP_1)
	v_dual_add_f32 v28, v28, v1 :: v_dual_add_f32 v26, v26, v0
	s_cbranch_vccz .LBB220_15
.LBB220_9:                              ;   Parent Loop BB220_6 Depth=1
                                        ; =>  This Inner Loop Header: Depth=2
	v_dual_mov_b32 v0, 0 :: v_dual_mov_b32 v1, 0
	s_and_saveexec_b32 s34, s0
	s_cbranch_execz .LBB220_13
; %bb.10:                               ;   in Loop: Header=BB220_9 Depth=2
	v_dual_mov_b32 v1, 0 :: v_dual_add_nc_u32 v20, s12, v6
	v_mov_b32_e32 v0, 0
	s_mov_b32 s35, exec_lo
	s_delay_alu instid0(VALU_DEP_2)
	v_cmpx_gt_u64_e64 s[8:9], v[20:21]
	s_cbranch_execz .LBB220_12
; %bb.11:                               ;   in Loop: Header=BB220_9 Depth=2
	v_lshl_add_u64 v[0:1], v[20:21], 3, v[22:23]
	global_load_b64 v[0:1], v[0:1], off
.LBB220_12:                             ;   in Loop: Header=BB220_9 Depth=2
	s_wait_xcnt 0x0
	s_or_b32 exec_lo, exec_lo, s35
.LBB220_13:                             ;   in Loop: Header=BB220_9 Depth=2
	s_delay_alu instid0(SALU_CYCLE_1)
	s_or_b32 exec_lo, exec_lo, s34
	v_dual_add_nc_u32 v20, s12, v4 :: v_dual_mov_b32 v2, 0
	v_mov_b32_e32 v3, 0
	s_wait_loadcnt 0x0
	ds_store_b64 v7, v[0:1]
	v_cmp_gt_u64_e32 vcc_lo, s[8:9], v[20:21]
	s_and_b32 s35, vcc_lo, s1
	s_delay_alu instid0(SALU_CYCLE_1)
	s_and_saveexec_b32 s34, s35
	s_cbranch_execz .LBB220_8
; %bb.14:                               ;   in Loop: Header=BB220_9 Depth=2
	v_mul_u64_e32 v[0:1], s[20:21], v[20:21]
	s_delay_alu instid0(VALU_DEP_1)
	v_lshl_add_u64 v[0:1], v[0:1], 3, v[24:25]
	global_load_b64 v[2:3], v[0:1], off
	s_branch .LBB220_8
.LBB220_15:                             ;   in Loop: Header=BB220_6 Depth=1
	s_mul_u64 s[12:13], s[30:31], s[10:11]
	s_delay_alu instid0(SALU_CYCLE_1) | instskip(NEXT) | instid1(SALU_CYCLE_1)
	s_lshl_b64 s[12:13], s[12:13], 3
	s_add_nc_u64 s[12:13], s[26:27], s[12:13]
	s_delay_alu instid0(SALU_CYCLE_1)
	v_lshl_add_u64 v[0:1], v[12:13], 3, s[12:13]
	s_and_saveexec_b32 s34, s15
	s_cbranch_execz .LBB220_20
; %bb.16:                               ;   in Loop: Header=BB220_6 Depth=1
	v_mov_b64_e32 v[2:3], s[4:5]
	v_mov_b64_e32 v[22:23], s[24:25]
	s_and_b32 vcc_lo, exec_lo, s14
	s_mov_b32 s35, -1
	s_delay_alu instid0(VALU_DEP_2) | instskip(NEXT) | instid1(VALU_DEP_1)
	v_pk_mul_f32 v[2:3], v[40:41], v[2:3] op_sel_hi:[0,1]
	v_pk_fma_f32 v[24:25], v[38:39], v[22:23], v[2:3] op_sel_hi:[0,1,1]
	v_pk_fma_f32 v[2:3], v[38:39], v[22:23], v[2:3] neg_lo:[0,0,1] neg_hi:[0,0,1]
	v_lshl_add_u64 v[22:23], v[8:9], 3, v[0:1]
	s_delay_alu instid0(VALU_DEP_3)
	v_mov_b32_e32 v3, v25
	s_cbranch_vccz .LBB220_18
; %bb.17:                               ;   in Loop: Header=BB220_6 Depth=1
	global_load_b64 v[24:25], v[22:23], off
	v_mov_b64_e32 v[38:39], s[6:7]
	v_mov_b64_e32 v[40:41], s[2:3]
	s_mov_b32 s35, 0
	s_wait_loadcnt 0x0
	s_delay_alu instid0(VALU_DEP_2) | instskip(NEXT) | instid1(VALU_DEP_1)
	v_pk_mul_f32 v[38:39], v[24:25], v[38:39]
	v_pk_fma_f32 v[42:43], v[24:25], v[40:41], v[38:39] op_sel:[0,0,1] op_sel_hi:[1,1,0]
	v_pk_fma_f32 v[24:25], v[24:25], v[40:41], v[38:39] op_sel:[0,0,1] op_sel_hi:[1,1,0] neg_lo:[0,0,1] neg_hi:[0,0,1]
	s_delay_alu instid0(VALU_DEP_2) | instskip(NEXT) | instid1(VALU_DEP_1)
	v_mov_b32_e32 v25, v43
	v_pk_add_f32 v[24:25], v[2:3], v[24:25]
	global_store_b64 v[22:23], v[24:25], off
.LBB220_18:                             ;   in Loop: Header=BB220_6 Depth=1
	s_and_not1_b32 vcc_lo, exec_lo, s35
	s_cbranch_vccnz .LBB220_20
; %bb.19:                               ;   in Loop: Header=BB220_6 Depth=1
	global_store_b64 v[22:23], v[2:3], off
.LBB220_20:                             ;   in Loop: Header=BB220_6 Depth=1
	s_wait_xcnt 0x0
	s_or_b32 exec_lo, exec_lo, s34
	s_and_saveexec_b32 s34, s18
	s_cbranch_execz .LBB220_25
; %bb.21:                               ;   in Loop: Header=BB220_6 Depth=1
	v_mov_b64_e32 v[2:3], s[4:5]
	v_mov_b64_e32 v[22:23], s[24:25]
	v_lshl_add_u64 v[0:1], v[10:11], 3, v[0:1]
	s_and_not1_b32 vcc_lo, exec_lo, s14
	s_mov_b32 s35, -1
	s_delay_alu instid0(VALU_DEP_3) | instskip(NEXT) | instid1(VALU_DEP_1)
	v_pk_mul_f32 v[2:3], v[36:37], v[2:3] op_sel_hi:[0,1]
	v_pk_fma_f32 v[24:25], v[34:35], v[22:23], v[2:3] op_sel_hi:[0,1,1]
	v_pk_fma_f32 v[2:3], v[34:35], v[22:23], v[2:3] neg_lo:[0,0,1] neg_hi:[0,0,1]
	s_delay_alu instid0(VALU_DEP_2)
	v_mov_b32_e32 v3, v25
	s_cbranch_vccnz .LBB220_23
; %bb.22:                               ;   in Loop: Header=BB220_6 Depth=1
	global_load_b64 v[22:23], v[0:1], off
	v_mov_b64_e32 v[24:25], s[6:7]
	v_mov_b64_e32 v[34:35], s[2:3]
	s_mov_b32 s35, 0
	s_wait_loadcnt 0x0
	s_delay_alu instid0(VALU_DEP_2) | instskip(NEXT) | instid1(VALU_DEP_1)
	v_pk_mul_f32 v[24:25], v[22:23], v[24:25]
	v_pk_fma_f32 v[36:37], v[22:23], v[34:35], v[24:25] op_sel:[0,0,1] op_sel_hi:[1,1,0]
	v_pk_fma_f32 v[22:23], v[22:23], v[34:35], v[24:25] op_sel:[0,0,1] op_sel_hi:[1,1,0] neg_lo:[0,0,1] neg_hi:[0,0,1]
	s_delay_alu instid0(VALU_DEP_2) | instskip(NEXT) | instid1(VALU_DEP_1)
	v_mov_b32_e32 v23, v37
	v_pk_add_f32 v[22:23], v[2:3], v[22:23]
	global_store_b64 v[0:1], v[22:23], off
.LBB220_23:                             ;   in Loop: Header=BB220_6 Depth=1
	s_and_not1_b32 vcc_lo, exec_lo, s35
	s_cbranch_vccnz .LBB220_25
; %bb.24:                               ;   in Loop: Header=BB220_6 Depth=1
	global_store_b64 v[0:1], v[2:3], off
.LBB220_25:                             ;   in Loop: Header=BB220_6 Depth=1
	s_wait_xcnt 0x0
	s_or_b32 exec_lo, exec_lo, s34
	v_lshl_add_u64 v[0:1], v[14:15], 3, s[12:13]
	s_and_saveexec_b32 s12, s19
	s_cbranch_execz .LBB220_30
; %bb.26:                               ;   in Loop: Header=BB220_6 Depth=1
	v_mov_b64_e32 v[2:3], s[4:5]
	v_mov_b64_e32 v[22:23], s[24:25]
	s_and_not1_b32 vcc_lo, exec_lo, s14
	s_mov_b32 s13, -1
	s_delay_alu instid0(VALU_DEP_2) | instskip(NEXT) | instid1(VALU_DEP_1)
	v_pk_mul_f32 v[2:3], v[32:33], v[2:3] op_sel_hi:[0,1]
	v_pk_fma_f32 v[24:25], v[30:31], v[22:23], v[2:3] op_sel_hi:[0,1,1]
	v_pk_fma_f32 v[2:3], v[30:31], v[22:23], v[2:3] neg_lo:[0,0,1] neg_hi:[0,0,1]
	v_lshl_add_u64 v[22:23], v[8:9], 3, v[0:1]
	s_delay_alu instid0(VALU_DEP_3)
	v_mov_b32_e32 v3, v25
	s_cbranch_vccnz .LBB220_28
; %bb.27:                               ;   in Loop: Header=BB220_6 Depth=1
	global_load_b64 v[24:25], v[22:23], off
	v_mov_b64_e32 v[30:31], s[6:7]
	v_mov_b64_e32 v[32:33], s[2:3]
	s_mov_b32 s13, 0
	s_wait_loadcnt 0x0
	s_delay_alu instid0(VALU_DEP_2) | instskip(NEXT) | instid1(VALU_DEP_1)
	v_pk_mul_f32 v[30:31], v[24:25], v[30:31]
	v_pk_fma_f32 v[34:35], v[24:25], v[32:33], v[30:31] op_sel:[0,0,1] op_sel_hi:[1,1,0]
	v_pk_fma_f32 v[24:25], v[24:25], v[32:33], v[30:31] op_sel:[0,0,1] op_sel_hi:[1,1,0] neg_lo:[0,0,1] neg_hi:[0,0,1]
	s_delay_alu instid0(VALU_DEP_2) | instskip(NEXT) | instid1(VALU_DEP_1)
	v_mov_b32_e32 v25, v35
	v_pk_add_f32 v[24:25], v[2:3], v[24:25]
	global_store_b64 v[22:23], v[24:25], off
.LBB220_28:                             ;   in Loop: Header=BB220_6 Depth=1
	s_and_not1_b32 vcc_lo, exec_lo, s13
	s_cbranch_vccnz .LBB220_30
; %bb.29:                               ;   in Loop: Header=BB220_6 Depth=1
	global_store_b64 v[22:23], v[2:3], off
.LBB220_30:                             ;   in Loop: Header=BB220_6 Depth=1
	s_wait_xcnt 0x0
	s_or_b32 exec_lo, exec_lo, s12
	s_and_saveexec_b32 s12, s28
	s_cbranch_execz .LBB220_5
; %bb.31:                               ;   in Loop: Header=BB220_6 Depth=1
	v_mov_b64_e32 v[2:3], s[4:5]
	v_mov_b64_e32 v[22:23], s[24:25]
	v_lshl_add_u64 v[0:1], v[10:11], 3, v[0:1]
	s_and_not1_b32 vcc_lo, exec_lo, s14
	s_mov_b32 s13, -1
	s_delay_alu instid0(VALU_DEP_3) | instskip(NEXT) | instid1(VALU_DEP_1)
	v_pk_mul_f32 v[2:3], v[28:29], v[2:3] op_sel_hi:[0,1]
	v_pk_fma_f32 v[24:25], v[26:27], v[22:23], v[2:3] op_sel_hi:[0,1,1]
	v_pk_fma_f32 v[2:3], v[26:27], v[22:23], v[2:3] neg_lo:[0,0,1] neg_hi:[0,0,1]
	s_delay_alu instid0(VALU_DEP_2)
	v_mov_b32_e32 v3, v25
	s_cbranch_vccnz .LBB220_33
; %bb.32:                               ;   in Loop: Header=BB220_6 Depth=1
	global_load_b64 v[22:23], v[0:1], off
	v_mov_b64_e32 v[24:25], s[6:7]
	v_mov_b64_e32 v[30:31], s[2:3]
	s_mov_b32 s13, 0
	s_wait_loadcnt 0x0
	s_delay_alu instid0(VALU_DEP_2) | instskip(NEXT) | instid1(VALU_DEP_1)
	v_pk_mul_f32 v[24:25], v[22:23], v[24:25]
	v_pk_fma_f32 v[32:33], v[22:23], v[30:31], v[24:25] op_sel:[0,0,1] op_sel_hi:[1,1,0]
	v_pk_fma_f32 v[22:23], v[22:23], v[30:31], v[24:25] op_sel:[0,0,1] op_sel_hi:[1,1,0] neg_lo:[0,0,1] neg_hi:[0,0,1]
	s_delay_alu instid0(VALU_DEP_2) | instskip(NEXT) | instid1(VALU_DEP_1)
	v_mov_b32_e32 v23, v33
	v_pk_add_f32 v[22:23], v[2:3], v[22:23]
	global_store_b64 v[0:1], v[22:23], off
.LBB220_33:                             ;   in Loop: Header=BB220_6 Depth=1
	s_and_not1_b32 vcc_lo, exec_lo, s13
	s_cbranch_vccnz .LBB220_5
; %bb.34:                               ;   in Loop: Header=BB220_6 Depth=1
	global_store_b64 v[0:1], v[2:3], off
	s_branch .LBB220_5
.LBB220_35:
	s_endpgm
	.section	.rodata,"a",@progbits
	.p2align	6, 0x0
	.amdhsa_kernel _ZL29rocblas_internal_gemmt_kernelIlLi16ELi32ELi8ELc84ELc84ELc85ELb0ELb0E19rocblas_complex_numIfEPKS1_S3_PS1_EviT_T9_T10_S5_lS7_S5_lS6_T11_S5_li
		.amdhsa_group_segment_fixed_size 4096
		.amdhsa_private_segment_fixed_size 0
		.amdhsa_kernarg_size 108
		.amdhsa_user_sgpr_count 2
		.amdhsa_user_sgpr_dispatch_ptr 0
		.amdhsa_user_sgpr_queue_ptr 0
		.amdhsa_user_sgpr_kernarg_segment_ptr 1
		.amdhsa_user_sgpr_dispatch_id 0
		.amdhsa_user_sgpr_kernarg_preload_length 0
		.amdhsa_user_sgpr_kernarg_preload_offset 0
		.amdhsa_user_sgpr_private_segment_size 0
		.amdhsa_wavefront_size32 1
		.amdhsa_uses_dynamic_stack 0
		.amdhsa_enable_private_segment 0
		.amdhsa_system_sgpr_workgroup_id_x 1
		.amdhsa_system_sgpr_workgroup_id_y 1
		.amdhsa_system_sgpr_workgroup_id_z 1
		.amdhsa_system_sgpr_workgroup_info 0
		.amdhsa_system_vgpr_workitem_id 1
		.amdhsa_next_free_vgpr 58
		.amdhsa_next_free_sgpr 37
		.amdhsa_named_barrier_count 0
		.amdhsa_reserve_vcc 1
		.amdhsa_float_round_mode_32 0
		.amdhsa_float_round_mode_16_64 0
		.amdhsa_float_denorm_mode_32 3
		.amdhsa_float_denorm_mode_16_64 3
		.amdhsa_fp16_overflow 0
		.amdhsa_memory_ordered 1
		.amdhsa_forward_progress 1
		.amdhsa_inst_pref_size 25
		.amdhsa_round_robin_scheduling 0
		.amdhsa_exception_fp_ieee_invalid_op 0
		.amdhsa_exception_fp_denorm_src 0
		.amdhsa_exception_fp_ieee_div_zero 0
		.amdhsa_exception_fp_ieee_overflow 0
		.amdhsa_exception_fp_ieee_underflow 0
		.amdhsa_exception_fp_ieee_inexact 0
		.amdhsa_exception_int_div_zero 0
	.end_amdhsa_kernel
	.section	.text._ZL29rocblas_internal_gemmt_kernelIlLi16ELi32ELi8ELc84ELc84ELc85ELb0ELb0E19rocblas_complex_numIfEPKS1_S3_PS1_EviT_T9_T10_S5_lS7_S5_lS6_T11_S5_li,"axG",@progbits,_ZL29rocblas_internal_gemmt_kernelIlLi16ELi32ELi8ELc84ELc84ELc85ELb0ELb0E19rocblas_complex_numIfEPKS1_S3_PS1_EviT_T9_T10_S5_lS7_S5_lS6_T11_S5_li,comdat
.Lfunc_end220:
	.size	_ZL29rocblas_internal_gemmt_kernelIlLi16ELi32ELi8ELc84ELc84ELc85ELb0ELb0E19rocblas_complex_numIfEPKS1_S3_PS1_EviT_T9_T10_S5_lS7_S5_lS6_T11_S5_li, .Lfunc_end220-_ZL29rocblas_internal_gemmt_kernelIlLi16ELi32ELi8ELc84ELc84ELc85ELb0ELb0E19rocblas_complex_numIfEPKS1_S3_PS1_EviT_T9_T10_S5_lS7_S5_lS6_T11_S5_li
                                        ; -- End function
	.set _ZL29rocblas_internal_gemmt_kernelIlLi16ELi32ELi8ELc84ELc84ELc85ELb0ELb0E19rocblas_complex_numIfEPKS1_S3_PS1_EviT_T9_T10_S5_lS7_S5_lS6_T11_S5_li.num_vgpr, 58
	.set _ZL29rocblas_internal_gemmt_kernelIlLi16ELi32ELi8ELc84ELc84ELc85ELb0ELb0E19rocblas_complex_numIfEPKS1_S3_PS1_EviT_T9_T10_S5_lS7_S5_lS6_T11_S5_li.num_agpr, 0
	.set _ZL29rocblas_internal_gemmt_kernelIlLi16ELi32ELi8ELc84ELc84ELc85ELb0ELb0E19rocblas_complex_numIfEPKS1_S3_PS1_EviT_T9_T10_S5_lS7_S5_lS6_T11_S5_li.numbered_sgpr, 37
	.set _ZL29rocblas_internal_gemmt_kernelIlLi16ELi32ELi8ELc84ELc84ELc85ELb0ELb0E19rocblas_complex_numIfEPKS1_S3_PS1_EviT_T9_T10_S5_lS7_S5_lS6_T11_S5_li.num_named_barrier, 0
	.set _ZL29rocblas_internal_gemmt_kernelIlLi16ELi32ELi8ELc84ELc84ELc85ELb0ELb0E19rocblas_complex_numIfEPKS1_S3_PS1_EviT_T9_T10_S5_lS7_S5_lS6_T11_S5_li.private_seg_size, 0
	.set _ZL29rocblas_internal_gemmt_kernelIlLi16ELi32ELi8ELc84ELc84ELc85ELb0ELb0E19rocblas_complex_numIfEPKS1_S3_PS1_EviT_T9_T10_S5_lS7_S5_lS6_T11_S5_li.uses_vcc, 1
	.set _ZL29rocblas_internal_gemmt_kernelIlLi16ELi32ELi8ELc84ELc84ELc85ELb0ELb0E19rocblas_complex_numIfEPKS1_S3_PS1_EviT_T9_T10_S5_lS7_S5_lS6_T11_S5_li.uses_flat_scratch, 0
	.set _ZL29rocblas_internal_gemmt_kernelIlLi16ELi32ELi8ELc84ELc84ELc85ELb0ELb0E19rocblas_complex_numIfEPKS1_S3_PS1_EviT_T9_T10_S5_lS7_S5_lS6_T11_S5_li.has_dyn_sized_stack, 0
	.set _ZL29rocblas_internal_gemmt_kernelIlLi16ELi32ELi8ELc84ELc84ELc85ELb0ELb0E19rocblas_complex_numIfEPKS1_S3_PS1_EviT_T9_T10_S5_lS7_S5_lS6_T11_S5_li.has_recursion, 0
	.set _ZL29rocblas_internal_gemmt_kernelIlLi16ELi32ELi8ELc84ELc84ELc85ELb0ELb0E19rocblas_complex_numIfEPKS1_S3_PS1_EviT_T9_T10_S5_lS7_S5_lS6_T11_S5_li.has_indirect_call, 0
	.section	.AMDGPU.csdata,"",@progbits
; Kernel info:
; codeLenInByte = 3164
; TotalNumSgprs: 39
; NumVgprs: 58
; ScratchSize: 0
; MemoryBound: 0
; FloatMode: 240
; IeeeMode: 1
; LDSByteSize: 4096 bytes/workgroup (compile time only)
; SGPRBlocks: 0
; VGPRBlocks: 3
; NumSGPRsForWavesPerEU: 39
; NumVGPRsForWavesPerEU: 58
; NamedBarCnt: 0
; Occupancy: 16
; WaveLimiterHint : 0
; COMPUTE_PGM_RSRC2:SCRATCH_EN: 0
; COMPUTE_PGM_RSRC2:USER_SGPR: 2
; COMPUTE_PGM_RSRC2:TRAP_HANDLER: 0
; COMPUTE_PGM_RSRC2:TGID_X_EN: 1
; COMPUTE_PGM_RSRC2:TGID_Y_EN: 1
; COMPUTE_PGM_RSRC2:TGID_Z_EN: 1
; COMPUTE_PGM_RSRC2:TIDIG_COMP_CNT: 1
	.section	.text._ZL29rocblas_internal_gemmt_kernelIlLi16ELi32ELi8ELc84ELc67ELc85ELb0ELb1E19rocblas_complex_numIfEPKS1_S3_PS1_EviT_T9_T10_S5_lS7_S5_lS6_T11_S5_li,"axG",@progbits,_ZL29rocblas_internal_gemmt_kernelIlLi16ELi32ELi8ELc84ELc67ELc85ELb0ELb1E19rocblas_complex_numIfEPKS1_S3_PS1_EviT_T9_T10_S5_lS7_S5_lS6_T11_S5_li,comdat
	.globl	_ZL29rocblas_internal_gemmt_kernelIlLi16ELi32ELi8ELc84ELc67ELc85ELb0ELb1E19rocblas_complex_numIfEPKS1_S3_PS1_EviT_T9_T10_S5_lS7_S5_lS6_T11_S5_li ; -- Begin function _ZL29rocblas_internal_gemmt_kernelIlLi16ELi32ELi8ELc84ELc67ELc85ELb0ELb1E19rocblas_complex_numIfEPKS1_S3_PS1_EviT_T9_T10_S5_lS7_S5_lS6_T11_S5_li
	.p2align	8
	.type	_ZL29rocblas_internal_gemmt_kernelIlLi16ELi32ELi8ELc84ELc67ELc85ELb0ELb1E19rocblas_complex_numIfEPKS1_S3_PS1_EviT_T9_T10_S5_lS7_S5_lS6_T11_S5_li,@function
_ZL29rocblas_internal_gemmt_kernelIlLi16ELi32ELi8ELc84ELc67ELc85ELb0ELb1E19rocblas_complex_numIfEPKS1_S3_PS1_EviT_T9_T10_S5_lS7_S5_lS6_T11_S5_li: ; @_ZL29rocblas_internal_gemmt_kernelIlLi16ELi32ELi8ELc84ELc67ELc85ELb0ELb1E19rocblas_complex_numIfEPKS1_S3_PS1_EviT_T9_T10_S5_lS7_S5_lS6_T11_S5_li
; %bb.0:
	s_load_b256 s[24:31], s[0:1], 0x48
	s_wait_kmcnt 0x0
	s_load_b64 s[6:7], s[24:25], 0x0
	s_load_b512 s[8:23], s[0:1], 0x8
	s_wait_kmcnt 0x0
	s_cmp_neq_f32 s6, 1.0
	s_load_b64 s[24:25], s[10:11], 0x0
	s_cselect_b32 s2, -1, 0
	s_and_b32 s4, s7, 0x7fffffff
	s_delay_alu instid0(SALU_CYCLE_1) | instskip(SKIP_3) | instid1(SALU_CYCLE_1)
	s_cmp_eq_u32 s4, 0
	s_cselect_b32 s3, -1, 0
	s_cmp_lg_u32 s4, 0
	s_cselect_b32 s4, -1, 0
	s_or_b32 s2, s2, s4
	s_delay_alu instid0(SALU_CYCLE_1)
	s_and_b32 vcc_lo, exec_lo, s2
	s_cbranch_vccnz .LBB221_2
; %bb.1:
	s_cmp_lg_u64 s[8:9], 0
	s_cselect_b32 s2, -1, 0
	s_wait_kmcnt 0x0
	s_cmp_neq_f32 s24, 0
	s_cselect_b32 s4, -1, 0
	s_cmp_neq_f32 s25, 0
	s_cselect_b32 s5, -1, 0
	s_delay_alu instid0(SALU_CYCLE_1) | instskip(NEXT) | instid1(SALU_CYCLE_1)
	s_or_b32 s4, s4, s5
	s_and_b32 s2, s2, s4
.LBB221_2:
	s_delay_alu instid0(SALU_CYCLE_1)
	s_and_not1_b32 vcc_lo, exec_lo, s2
	s_cbranch_vccnz .LBB221_37
; %bb.3:
	s_load_b32 s33, s[0:1], 0x68
	s_bfe_u32 s2, ttmp6, 0x40014
	s_lshr_b32 s4, ttmp7, 16
	s_add_co_i32 s2, s2, 1
	s_wait_xcnt 0x0
	s_bfe_u32 s10, ttmp6, 0x40008
	s_mul_i32 s5, s4, s2
	s_getreg_b32 s2, hwreg(HW_REG_IB_STS2, 6, 4)
	s_add_co_i32 s10, s10, s5
	s_cmp_eq_u32 s2, 0
	s_mov_b32 s11, 0
	s_cselect_b32 s10, s4, s10
	s_wait_kmcnt 0x0
	s_cmp_ge_u32 s10, s33
	s_cbranch_scc1 .LBB221_37
; %bb.4:
	v_and_b32_e32 v7, 0x3ff, v0
	v_bfe_u32 v9, v0, 10, 10
	s_bfe_u32 s4, ttmp6, 0x4000c
	s_bfe_u32 s34, ttmp6, 0x40010
	s_add_co_i32 s4, s4, 1
	s_and_b32 s35, ttmp7, 0xffff
	s_add_co_i32 s34, s34, 1
	v_lshl_add_u32 v8, v9, 4, v7
	s_and_b32 s5, ttmp6, 15
	s_mul_i32 s4, ttmp9, s4
	s_mul_i32 s34, s35, s34
	s_bfe_u32 s36, ttmp6, 0x40004
	s_add_co_i32 s5, s5, s4
	s_add_co_i32 s36, s36, s34
	s_cmp_eq_u32 s2, 0
	v_and_b32_e32 v10, 31, v8
	s_cselect_b32 s2, ttmp9, s5
	s_cselect_b32 s4, s35, s36
	s_lshl_b32 s2, s2, 5
	v_dual_lshlrev_b32 v5, 3, v7 :: v_dual_bitop2_b32 v4, 7, v0 bitop3:0x40
	v_or_b32_e32 v2, s2, v10
	s_load_b32 s5, s[0:1], 0x0
	s_wait_xcnt 0x0
	s_lshl_b32 s0, s4, 5
	v_lshlrev_b32_e32 v11, 3, v4
	v_dual_lshrrev_b32 v6, 5, v8 :: v_dual_ashrrev_i32 v3, 31, v2
	v_add_nc_u32_e32 v20, s0, v9
	s_cmp_neq_f32 s24, 0
	v_cmp_gt_i64_e64 s34, s[8:9], 0
	v_lshl_add_u32 v29, v9, 6, 0x800
	v_mul_u64_e32 v[0:1], s[14:15], v[2:3]
	v_dual_lshrrev_b32 v3, 3, v8 :: v_dual_add_nc_u32 v8, s2, v7
	v_dual_add_nc_u32 v22, 16, v20 :: v_dual_ashrrev_i32 v21, 31, v20
	s_delay_alu instid0(VALU_DEP_2) | instskip(NEXT) | instid1(VALU_DEP_2)
	v_dual_lshlrev_b32 v7, 3, v10 :: v_dual_add_nc_u32 v16, s0, v3
	v_dual_add_nc_u32 v10, 16, v8 :: v_dual_ashrrev_i32 v23, 31, v22
	s_delay_alu instid0(VALU_DEP_3)
	v_mul_u64_e32 v[12:13], s[28:29], v[20:21]
	s_cselect_b32 s2, -1, 0
	s_cmp_neq_f32 s25, 0
	v_cmp_le_i32_e32 vcc_lo, v8, v20
	v_mul_u64_e32 v[14:15], s[28:29], v[22:23]
	v_lshl_or_b32 v3, v3, 6, v11
	s_cselect_b32 s4, -1, 0
	v_dual_ashrrev_i32 v17, 31, v16 :: v_dual_ashrrev_i32 v11, 31, v10
	s_or_b32 s29, s2, s4
	s_cmp_neq_f32 s6, 0
	s_wait_kmcnt 0x0
	v_cmp_gt_i32_e64 s2, s5, v20
	v_cmp_gt_i32_e64 s0, s5, v2
	;; [unrolled: 1-line block ×3, first 2 shown]
	s_cselect_b32 s4, -1, 0
	s_xor_b32 s3, s3, -1
	s_and_b32 s15, s2, vcc_lo
	s_or_b32 s14, s4, s3
	v_cmp_le_i32_e32 vcc_lo, v10, v20
	v_cmp_gt_i32_e64 s3, s5, v22
	v_cmp_le_i32_e64 s4, v8, v22
	v_cmp_le_i32_e64 s5, v10, v22
	v_lshl_or_b32 v7, v6, 8, v7
	v_add_nc_u32_e32 v27, 0x800, v3
	v_lshl_add_u64 v[16:17], v[16:17], 3, s[18:19]
	v_lshl_add_u64 v[18:19], v[0:1], 3, s[12:13]
	v_dual_ashrrev_i32 v9, 31, v8 :: v_dual_mov_b32 v21, 0
	s_and_b32 s18, s2, vcc_lo
	s_and_b32 s19, s3, s4
	s_and_b32 s28, s3, s5
	s_mov_b32 s2, s6
	s_mov_b32 s3, s6
	;; [unrolled: 1-line block ×3, first 2 shown]
	s_and_b32 s29, s29, s34
	s_mov_b32 s4, s25
	s_mov_b32 s5, s24
	s_xor_b32 s1, s1, -1
	s_branch .LBB221_6
.LBB221_5:                              ;   in Loop: Header=BB221_6 Depth=1
	s_wait_xcnt 0x0
	s_or_b32 exec_lo, exec_lo, s12
	s_add_co_i32 s10, s10, 0x10000
	s_delay_alu instid0(SALU_CYCLE_1)
	s_cmp_lt_u32 s10, s33
	s_cbranch_scc0 .LBB221_37
.LBB221_6:                              ; =>This Loop Header: Depth=1
                                        ;     Child Loop BB221_9 Depth 2
	v_dual_mov_b32 v38, v21 :: v_dual_mov_b32 v40, v21
	v_dual_mov_b32 v34, v21 :: v_dual_mov_b32 v36, v21
	;; [unrolled: 1-line block ×4, first 2 shown]
	s_and_not1_b32 vcc_lo, exec_lo, s29
	s_cbranch_vccnz .LBB221_17
; %bb.7:                                ;   in Loop: Header=BB221_6 Depth=1
	s_mul_u64 s[12:13], s[16:17], s[10:11]
	s_mul_u64 s[34:35], s[22:23], s[10:11]
	v_lshl_add_u64 v[22:23], s[12:13], 3, v[18:19]
	v_lshl_add_u64 v[24:25], s[34:35], 3, v[16:17]
	v_dual_mov_b32 v28, 0 :: v_dual_mov_b32 v26, 0
	v_dual_mov_b32 v32, 0 :: v_dual_mov_b32 v30, 0
	;; [unrolled: 1-line block ×4, first 2 shown]
	s_mov_b64 s[12:13], 0
	s_branch .LBB221_9
.LBB221_8:                              ;   in Loop: Header=BB221_9 Depth=2
	s_or_b32 exec_lo, exec_lo, s34
	ds_store_b32 v27, v0 offset:4
	s_wait_dscnt 0x0
	s_barrier_signal -1
	s_barrier_wait -1
	ds_load_b128 v[42:45], v29
	ds_load_b128 v[46:49], v29 offset:16
	ds_load_b128 v[50:53], v29 offset:32
	;; [unrolled: 1-line block ×3, first 2 shown]
	ds_load_2addr_b64 v[54:57], v5 offset1:16
	s_add_nc_u64 s[12:13], s[12:13], 8
	s_delay_alu instid0(SALU_CYCLE_1) | instskip(SKIP_3) | instid1(VALU_DEP_1)
	v_cmp_gt_i64_e64 s34, s[8:9], s[12:13]
	s_and_b32 vcc_lo, exec_lo, s34
	s_wait_dscnt 0x0
	v_dual_mul_f32 v20, v43, v55 :: v_dual_mul_f32 v31, v42, v55
	v_dual_mul_f32 v33, v42, v57 :: v_dual_fma_f32 v20, v42, v54, -v20
	s_delay_alu instid0(VALU_DEP_1) | instskip(NEXT) | instid1(VALU_DEP_1)
	v_dual_fmac_f32 v31, v43, v54 :: v_dual_fmac_f32 v33, v43, v56
	v_dual_add_f32 v20, v38, v20 :: v_dual_add_f32 v38, v40, v31
	v_mul_f32_e32 v31, v43, v57
	s_delay_alu instid0(VALU_DEP_1) | instskip(NEXT) | instid1(VALU_DEP_1)
	v_dual_add_f32 v40, v36, v33 :: v_dual_fma_f32 v31, v42, v56, -v31
	v_add_f32_e32 v39, v34, v31
	ds_load_b128 v[34:37], v29 offset:1024
	s_wait_dscnt 0x0
	v_dual_mul_f32 v31, v35, v55 :: v_dual_mul_f32 v33, v34, v55
	s_delay_alu instid0(VALU_DEP_1) | instskip(NEXT) | instid1(VALU_DEP_1)
	v_dual_fma_f32 v31, v34, v54, -v31 :: v_dual_fmac_f32 v33, v35, v54
	v_dual_add_f32 v41, v30, v31 :: v_dual_add_f32 v42, v32, v33
	v_dual_mul_f32 v30, v35, v57 :: v_dual_mul_f32 v31, v34, v57
	s_delay_alu instid0(VALU_DEP_1) | instskip(NEXT) | instid1(VALU_DEP_1)
	v_dual_fma_f32 v30, v34, v56, -v30 :: v_dual_fmac_f32 v31, v35, v56
	v_dual_add_f32 v26, v26, v30 :: v_dual_add_f32 v28, v28, v31
	ds_load_2addr_b64 v[30:33], v5 offset0:32 offset1:48
	s_wait_dscnt 0x0
	v_dual_mul_f32 v34, v45, v31 :: v_dual_mul_f32 v35, v44, v31
	s_delay_alu instid0(VALU_DEP_1) | instskip(NEXT) | instid1(VALU_DEP_1)
	v_dual_fma_f32 v34, v44, v30, -v34 :: v_dual_fmac_f32 v35, v45, v30
	v_dual_add_f32 v20, v20, v34 :: v_dual_add_f32 v34, v38, v35
	v_dual_mul_f32 v35, v45, v33 :: v_dual_mul_f32 v38, v44, v33
	s_delay_alu instid0(VALU_DEP_1) | instskip(NEXT) | instid1(VALU_DEP_1)
	v_dual_fma_f32 v35, v44, v32, -v35 :: v_dual_fmac_f32 v38, v45, v32
	v_dual_add_f32 v35, v39, v35 :: v_dual_add_f32 v38, v40, v38
	v_dual_mul_f32 v39, v37, v31 :: v_dual_mul_f32 v31, v36, v31
	s_delay_alu instid0(VALU_DEP_1) | instskip(NEXT) | instid1(VALU_DEP_2)
	v_fmac_f32_e32 v31, v37, v30
	v_dual_fma_f32 v39, v36, v30, -v39 :: v_dual_mul_f32 v30, v37, v33
	s_delay_alu instid0(VALU_DEP_2) | instskip(NEXT) | instid1(VALU_DEP_2)
	v_add_f32_e32 v40, v42, v31
	v_dual_add_f32 v39, v41, v39 :: v_dual_fma_f32 v30, v36, v32, -v30
	s_delay_alu instid0(VALU_DEP_1) | instskip(NEXT) | instid1(VALU_DEP_1)
	v_dual_mul_f32 v31, v36, v33 :: v_dual_add_f32 v26, v26, v30
	v_fmac_f32_e32 v31, v37, v32
	s_delay_alu instid0(VALU_DEP_1) | instskip(SKIP_3) | instid1(VALU_DEP_1)
	v_add_f32_e32 v28, v28, v31
	ds_load_2addr_b64 v[30:33], v5 offset0:64 offset1:80
	s_wait_dscnt 0x0
	v_mul_f32_e32 v36, v47, v31
	v_dual_fma_f32 v36, v46, v30, -v36 :: v_dual_mul_f32 v37, v46, v31
	s_delay_alu instid0(VALU_DEP_1) | instskip(SKIP_1) | instid1(VALU_DEP_2)
	v_dual_add_f32 v20, v20, v36 :: v_dual_fmac_f32 v37, v47, v30
	v_mul_f32_e32 v36, v46, v33
	v_add_f32_e32 v41, v34, v37
	v_mul_f32_e32 v34, v47, v33
	s_delay_alu instid0(VALU_DEP_1) | instskip(NEXT) | instid1(VALU_DEP_1)
	v_fma_f32 v34, v46, v32, -v34
	v_add_f32_e32 v42, v35, v34
	v_fmac_f32_e32 v36, v47, v32
	s_delay_alu instid0(VALU_DEP_1) | instskip(SKIP_3) | instid1(VALU_DEP_1)
	v_add_f32_e32 v38, v38, v36
	ds_load_b128 v[34:37], v29 offset:1040
	s_wait_dscnt 0x0
	v_dual_mul_f32 v43, v35, v31 :: v_dual_mul_f32 v31, v34, v31
	v_fma_f32 v43, v34, v30, -v43
	s_delay_alu instid0(VALU_DEP_2) | instskip(NEXT) | instid1(VALU_DEP_2)
	v_dual_fmac_f32 v31, v35, v30 :: v_dual_mul_f32 v30, v35, v33
	v_add_f32_e32 v39, v39, v43
	s_delay_alu instid0(VALU_DEP_2) | instskip(NEXT) | instid1(VALU_DEP_1)
	v_dual_add_f32 v40, v40, v31 :: v_dual_mul_f32 v31, v34, v33
	v_dual_fma_f32 v30, v34, v32, -v30 :: v_dual_fmac_f32 v31, v35, v32
	s_delay_alu instid0(VALU_DEP_1) | instskip(SKIP_3) | instid1(VALU_DEP_1)
	v_dual_add_f32 v26, v26, v30 :: v_dual_add_f32 v28, v28, v31
	ds_load_2addr_b64 v[30:33], v5 offset0:96 offset1:112
	s_wait_dscnt 0x0
	v_dual_mul_f32 v34, v49, v31 :: v_dual_mul_f32 v35, v48, v31
	v_dual_fma_f32 v34, v48, v30, -v34 :: v_dual_fmac_f32 v35, v49, v30
	s_delay_alu instid0(VALU_DEP_1) | instskip(SKIP_1) | instid1(VALU_DEP_1)
	v_dual_add_f32 v20, v20, v34 :: v_dual_add_f32 v34, v41, v35
	v_mul_f32_e32 v41, v48, v33
	v_fmac_f32_e32 v41, v49, v32
	s_delay_alu instid0(VALU_DEP_1) | instskip(SKIP_1) | instid1(VALU_DEP_2)
	v_dual_add_f32 v38, v38, v41 :: v_dual_mul_f32 v41, v37, v31
	v_dual_mul_f32 v35, v49, v33 :: v_dual_mul_f32 v31, v36, v31
	v_fma_f32 v41, v36, v30, -v41
	s_delay_alu instid0(VALU_DEP_2) | instskip(NEXT) | instid1(VALU_DEP_3)
	v_fma_f32 v35, v48, v32, -v35
	v_dual_fmac_f32 v31, v37, v30 :: v_dual_mul_f32 v30, v37, v33
	s_delay_alu instid0(VALU_DEP_2) | instskip(NEXT) | instid1(VALU_DEP_2)
	v_dual_add_f32 v39, v39, v41 :: v_dual_add_f32 v35, v42, v35
	v_add_f32_e32 v40, v40, v31
	s_delay_alu instid0(VALU_DEP_3) | instskip(NEXT) | instid1(VALU_DEP_1)
	v_dual_fma_f32 v30, v36, v32, -v30 :: v_dual_mul_f32 v31, v36, v33
	v_dual_fmac_f32 v31, v37, v32 :: v_dual_add_f32 v26, v26, v30
	s_delay_alu instid0(VALU_DEP_1) | instskip(SKIP_3) | instid1(VALU_DEP_1)
	v_add_f32_e32 v28, v28, v31
	ds_load_2addr_b64 v[30:33], v5 offset0:128 offset1:144
	s_wait_dscnt 0x0
	v_dual_mul_f32 v36, v51, v31 :: v_dual_mul_f32 v37, v50, v31
	v_dual_fma_f32 v36, v50, v30, -v36 :: v_dual_fmac_f32 v37, v51, v30
	s_delay_alu instid0(VALU_DEP_1) | instskip(SKIP_1) | instid1(VALU_DEP_1)
	v_dual_add_f32 v20, v20, v36 :: v_dual_add_f32 v41, v34, v37
	v_dual_mul_f32 v34, v51, v33 :: v_dual_mul_f32 v36, v50, v33
	v_dual_fma_f32 v34, v50, v32, -v34 :: v_dual_fmac_f32 v36, v51, v32
	s_delay_alu instid0(VALU_DEP_1) | instskip(SKIP_3) | instid1(VALU_DEP_1)
	v_dual_add_f32 v42, v35, v34 :: v_dual_add_f32 v38, v38, v36
	ds_load_b128 v[34:37], v29 offset:1056
	s_wait_dscnt 0x0
	v_dual_mul_f32 v43, v35, v31 :: v_dual_mul_f32 v31, v34, v31
	v_fmac_f32_e32 v31, v35, v30
	s_delay_alu instid0(VALU_DEP_2) | instskip(NEXT) | instid1(VALU_DEP_2)
	v_dual_fma_f32 v43, v34, v30, -v43 :: v_dual_mul_f32 v30, v35, v33
	v_dual_add_f32 v40, v40, v31 :: v_dual_mul_f32 v31, v34, v33
	s_delay_alu instid0(VALU_DEP_2) | instskip(NEXT) | instid1(VALU_DEP_1)
	v_dual_add_f32 v39, v39, v43 :: v_dual_fma_f32 v30, v34, v32, -v30
	v_dual_fmac_f32 v31, v35, v32 :: v_dual_add_f32 v26, v26, v30
	s_delay_alu instid0(VALU_DEP_1) | instskip(SKIP_3) | instid1(VALU_DEP_1)
	v_add_f32_e32 v28, v28, v31
	ds_load_2addr_b64 v[30:33], v5 offset0:160 offset1:176
	s_wait_dscnt 0x0
	v_dual_mul_f32 v34, v53, v31 :: v_dual_mul_f32 v35, v52, v31
	v_dual_fma_f32 v34, v52, v30, -v34 :: v_dual_fmac_f32 v35, v53, v30
	s_delay_alu instid0(VALU_DEP_1) | instskip(SKIP_1) | instid1(VALU_DEP_1)
	v_dual_add_f32 v20, v20, v34 :: v_dual_add_f32 v34, v41, v35
	v_mul_f32_e32 v41, v52, v33
	v_fmac_f32_e32 v41, v53, v32
	s_delay_alu instid0(VALU_DEP_1) | instskip(SKIP_1) | instid1(VALU_DEP_2)
	v_dual_add_f32 v38, v38, v41 :: v_dual_mul_f32 v41, v37, v31
	v_dual_mul_f32 v35, v53, v33 :: v_dual_mul_f32 v31, v36, v31
	v_fma_f32 v41, v36, v30, -v41
	s_delay_alu instid0(VALU_DEP_2) | instskip(NEXT) | instid1(VALU_DEP_3)
	v_fma_f32 v35, v52, v32, -v35
	v_dual_fmac_f32 v31, v37, v30 :: v_dual_mul_f32 v30, v37, v33
	s_delay_alu instid0(VALU_DEP_2) | instskip(NEXT) | instid1(VALU_DEP_2)
	v_dual_add_f32 v39, v39, v41 :: v_dual_add_f32 v35, v42, v35
	v_add_f32_e32 v44, v40, v31
	s_delay_alu instid0(VALU_DEP_3) | instskip(SKIP_2) | instid1(VALU_DEP_1)
	v_dual_fma_f32 v30, v36, v32, -v30 :: v_dual_mul_f32 v31, v36, v33
	ds_load_b128 v[40:43], v29 offset:1072
	v_dual_fmac_f32 v31, v37, v32 :: v_dual_add_f32 v26, v26, v30
	v_add_f32_e32 v28, v28, v31
	ds_load_2addr_b64 v[30:33], v5 offset0:192 offset1:208
	s_wait_dscnt 0x0
	v_dual_mul_f32 v36, v1, v31 :: v_dual_mul_f32 v37, v0, v31
	s_delay_alu instid0(VALU_DEP_1) | instskip(NEXT) | instid1(VALU_DEP_1)
	v_dual_fma_f32 v36, v0, v30, -v36 :: v_dual_fmac_f32 v37, v1, v30
	v_dual_add_f32 v20, v20, v36 :: v_dual_add_f32 v34, v34, v37
	v_mul_f32_e32 v36, v1, v33
	s_delay_alu instid0(VALU_DEP_1) | instskip(NEXT) | instid1(VALU_DEP_1)
	v_dual_fma_f32 v36, v0, v32, -v36 :: v_dual_mul_f32 v0, v0, v33
	v_fmac_f32_e32 v0, v1, v32
	s_delay_alu instid0(VALU_DEP_2) | instskip(NEXT) | instid1(VALU_DEP_1)
	v_dual_add_f32 v1, v35, v36 :: v_dual_mul_f32 v35, v41, v31
	v_dual_mul_f32 v31, v40, v31 :: v_dual_fma_f32 v35, v40, v30, -v35
	s_delay_alu instid0(VALU_DEP_1) | instskip(NEXT) | instid1(VALU_DEP_2)
	v_dual_add_f32 v0, v38, v0 :: v_dual_fmac_f32 v31, v41, v30
	v_dual_add_f32 v30, v39, v35 :: v_dual_mul_f32 v35, v41, v33
	v_mul_f32_e32 v33, v40, v33
	s_delay_alu instid0(VALU_DEP_3)
	v_add_f32_e32 v31, v44, v31
	ds_load_2addr_b64 v[44:47], v5 offset0:224 offset1:240
	s_wait_dscnt 0x0
	v_dual_fma_f32 v35, v40, v32, -v35 :: v_dual_fmac_f32 v33, v41, v32
	s_barrier_signal -1
	s_barrier_wait -1
	s_delay_alu instid0(VALU_DEP_1) | instskip(SKIP_1) | instid1(VALU_DEP_1)
	v_dual_add_f32 v26, v26, v35 :: v_dual_add_f32 v28, v28, v33
	v_dual_mul_f32 v32, v3, v45 :: v_dual_mul_f32 v33, v2, v45
	v_dual_fma_f32 v32, v2, v44, -v32 :: v_dual_fmac_f32 v33, v3, v44
	s_delay_alu instid0(VALU_DEP_1) | instskip(SKIP_1) | instid1(VALU_DEP_1)
	v_dual_add_f32 v38, v20, v32 :: v_dual_add_f32 v40, v34, v33
	v_mul_f32_e32 v20, v3, v47
	v_dual_fma_f32 v20, v2, v46, -v20 :: v_dual_mul_f32 v2, v2, v47
	s_delay_alu instid0(VALU_DEP_1) | instskip(NEXT) | instid1(VALU_DEP_1)
	v_dual_fmac_f32 v2, v3, v46 :: v_dual_add_f32 v34, v1, v20
	v_dual_mul_f32 v1, v42, v45 :: v_dual_add_f32 v36, v0, v2
	s_delay_alu instid0(VALU_DEP_1) | instskip(NEXT) | instid1(VALU_DEP_1)
	v_dual_mul_f32 v0, v43, v45 :: v_dual_fmac_f32 v1, v43, v44
	v_dual_fma_f32 v0, v42, v44, -v0 :: v_dual_add_f32 v32, v31, v1
	v_mul_f32_e32 v1, v42, v47
	s_delay_alu instid0(VALU_DEP_2) | instskip(NEXT) | instid1(VALU_DEP_1)
	v_dual_add_f32 v30, v30, v0 :: v_dual_mul_f32 v0, v43, v47
	v_dual_fmac_f32 v1, v43, v46 :: v_dual_fma_f32 v0, v42, v46, -v0
	s_delay_alu instid0(VALU_DEP_1)
	v_dual_add_f32 v28, v28, v1 :: v_dual_add_f32 v26, v26, v0
	s_cbranch_vccz .LBB221_17
.LBB221_9:                              ;   Parent Loop BB221_6 Depth=1
                                        ; =>  This Inner Loop Header: Depth=2
	v_dual_mov_b32 v0, 0 :: v_dual_mov_b32 v1, 0
	s_and_saveexec_b32 s34, s0
	s_cbranch_execz .LBB221_13
; %bb.10:                               ;   in Loop: Header=BB221_9 Depth=2
	v_dual_mov_b32 v1, 0 :: v_dual_add_nc_u32 v20, s12, v6
	v_mov_b32_e32 v0, 0
	s_mov_b32 s35, exec_lo
	s_delay_alu instid0(VALU_DEP_2)
	v_cmpx_gt_u64_e64 s[8:9], v[20:21]
	s_cbranch_execz .LBB221_12
; %bb.11:                               ;   in Loop: Header=BB221_9 Depth=2
	v_lshl_add_u64 v[0:1], v[20:21], 3, v[22:23]
	global_load_b64 v[0:1], v[0:1], off
.LBB221_12:                             ;   in Loop: Header=BB221_9 Depth=2
	s_wait_xcnt 0x0
	s_or_b32 exec_lo, exec_lo, s35
.LBB221_13:                             ;   in Loop: Header=BB221_9 Depth=2
	s_delay_alu instid0(SALU_CYCLE_1)
	s_or_b32 exec_lo, exec_lo, s34
	v_add_nc_u32_e32 v20, s12, v4
	s_wait_loadcnt 0x0
	ds_store_b64 v7, v[0:1]
	v_cmp_le_u64_e32 vcc_lo, s[8:9], v[20:21]
	s_or_b32 s34, vcc_lo, s1
	s_delay_alu instid0(SALU_CYCLE_1) | instskip(NEXT) | instid1(SALU_CYCLE_1)
	s_and_saveexec_b32 s35, s34
	s_xor_b32 s34, exec_lo, s35
; %bb.14:                               ;   in Loop: Header=BB221_9 Depth=2
	ds_store_b32 v27, v21
; %bb.15:                               ;   in Loop: Header=BB221_9 Depth=2
	s_or_saveexec_b32 s34, s34
	v_mov_b32_e32 v0, 0
	s_xor_b32 exec_lo, exec_lo, s34
	s_cbranch_execz .LBB221_8
; %bb.16:                               ;   in Loop: Header=BB221_9 Depth=2
	v_mul_u64_e32 v[0:1], s[20:21], v[20:21]
	s_delay_alu instid0(VALU_DEP_1)
	v_lshl_add_u64 v[0:1], v[0:1], 3, v[24:25]
	global_load_b64 v[2:3], v[0:1], off
	s_wait_loadcnt 0x0
	s_wait_xcnt 0x0
	v_xor_b32_e32 v0, 0x80000000, v3
	ds_store_b32 v27, v2
	s_branch .LBB221_8
.LBB221_17:                             ;   in Loop: Header=BB221_6 Depth=1
	s_mul_u64 s[12:13], s[30:31], s[10:11]
	s_delay_alu instid0(SALU_CYCLE_1) | instskip(NEXT) | instid1(SALU_CYCLE_1)
	s_lshl_b64 s[12:13], s[12:13], 3
	s_add_nc_u64 s[12:13], s[26:27], s[12:13]
	s_delay_alu instid0(SALU_CYCLE_1)
	v_lshl_add_u64 v[0:1], v[12:13], 3, s[12:13]
	s_and_saveexec_b32 s34, s15
	s_cbranch_execz .LBB221_22
; %bb.18:                               ;   in Loop: Header=BB221_6 Depth=1
	v_mov_b64_e32 v[2:3], s[4:5]
	v_mov_b64_e32 v[22:23], s[24:25]
	s_and_b32 vcc_lo, exec_lo, s14
	s_mov_b32 s35, -1
	s_delay_alu instid0(VALU_DEP_2) | instskip(NEXT) | instid1(VALU_DEP_1)
	v_pk_mul_f32 v[2:3], v[40:41], v[2:3] op_sel_hi:[0,1]
	v_pk_fma_f32 v[24:25], v[38:39], v[22:23], v[2:3] op_sel_hi:[0,1,1]
	v_pk_fma_f32 v[2:3], v[38:39], v[22:23], v[2:3] neg_lo:[0,0,1] neg_hi:[0,0,1]
	v_lshl_add_u64 v[22:23], v[8:9], 3, v[0:1]
	s_delay_alu instid0(VALU_DEP_3)
	v_mov_b32_e32 v3, v25
	s_cbranch_vccz .LBB221_20
; %bb.19:                               ;   in Loop: Header=BB221_6 Depth=1
	global_load_b64 v[24:25], v[22:23], off
	v_mov_b64_e32 v[38:39], s[6:7]
	v_mov_b64_e32 v[40:41], s[2:3]
	s_mov_b32 s35, 0
	s_wait_loadcnt 0x0
	s_delay_alu instid0(VALU_DEP_2) | instskip(NEXT) | instid1(VALU_DEP_1)
	v_pk_mul_f32 v[38:39], v[24:25], v[38:39]
	v_pk_fma_f32 v[42:43], v[24:25], v[40:41], v[38:39] op_sel:[0,0,1] op_sel_hi:[1,1,0]
	v_pk_fma_f32 v[24:25], v[24:25], v[40:41], v[38:39] op_sel:[0,0,1] op_sel_hi:[1,1,0] neg_lo:[0,0,1] neg_hi:[0,0,1]
	s_delay_alu instid0(VALU_DEP_2) | instskip(NEXT) | instid1(VALU_DEP_1)
	v_mov_b32_e32 v25, v43
	v_pk_add_f32 v[24:25], v[2:3], v[24:25]
	global_store_b64 v[22:23], v[24:25], off
.LBB221_20:                             ;   in Loop: Header=BB221_6 Depth=1
	s_and_not1_b32 vcc_lo, exec_lo, s35
	s_cbranch_vccnz .LBB221_22
; %bb.21:                               ;   in Loop: Header=BB221_6 Depth=1
	global_store_b64 v[22:23], v[2:3], off
.LBB221_22:                             ;   in Loop: Header=BB221_6 Depth=1
	s_wait_xcnt 0x0
	s_or_b32 exec_lo, exec_lo, s34
	s_and_saveexec_b32 s34, s18
	s_cbranch_execz .LBB221_27
; %bb.23:                               ;   in Loop: Header=BB221_6 Depth=1
	v_mov_b64_e32 v[2:3], s[4:5]
	v_mov_b64_e32 v[22:23], s[24:25]
	v_lshl_add_u64 v[0:1], v[10:11], 3, v[0:1]
	s_and_not1_b32 vcc_lo, exec_lo, s14
	s_mov_b32 s35, -1
	s_delay_alu instid0(VALU_DEP_3) | instskip(NEXT) | instid1(VALU_DEP_1)
	v_pk_mul_f32 v[2:3], v[36:37], v[2:3] op_sel_hi:[0,1]
	v_pk_fma_f32 v[24:25], v[34:35], v[22:23], v[2:3] op_sel_hi:[0,1,1]
	v_pk_fma_f32 v[2:3], v[34:35], v[22:23], v[2:3] neg_lo:[0,0,1] neg_hi:[0,0,1]
	s_delay_alu instid0(VALU_DEP_2)
	v_mov_b32_e32 v3, v25
	s_cbranch_vccnz .LBB221_25
; %bb.24:                               ;   in Loop: Header=BB221_6 Depth=1
	global_load_b64 v[22:23], v[0:1], off
	v_mov_b64_e32 v[24:25], s[6:7]
	v_mov_b64_e32 v[34:35], s[2:3]
	s_mov_b32 s35, 0
	s_wait_loadcnt 0x0
	s_delay_alu instid0(VALU_DEP_2) | instskip(NEXT) | instid1(VALU_DEP_1)
	v_pk_mul_f32 v[24:25], v[22:23], v[24:25]
	v_pk_fma_f32 v[36:37], v[22:23], v[34:35], v[24:25] op_sel:[0,0,1] op_sel_hi:[1,1,0]
	v_pk_fma_f32 v[22:23], v[22:23], v[34:35], v[24:25] op_sel:[0,0,1] op_sel_hi:[1,1,0] neg_lo:[0,0,1] neg_hi:[0,0,1]
	s_delay_alu instid0(VALU_DEP_2) | instskip(NEXT) | instid1(VALU_DEP_1)
	v_mov_b32_e32 v23, v37
	v_pk_add_f32 v[22:23], v[2:3], v[22:23]
	global_store_b64 v[0:1], v[22:23], off
.LBB221_25:                             ;   in Loop: Header=BB221_6 Depth=1
	s_and_not1_b32 vcc_lo, exec_lo, s35
	s_cbranch_vccnz .LBB221_27
; %bb.26:                               ;   in Loop: Header=BB221_6 Depth=1
	global_store_b64 v[0:1], v[2:3], off
.LBB221_27:                             ;   in Loop: Header=BB221_6 Depth=1
	s_wait_xcnt 0x0
	s_or_b32 exec_lo, exec_lo, s34
	v_lshl_add_u64 v[0:1], v[14:15], 3, s[12:13]
	s_and_saveexec_b32 s12, s19
	s_cbranch_execz .LBB221_32
; %bb.28:                               ;   in Loop: Header=BB221_6 Depth=1
	v_mov_b64_e32 v[2:3], s[4:5]
	v_mov_b64_e32 v[22:23], s[24:25]
	s_and_not1_b32 vcc_lo, exec_lo, s14
	s_mov_b32 s13, -1
	s_delay_alu instid0(VALU_DEP_2) | instskip(NEXT) | instid1(VALU_DEP_1)
	v_pk_mul_f32 v[2:3], v[32:33], v[2:3] op_sel_hi:[0,1]
	v_pk_fma_f32 v[24:25], v[30:31], v[22:23], v[2:3] op_sel_hi:[0,1,1]
	v_pk_fma_f32 v[2:3], v[30:31], v[22:23], v[2:3] neg_lo:[0,0,1] neg_hi:[0,0,1]
	v_lshl_add_u64 v[22:23], v[8:9], 3, v[0:1]
	s_delay_alu instid0(VALU_DEP_3)
	v_mov_b32_e32 v3, v25
	s_cbranch_vccnz .LBB221_30
; %bb.29:                               ;   in Loop: Header=BB221_6 Depth=1
	global_load_b64 v[24:25], v[22:23], off
	v_mov_b64_e32 v[30:31], s[6:7]
	v_mov_b64_e32 v[32:33], s[2:3]
	s_mov_b32 s13, 0
	s_wait_loadcnt 0x0
	s_delay_alu instid0(VALU_DEP_2) | instskip(NEXT) | instid1(VALU_DEP_1)
	v_pk_mul_f32 v[30:31], v[24:25], v[30:31]
	v_pk_fma_f32 v[34:35], v[24:25], v[32:33], v[30:31] op_sel:[0,0,1] op_sel_hi:[1,1,0]
	v_pk_fma_f32 v[24:25], v[24:25], v[32:33], v[30:31] op_sel:[0,0,1] op_sel_hi:[1,1,0] neg_lo:[0,0,1] neg_hi:[0,0,1]
	s_delay_alu instid0(VALU_DEP_2) | instskip(NEXT) | instid1(VALU_DEP_1)
	v_mov_b32_e32 v25, v35
	v_pk_add_f32 v[24:25], v[2:3], v[24:25]
	global_store_b64 v[22:23], v[24:25], off
.LBB221_30:                             ;   in Loop: Header=BB221_6 Depth=1
	s_and_not1_b32 vcc_lo, exec_lo, s13
	s_cbranch_vccnz .LBB221_32
; %bb.31:                               ;   in Loop: Header=BB221_6 Depth=1
	global_store_b64 v[22:23], v[2:3], off
.LBB221_32:                             ;   in Loop: Header=BB221_6 Depth=1
	s_wait_xcnt 0x0
	s_or_b32 exec_lo, exec_lo, s12
	s_and_saveexec_b32 s12, s28
	s_cbranch_execz .LBB221_5
; %bb.33:                               ;   in Loop: Header=BB221_6 Depth=1
	v_mov_b64_e32 v[2:3], s[4:5]
	v_mov_b64_e32 v[22:23], s[24:25]
	v_lshl_add_u64 v[0:1], v[10:11], 3, v[0:1]
	s_and_not1_b32 vcc_lo, exec_lo, s14
	s_mov_b32 s13, -1
	s_delay_alu instid0(VALU_DEP_3) | instskip(NEXT) | instid1(VALU_DEP_1)
	v_pk_mul_f32 v[2:3], v[28:29], v[2:3] op_sel_hi:[0,1]
	v_pk_fma_f32 v[24:25], v[26:27], v[22:23], v[2:3] op_sel_hi:[0,1,1]
	v_pk_fma_f32 v[2:3], v[26:27], v[22:23], v[2:3] neg_lo:[0,0,1] neg_hi:[0,0,1]
	s_delay_alu instid0(VALU_DEP_2)
	v_mov_b32_e32 v3, v25
	s_cbranch_vccnz .LBB221_35
; %bb.34:                               ;   in Loop: Header=BB221_6 Depth=1
	global_load_b64 v[22:23], v[0:1], off
	v_mov_b64_e32 v[24:25], s[6:7]
	v_mov_b64_e32 v[30:31], s[2:3]
	s_mov_b32 s13, 0
	s_wait_loadcnt 0x0
	s_delay_alu instid0(VALU_DEP_2) | instskip(NEXT) | instid1(VALU_DEP_1)
	v_pk_mul_f32 v[24:25], v[22:23], v[24:25]
	v_pk_fma_f32 v[32:33], v[22:23], v[30:31], v[24:25] op_sel:[0,0,1] op_sel_hi:[1,1,0]
	v_pk_fma_f32 v[22:23], v[22:23], v[30:31], v[24:25] op_sel:[0,0,1] op_sel_hi:[1,1,0] neg_lo:[0,0,1] neg_hi:[0,0,1]
	s_delay_alu instid0(VALU_DEP_2) | instskip(NEXT) | instid1(VALU_DEP_1)
	v_mov_b32_e32 v23, v33
	v_pk_add_f32 v[22:23], v[2:3], v[22:23]
	global_store_b64 v[0:1], v[22:23], off
.LBB221_35:                             ;   in Loop: Header=BB221_6 Depth=1
	s_and_not1_b32 vcc_lo, exec_lo, s13
	s_cbranch_vccnz .LBB221_5
; %bb.36:                               ;   in Loop: Header=BB221_6 Depth=1
	global_store_b64 v[0:1], v[2:3], off
	s_branch .LBB221_5
.LBB221_37:
	s_endpgm
	.section	.rodata,"a",@progbits
	.p2align	6, 0x0
	.amdhsa_kernel _ZL29rocblas_internal_gemmt_kernelIlLi16ELi32ELi8ELc84ELc67ELc85ELb0ELb1E19rocblas_complex_numIfEPKS1_S3_PS1_EviT_T9_T10_S5_lS7_S5_lS6_T11_S5_li
		.amdhsa_group_segment_fixed_size 4096
		.amdhsa_private_segment_fixed_size 0
		.amdhsa_kernarg_size 108
		.amdhsa_user_sgpr_count 2
		.amdhsa_user_sgpr_dispatch_ptr 0
		.amdhsa_user_sgpr_queue_ptr 0
		.amdhsa_user_sgpr_kernarg_segment_ptr 1
		.amdhsa_user_sgpr_dispatch_id 0
		.amdhsa_user_sgpr_kernarg_preload_length 0
		.amdhsa_user_sgpr_kernarg_preload_offset 0
		.amdhsa_user_sgpr_private_segment_size 0
		.amdhsa_wavefront_size32 1
		.amdhsa_uses_dynamic_stack 0
		.amdhsa_enable_private_segment 0
		.amdhsa_system_sgpr_workgroup_id_x 1
		.amdhsa_system_sgpr_workgroup_id_y 1
		.amdhsa_system_sgpr_workgroup_id_z 1
		.amdhsa_system_sgpr_workgroup_info 0
		.amdhsa_system_vgpr_workitem_id 1
		.amdhsa_next_free_vgpr 58
		.amdhsa_next_free_sgpr 37
		.amdhsa_named_barrier_count 0
		.amdhsa_reserve_vcc 1
		.amdhsa_float_round_mode_32 0
		.amdhsa_float_round_mode_16_64 0
		.amdhsa_float_denorm_mode_32 3
		.amdhsa_float_denorm_mode_16_64 3
		.amdhsa_fp16_overflow 0
		.amdhsa_memory_ordered 1
		.amdhsa_forward_progress 1
		.amdhsa_inst_pref_size 25
		.amdhsa_round_robin_scheduling 0
		.amdhsa_exception_fp_ieee_invalid_op 0
		.amdhsa_exception_fp_denorm_src 0
		.amdhsa_exception_fp_ieee_div_zero 0
		.amdhsa_exception_fp_ieee_overflow 0
		.amdhsa_exception_fp_ieee_underflow 0
		.amdhsa_exception_fp_ieee_inexact 0
		.amdhsa_exception_int_div_zero 0
	.end_amdhsa_kernel
	.section	.text._ZL29rocblas_internal_gemmt_kernelIlLi16ELi32ELi8ELc84ELc67ELc85ELb0ELb1E19rocblas_complex_numIfEPKS1_S3_PS1_EviT_T9_T10_S5_lS7_S5_lS6_T11_S5_li,"axG",@progbits,_ZL29rocblas_internal_gemmt_kernelIlLi16ELi32ELi8ELc84ELc67ELc85ELb0ELb1E19rocblas_complex_numIfEPKS1_S3_PS1_EviT_T9_T10_S5_lS7_S5_lS6_T11_S5_li,comdat
.Lfunc_end221:
	.size	_ZL29rocblas_internal_gemmt_kernelIlLi16ELi32ELi8ELc84ELc67ELc85ELb0ELb1E19rocblas_complex_numIfEPKS1_S3_PS1_EviT_T9_T10_S5_lS7_S5_lS6_T11_S5_li, .Lfunc_end221-_ZL29rocblas_internal_gemmt_kernelIlLi16ELi32ELi8ELc84ELc67ELc85ELb0ELb1E19rocblas_complex_numIfEPKS1_S3_PS1_EviT_T9_T10_S5_lS7_S5_lS6_T11_S5_li
                                        ; -- End function
	.set _ZL29rocblas_internal_gemmt_kernelIlLi16ELi32ELi8ELc84ELc67ELc85ELb0ELb1E19rocblas_complex_numIfEPKS1_S3_PS1_EviT_T9_T10_S5_lS7_S5_lS6_T11_S5_li.num_vgpr, 58
	.set _ZL29rocblas_internal_gemmt_kernelIlLi16ELi32ELi8ELc84ELc67ELc85ELb0ELb1E19rocblas_complex_numIfEPKS1_S3_PS1_EviT_T9_T10_S5_lS7_S5_lS6_T11_S5_li.num_agpr, 0
	.set _ZL29rocblas_internal_gemmt_kernelIlLi16ELi32ELi8ELc84ELc67ELc85ELb0ELb1E19rocblas_complex_numIfEPKS1_S3_PS1_EviT_T9_T10_S5_lS7_S5_lS6_T11_S5_li.numbered_sgpr, 37
	.set _ZL29rocblas_internal_gemmt_kernelIlLi16ELi32ELi8ELc84ELc67ELc85ELb0ELb1E19rocblas_complex_numIfEPKS1_S3_PS1_EviT_T9_T10_S5_lS7_S5_lS6_T11_S5_li.num_named_barrier, 0
	.set _ZL29rocblas_internal_gemmt_kernelIlLi16ELi32ELi8ELc84ELc67ELc85ELb0ELb1E19rocblas_complex_numIfEPKS1_S3_PS1_EviT_T9_T10_S5_lS7_S5_lS6_T11_S5_li.private_seg_size, 0
	.set _ZL29rocblas_internal_gemmt_kernelIlLi16ELi32ELi8ELc84ELc67ELc85ELb0ELb1E19rocblas_complex_numIfEPKS1_S3_PS1_EviT_T9_T10_S5_lS7_S5_lS6_T11_S5_li.uses_vcc, 1
	.set _ZL29rocblas_internal_gemmt_kernelIlLi16ELi32ELi8ELc84ELc67ELc85ELb0ELb1E19rocblas_complex_numIfEPKS1_S3_PS1_EviT_T9_T10_S5_lS7_S5_lS6_T11_S5_li.uses_flat_scratch, 0
	.set _ZL29rocblas_internal_gemmt_kernelIlLi16ELi32ELi8ELc84ELc67ELc85ELb0ELb1E19rocblas_complex_numIfEPKS1_S3_PS1_EviT_T9_T10_S5_lS7_S5_lS6_T11_S5_li.has_dyn_sized_stack, 0
	.set _ZL29rocblas_internal_gemmt_kernelIlLi16ELi32ELi8ELc84ELc67ELc85ELb0ELb1E19rocblas_complex_numIfEPKS1_S3_PS1_EviT_T9_T10_S5_lS7_S5_lS6_T11_S5_li.has_recursion, 0
	.set _ZL29rocblas_internal_gemmt_kernelIlLi16ELi32ELi8ELc84ELc67ELc85ELb0ELb1E19rocblas_complex_numIfEPKS1_S3_PS1_EviT_T9_T10_S5_lS7_S5_lS6_T11_S5_li.has_indirect_call, 0
	.section	.AMDGPU.csdata,"",@progbits
; Kernel info:
; codeLenInByte = 3196
; TotalNumSgprs: 39
; NumVgprs: 58
; ScratchSize: 0
; MemoryBound: 0
; FloatMode: 240
; IeeeMode: 1
; LDSByteSize: 4096 bytes/workgroup (compile time only)
; SGPRBlocks: 0
; VGPRBlocks: 3
; NumSGPRsForWavesPerEU: 39
; NumVGPRsForWavesPerEU: 58
; NamedBarCnt: 0
; Occupancy: 16
; WaveLimiterHint : 0
; COMPUTE_PGM_RSRC2:SCRATCH_EN: 0
; COMPUTE_PGM_RSRC2:USER_SGPR: 2
; COMPUTE_PGM_RSRC2:TRAP_HANDLER: 0
; COMPUTE_PGM_RSRC2:TGID_X_EN: 1
; COMPUTE_PGM_RSRC2:TGID_Y_EN: 1
; COMPUTE_PGM_RSRC2:TGID_Z_EN: 1
; COMPUTE_PGM_RSRC2:TIDIG_COMP_CNT: 1
	.section	.text._ZL29rocblas_internal_gemmt_kernelIlLi16ELi32ELi8ELc67ELc78ELc85ELb1ELb0E19rocblas_complex_numIfEPKS1_S3_PS1_EviT_T9_T10_S5_lS7_S5_lS6_T11_S5_li,"axG",@progbits,_ZL29rocblas_internal_gemmt_kernelIlLi16ELi32ELi8ELc67ELc78ELc85ELb1ELb0E19rocblas_complex_numIfEPKS1_S3_PS1_EviT_T9_T10_S5_lS7_S5_lS6_T11_S5_li,comdat
	.globl	_ZL29rocblas_internal_gemmt_kernelIlLi16ELi32ELi8ELc67ELc78ELc85ELb1ELb0E19rocblas_complex_numIfEPKS1_S3_PS1_EviT_T9_T10_S5_lS7_S5_lS6_T11_S5_li ; -- Begin function _ZL29rocblas_internal_gemmt_kernelIlLi16ELi32ELi8ELc67ELc78ELc85ELb1ELb0E19rocblas_complex_numIfEPKS1_S3_PS1_EviT_T9_T10_S5_lS7_S5_lS6_T11_S5_li
	.p2align	8
	.type	_ZL29rocblas_internal_gemmt_kernelIlLi16ELi32ELi8ELc67ELc78ELc85ELb1ELb0E19rocblas_complex_numIfEPKS1_S3_PS1_EviT_T9_T10_S5_lS7_S5_lS6_T11_S5_li,@function
_ZL29rocblas_internal_gemmt_kernelIlLi16ELi32ELi8ELc67ELc78ELc85ELb1ELb0E19rocblas_complex_numIfEPKS1_S3_PS1_EviT_T9_T10_S5_lS7_S5_lS6_T11_S5_li: ; @_ZL29rocblas_internal_gemmt_kernelIlLi16ELi32ELi8ELc67ELc78ELc85ELb1ELb0E19rocblas_complex_numIfEPKS1_S3_PS1_EviT_T9_T10_S5_lS7_S5_lS6_T11_S5_li
; %bb.0:
	s_load_b256 s[24:31], s[0:1], 0x48
	s_wait_kmcnt 0x0
	s_load_b64 s[6:7], s[24:25], 0x0
	s_load_b512 s[8:23], s[0:1], 0x8
	s_wait_kmcnt 0x0
	s_cmp_neq_f32 s6, 1.0
	s_load_b64 s[24:25], s[10:11], 0x0
	s_cselect_b32 s2, -1, 0
	s_and_b32 s4, s7, 0x7fffffff
	s_delay_alu instid0(SALU_CYCLE_1) | instskip(SKIP_3) | instid1(SALU_CYCLE_1)
	s_cmp_eq_u32 s4, 0
	s_cselect_b32 s3, -1, 0
	s_cmp_lg_u32 s4, 0
	s_cselect_b32 s4, -1, 0
	s_or_b32 s2, s2, s4
	s_delay_alu instid0(SALU_CYCLE_1)
	s_and_b32 vcc_lo, exec_lo, s2
	s_cbranch_vccnz .LBB222_2
; %bb.1:
	s_cmp_lg_u64 s[8:9], 0
	s_cselect_b32 s2, -1, 0
	s_wait_kmcnt 0x0
	s_cmp_neq_f32 s24, 0
	s_cselect_b32 s4, -1, 0
	s_cmp_neq_f32 s25, 0
	s_cselect_b32 s5, -1, 0
	s_delay_alu instid0(SALU_CYCLE_1) | instskip(NEXT) | instid1(SALU_CYCLE_1)
	s_or_b32 s4, s4, s5
	s_and_b32 s2, s2, s4
.LBB222_2:
	s_delay_alu instid0(SALU_CYCLE_1)
	s_and_not1_b32 vcc_lo, exec_lo, s2
	s_cbranch_vccnz .LBB222_38
; %bb.3:
	s_load_b32 s33, s[0:1], 0x68
	s_bfe_u32 s2, ttmp6, 0x40014
	s_lshr_b32 s4, ttmp7, 16
	s_add_co_i32 s2, s2, 1
	s_wait_xcnt 0x0
	s_bfe_u32 s10, ttmp6, 0x40008
	s_mul_i32 s5, s4, s2
	s_getreg_b32 s2, hwreg(HW_REG_IB_STS2, 6, 4)
	s_add_co_i32 s10, s10, s5
	s_cmp_eq_u32 s2, 0
	s_mov_b32 s11, 0
	s_cselect_b32 s10, s4, s10
	s_wait_kmcnt 0x0
	s_cmp_ge_u32 s10, s33
	s_cbranch_scc1 .LBB222_38
; %bb.4:
	v_and_b32_e32 v7, 0x3ff, v0
	v_bfe_u32 v9, v0, 10, 10
	s_bfe_u32 s5, ttmp6, 0x4000c
	s_bfe_u32 s35, ttmp6, 0x40010
	s_and_b32 s34, ttmp7, 0xffff
	s_add_co_i32 s5, s5, 1
	s_add_co_i32 s35, s35, 1
	v_lshl_add_u32 v6, v9, 4, v7
	s_and_b32 s4, ttmp6, 15
	s_mul_i32 s5, ttmp9, s5
	s_mul_i32 s35, s34, s35
	s_bfe_u32 s36, ttmp6, 0x40004
	s_add_co_i32 s4, s4, s5
	s_add_co_i32 s36, s36, s35
	s_cmp_eq_u32 s2, 0
	v_dual_lshrrev_b32 v10, 3, v6 :: v_dual_bitop2_b32 v11, 31, v6 bitop3:0x40
	s_cselect_b32 s2, ttmp9, s4
	s_cselect_b32 s4, s34, s36
	s_lshl_b32 s2, s2, 5
	s_lshl_b32 s4, s4, 5
	s_delay_alu instid0(SALU_CYCLE_1) | instskip(SKIP_1) | instid1(VALU_DEP_2)
	v_dual_add_nc_u32 v14, s4, v10 :: v_dual_bitop2_b32 v2, s2, v11 bitop3:0x54
	v_dual_add_nc_u32 v20, s4, v9 :: v_dual_add_nc_u32 v8, s2, v7
	v_dual_ashrrev_i32 v3, 31, v2 :: v_dual_bitop2_b32 v4, 7, v0 bitop3:0x40
	s_delay_alu instid0(VALU_DEP_3) | instskip(SKIP_1) | instid1(VALU_DEP_4)
	v_dual_ashrrev_i32 v15, 31, v14 :: v_dual_lshlrev_b32 v5, 3, v7
	v_dual_lshrrev_b32 v6, 5, v6 :: v_dual_lshlrev_b32 v7, 3, v11
	v_add_nc_u32_e32 v22, 16, v20
	s_delay_alu instid0(VALU_DEP_4) | instskip(SKIP_2) | instid1(VALU_DEP_4)
	v_mul_u64_e32 v[0:1], s[14:15], v[2:3]
	v_lshlrev_b32_e32 v3, 3, v4
	v_mul_u64_e32 v[16:17], s[20:21], v[14:15]
	v_dual_ashrrev_i32 v21, 31, v20 :: v_dual_ashrrev_i32 v23, 31, v22
	s_load_b32 s5, s[0:1], 0x0
	s_delay_alu instid0(VALU_DEP_3) | instskip(SKIP_1) | instid1(VALU_DEP_2)
	v_lshl_or_b32 v3, v10, 6, v3
	s_cmp_neq_f32 s24, 0
	v_mul_u64_e32 v[10:11], s[28:29], v[20:21]
	v_mul_u64_e32 v[12:13], s[28:29], v[22:23]
	v_cmp_le_i32_e32 vcc_lo, v8, v20
	s_wait_xcnt 0x0
	s_cselect_b32 s1, -1, 0
	s_cmp_neq_f32 s25, 0
	v_add_nc_u32_e32 v18, 16, v8
	v_cmp_gt_i64_e64 s34, s[8:9], 0
	v_lshl_add_u32 v31, v9, 6, 0x800
	s_cselect_b32 s2, -1, 0
	v_ashrrev_i32_e32 v9, 31, v8
	s_or_b32 s28, s1, s2
	s_cmp_neq_f32 s6, 0
	v_lshl_or_b32 v7, v6, 8, v7
	v_add_nc_u32_e32 v29, 0x800, v3
	v_dual_ashrrev_i32 v19, 31, v18 :: v_dual_mov_b32 v21, 0
	s_cselect_b32 s4, -1, 0
	s_wait_kmcnt 0x0
	v_cmp_gt_i32_e64 s2, s5, v20
	s_xor_b32 s3, s3, -1
	v_cmp_gt_i32_e64 s0, s5, v2
	v_cmp_le_i32_e64 s14, s5, v2
	v_cmp_gt_i32_e64 s1, s5, v14
	s_or_b32 s15, s4, s3
	v_cmp_gt_i32_e64 s3, s5, v22
	v_cmp_le_i32_e64 s4, v8, v22
	v_cmp_le_i32_e64 s5, v18, v22
	v_lshl_add_u64 v[16:17], v[16:17], 3, s[18:19]
	s_and_b32 s18, s2, vcc_lo
	v_cmp_le_i32_e32 vcc_lo, v18, v20
	v_lshl_add_u64 v[14:15], v[0:1], 3, s[12:13]
	s_and_b32 s20, s3, s4
	s_and_b32 s21, s3, s5
	s_mov_b32 s3, s6
	s_and_b32 s19, s2, vcc_lo
	s_mov_b32 s2, s6
	s_and_b32 s28, s28, s34
	s_mov_b32 s6, s7
	s_mov_b32 s4, s25
	;; [unrolled: 1-line block ×3, first 2 shown]
                                        ; implicit-def: $vgpr22_vgpr23
	s_branch .LBB222_6
.LBB222_5:                              ;   in Loop: Header=BB222_6 Depth=1
	s_wait_xcnt 0x0
	s_or_b32 exec_lo, exec_lo, s12
	s_add_co_i32 s10, s10, 0x10000
	s_delay_alu instid0(SALU_CYCLE_1)
	s_cmp_lt_u32 s10, s33
	s_cbranch_scc0 .LBB222_38
.LBB222_6:                              ; =>This Loop Header: Depth=1
                                        ;     Child Loop BB222_9 Depth 2
	s_and_not1_b32 vcc_lo, exec_lo, s28
	s_cbranch_vccnz .LBB222_17
; %bb.7:                                ;   in Loop: Header=BB222_6 Depth=1
	s_mul_u64 s[12:13], s[16:17], s[10:11]
	s_mul_u64 s[34:35], s[22:23], s[10:11]
	v_lshl_add_u64 v[24:25], s[12:13], 3, v[14:15]
	v_lshl_add_u64 v[26:27], s[34:35], 3, v[16:17]
	v_dual_mov_b32 v30, 0 :: v_dual_mov_b32 v28, 0
	v_dual_mov_b32 v34, 0 :: v_dual_mov_b32 v32, 0
	;; [unrolled: 1-line block ×4, first 2 shown]
	s_mov_b64 s[12:13], 0
	s_branch .LBB222_9
.LBB222_8:                              ;   in Loop: Header=BB222_9 Depth=2
	s_wait_xcnt 0x0
	s_or_b32 exec_lo, exec_lo, s29
	s_wait_loadcnt 0x0
	ds_store_b64 v29, v[0:1]
	s_wait_dscnt 0x0
	s_barrier_signal -1
	s_barrier_wait -1
	ds_load_b128 v[44:47], v31
	ds_load_b128 v[48:51], v31 offset:16
	ds_load_b128 v[52:55], v31 offset:32
	;; [unrolled: 1-line block ×3, first 2 shown]
	ds_load_2addr_b64 v[56:59], v5 offset1:16
	s_add_nc_u64 s[12:13], s[12:13], 8
	s_delay_alu instid0(SALU_CYCLE_1) | instskip(SKIP_3) | instid1(VALU_DEP_1)
	v_cmp_gt_i64_e64 s29, s[8:9], s[12:13]
	s_and_b32 vcc_lo, exec_lo, s29
	s_wait_dscnt 0x0
	v_dual_mul_f32 v20, v45, v57 :: v_dual_mul_f32 v33, v44, v57
	v_dual_mul_f32 v35, v44, v59 :: v_dual_fma_f32 v20, v44, v56, -v20
	s_delay_alu instid0(VALU_DEP_1) | instskip(NEXT) | instid1(VALU_DEP_1)
	v_dual_fmac_f32 v33, v45, v56 :: v_dual_fmac_f32 v35, v45, v58
	v_dual_add_f32 v20, v40, v20 :: v_dual_add_f32 v40, v42, v33
	v_mul_f32_e32 v33, v45, v59
	s_delay_alu instid0(VALU_DEP_1) | instskip(NEXT) | instid1(VALU_DEP_1)
	v_dual_add_f32 v42, v38, v35 :: v_dual_fma_f32 v33, v44, v58, -v33
	v_add_f32_e32 v41, v36, v33
	ds_load_b128 v[36:39], v31 offset:1024
	s_wait_dscnt 0x0
	v_dual_mul_f32 v33, v37, v57 :: v_dual_mul_f32 v35, v36, v57
	s_delay_alu instid0(VALU_DEP_1) | instskip(NEXT) | instid1(VALU_DEP_1)
	v_dual_fma_f32 v33, v36, v56, -v33 :: v_dual_fmac_f32 v35, v37, v56
	v_dual_add_f32 v43, v32, v33 :: v_dual_add_f32 v44, v34, v35
	v_dual_mul_f32 v32, v37, v59 :: v_dual_mul_f32 v33, v36, v59
	s_delay_alu instid0(VALU_DEP_1) | instskip(NEXT) | instid1(VALU_DEP_1)
	v_dual_fma_f32 v32, v36, v58, -v32 :: v_dual_fmac_f32 v33, v37, v58
	v_dual_add_f32 v28, v28, v32 :: v_dual_add_f32 v30, v30, v33
	ds_load_2addr_b64 v[32:35], v5 offset0:32 offset1:48
	s_wait_dscnt 0x0
	v_dual_mul_f32 v36, v47, v33 :: v_dual_mul_f32 v37, v46, v33
	s_delay_alu instid0(VALU_DEP_1) | instskip(NEXT) | instid1(VALU_DEP_1)
	v_dual_fma_f32 v36, v46, v32, -v36 :: v_dual_fmac_f32 v37, v47, v32
	v_add_f32_e32 v20, v20, v36
	s_delay_alu instid0(VALU_DEP_2) | instskip(NEXT) | instid1(VALU_DEP_1)
	v_dual_add_f32 v36, v40, v37 :: v_dual_mul_f32 v37, v47, v35
	v_dual_fma_f32 v37, v46, v34, -v37 :: v_dual_mul_f32 v40, v46, v35
	s_delay_alu instid0(VALU_DEP_1) | instskip(SKIP_1) | instid1(VALU_DEP_1)
	v_add_f32_e32 v37, v41, v37
	v_dual_mul_f32 v41, v39, v33 :: v_dual_mul_f32 v33, v38, v33
	v_dual_fmac_f32 v40, v47, v34 :: v_dual_fma_f32 v41, v38, v32, -v41
	s_delay_alu instid0(VALU_DEP_2) | instskip(NEXT) | instid1(VALU_DEP_2)
	v_dual_fmac_f32 v33, v39, v32 :: v_dual_mul_f32 v32, v39, v35
	v_dual_add_f32 v40, v42, v40 :: v_dual_add_f32 v41, v43, v41
	s_delay_alu instid0(VALU_DEP_2) | instskip(NEXT) | instid1(VALU_DEP_1)
	v_dual_add_f32 v42, v44, v33 :: v_dual_fma_f32 v32, v38, v34, -v32
	v_dual_mul_f32 v33, v38, v35 :: v_dual_add_f32 v28, v28, v32
	s_delay_alu instid0(VALU_DEP_1) | instskip(NEXT) | instid1(VALU_DEP_1)
	v_fmac_f32_e32 v33, v39, v34
	v_add_f32_e32 v30, v30, v33
	ds_load_2addr_b64 v[32:35], v5 offset0:64 offset1:80
	s_wait_dscnt 0x0
	v_dual_mul_f32 v38, v49, v33 :: v_dual_mul_f32 v39, v48, v33
	s_delay_alu instid0(VALU_DEP_1) | instskip(NEXT) | instid1(VALU_DEP_1)
	v_dual_fma_f32 v38, v48, v32, -v38 :: v_dual_fmac_f32 v39, v49, v32
	v_add_f32_e32 v20, v20, v38
	v_mul_f32_e32 v38, v48, v35
	s_delay_alu instid0(VALU_DEP_3) | instskip(SKIP_1) | instid1(VALU_DEP_1)
	v_add_f32_e32 v43, v36, v39
	v_mul_f32_e32 v36, v49, v35
	v_fma_f32 v36, v48, v34, -v36
	s_delay_alu instid0(VALU_DEP_1) | instskip(SKIP_1) | instid1(VALU_DEP_1)
	v_add_f32_e32 v44, v37, v36
	v_fmac_f32_e32 v38, v49, v34
	v_add_f32_e32 v40, v40, v38
	ds_load_b128 v[36:39], v31 offset:1040
	s_wait_dscnt 0x0
	v_dual_mul_f32 v45, v37, v33 :: v_dual_mul_f32 v33, v36, v33
	s_delay_alu instid0(VALU_DEP_1) | instskip(NEXT) | instid1(VALU_DEP_2)
	v_fma_f32 v45, v36, v32, -v45
	v_dual_fmac_f32 v33, v37, v32 :: v_dual_mul_f32 v32, v37, v35
	s_delay_alu instid0(VALU_DEP_2) | instskip(NEXT) | instid1(VALU_DEP_2)
	v_add_f32_e32 v41, v41, v45
	v_dual_add_f32 v42, v42, v33 :: v_dual_mul_f32 v33, v36, v35
	s_delay_alu instid0(VALU_DEP_1) | instskip(NEXT) | instid1(VALU_DEP_1)
	v_dual_fma_f32 v32, v36, v34, -v32 :: v_dual_fmac_f32 v33, v37, v34
	v_dual_add_f32 v28, v28, v32 :: v_dual_add_f32 v30, v30, v33
	ds_load_2addr_b64 v[32:35], v5 offset0:96 offset1:112
	s_wait_dscnt 0x0
	v_mul_f32_e32 v36, v51, v33
	s_delay_alu instid0(VALU_DEP_1) | instskip(NEXT) | instid1(VALU_DEP_1)
	v_dual_fma_f32 v36, v50, v32, -v36 :: v_dual_mul_f32 v37, v50, v33
	v_add_f32_e32 v20, v20, v36
	s_delay_alu instid0(VALU_DEP_2) | instskip(NEXT) | instid1(VALU_DEP_1)
	v_fmac_f32_e32 v37, v51, v32
	v_dual_add_f32 v36, v43, v37 :: v_dual_mul_f32 v43, v50, v35
	s_delay_alu instid0(VALU_DEP_1) | instskip(NEXT) | instid1(VALU_DEP_1)
	v_dual_mul_f32 v37, v51, v35 :: v_dual_fmac_f32 v43, v51, v34
	v_dual_fma_f32 v37, v50, v34, -v37 :: v_dual_add_f32 v40, v40, v43
	v_mul_f32_e32 v43, v39, v33
	s_delay_alu instid0(VALU_DEP_1) | instskip(NEXT) | instid1(VALU_DEP_1)
	v_dual_add_f32 v37, v44, v37 :: v_dual_fma_f32 v43, v38, v32, -v43
	v_dual_mul_f32 v33, v38, v33 :: v_dual_add_f32 v41, v41, v43
	s_delay_alu instid0(VALU_DEP_1) | instskip(NEXT) | instid1(VALU_DEP_1)
	v_dual_fmac_f32 v33, v39, v32 :: v_dual_mul_f32 v32, v39, v35
	v_add_f32_e32 v42, v42, v33
	s_delay_alu instid0(VALU_DEP_2) | instskip(NEXT) | instid1(VALU_DEP_1)
	v_dual_fma_f32 v32, v38, v34, -v32 :: v_dual_mul_f32 v33, v38, v35
	v_dual_fmac_f32 v33, v39, v34 :: v_dual_add_f32 v28, v28, v32
	s_delay_alu instid0(VALU_DEP_1) | instskip(SKIP_3) | instid1(VALU_DEP_1)
	v_add_f32_e32 v30, v30, v33
	ds_load_2addr_b64 v[32:35], v5 offset0:128 offset1:144
	s_wait_dscnt 0x0
	v_dual_mul_f32 v38, v53, v33 :: v_dual_mul_f32 v39, v52, v33
	v_dual_fma_f32 v38, v52, v32, -v38 :: v_dual_fmac_f32 v39, v53, v32
	s_delay_alu instid0(VALU_DEP_1) | instskip(SKIP_1) | instid1(VALU_DEP_3)
	v_add_f32_e32 v20, v20, v38
	v_mul_f32_e32 v38, v52, v35
	v_add_f32_e32 v43, v36, v39
	v_mul_f32_e32 v36, v53, v35
	s_delay_alu instid0(VALU_DEP_1) | instskip(NEXT) | instid1(VALU_DEP_1)
	v_fma_f32 v36, v52, v34, -v36
	v_add_f32_e32 v44, v37, v36
	v_fmac_f32_e32 v38, v53, v34
	s_delay_alu instid0(VALU_DEP_1) | instskip(SKIP_3) | instid1(VALU_DEP_1)
	v_add_f32_e32 v40, v40, v38
	ds_load_b128 v[36:39], v31 offset:1056
	s_wait_dscnt 0x0
	v_dual_mul_f32 v45, v37, v33 :: v_dual_mul_f32 v33, v36, v33
	v_fma_f32 v45, v36, v32, -v45
	s_delay_alu instid0(VALU_DEP_2) | instskip(NEXT) | instid1(VALU_DEP_2)
	v_dual_fmac_f32 v33, v37, v32 :: v_dual_mul_f32 v32, v37, v35
	v_add_f32_e32 v41, v41, v45
	s_delay_alu instid0(VALU_DEP_2) | instskip(NEXT) | instid1(VALU_DEP_1)
	v_dual_add_f32 v42, v42, v33 :: v_dual_mul_f32 v33, v36, v35
	v_dual_fma_f32 v32, v36, v34, -v32 :: v_dual_fmac_f32 v33, v37, v34
	s_delay_alu instid0(VALU_DEP_1) | instskip(SKIP_3) | instid1(VALU_DEP_1)
	v_dual_add_f32 v28, v28, v32 :: v_dual_add_f32 v30, v30, v33
	ds_load_2addr_b64 v[32:35], v5 offset0:160 offset1:176
	s_wait_dscnt 0x0
	v_mul_f32_e32 v36, v55, v33
	v_dual_fma_f32 v36, v54, v32, -v36 :: v_dual_mul_f32 v37, v54, v33
	s_delay_alu instid0(VALU_DEP_1) | instskip(NEXT) | instid1(VALU_DEP_2)
	v_add_f32_e32 v20, v20, v36
	v_fmac_f32_e32 v37, v55, v32
	s_delay_alu instid0(VALU_DEP_1) | instskip(NEXT) | instid1(VALU_DEP_1)
	v_dual_add_f32 v36, v43, v37 :: v_dual_mul_f32 v43, v54, v35
	v_dual_mul_f32 v37, v55, v35 :: v_dual_fmac_f32 v43, v55, v34
	s_delay_alu instid0(VALU_DEP_1) | instskip(SKIP_1) | instid1(VALU_DEP_1)
	v_dual_fma_f32 v37, v54, v34, -v37 :: v_dual_add_f32 v40, v40, v43
	v_mul_f32_e32 v43, v39, v33
	v_dual_add_f32 v37, v44, v37 :: v_dual_fma_f32 v43, v38, v32, -v43
	s_delay_alu instid0(VALU_DEP_1) | instskip(NEXT) | instid1(VALU_DEP_1)
	v_dual_mul_f32 v33, v38, v33 :: v_dual_add_f32 v41, v41, v43
	v_dual_fmac_f32 v33, v39, v32 :: v_dual_mul_f32 v32, v39, v35
	s_delay_alu instid0(VALU_DEP_1) | instskip(NEXT) | instid1(VALU_DEP_2)
	v_add_f32_e32 v46, v42, v33
	v_dual_fma_f32 v32, v38, v34, -v32 :: v_dual_mul_f32 v33, v38, v35
	ds_load_b128 v[42:45], v31 offset:1072
	v_dual_fmac_f32 v33, v39, v34 :: v_dual_add_f32 v28, v28, v32
	s_delay_alu instid0(VALU_DEP_1) | instskip(SKIP_3) | instid1(VALU_DEP_1)
	v_add_f32_e32 v30, v30, v33
	ds_load_2addr_b64 v[32:35], v5 offset0:192 offset1:208
	s_wait_dscnt 0x0
	v_dual_mul_f32 v38, v1, v33 :: v_dual_mul_f32 v39, v0, v33
	v_dual_fma_f32 v38, v0, v32, -v38 :: v_dual_fmac_f32 v39, v1, v32
	s_delay_alu instid0(VALU_DEP_1) | instskip(NEXT) | instid1(VALU_DEP_1)
	v_dual_add_f32 v20, v20, v38 :: v_dual_mul_f32 v38, v1, v35
	v_dual_fma_f32 v38, v0, v34, -v38 :: v_dual_mul_f32 v0, v0, v35
	s_delay_alu instid0(VALU_DEP_1) | instskip(NEXT) | instid1(VALU_DEP_2)
	v_dual_add_f32 v36, v36, v39 :: v_dual_fmac_f32 v0, v1, v34
	v_dual_add_f32 v1, v37, v38 :: v_dual_mul_f32 v37, v43, v33
	s_delay_alu instid0(VALU_DEP_2) | instskip(NEXT) | instid1(VALU_DEP_2)
	v_dual_mul_f32 v33, v42, v33 :: v_dual_add_f32 v0, v40, v0
	v_fma_f32 v37, v42, v32, -v37
	s_delay_alu instid0(VALU_DEP_1) | instskip(NEXT) | instid1(VALU_DEP_1)
	v_dual_fmac_f32 v33, v43, v32 :: v_dual_add_f32 v32, v41, v37
	v_dual_add_f32 v33, v46, v33 :: v_dual_mul_f32 v37, v43, v35
	ds_load_2addr_b64 v[46:49], v5 offset0:224 offset1:240
	v_mul_f32_e32 v35, v42, v35
	s_wait_dscnt 0x0
	s_barrier_signal -1
	v_fma_f32 v37, v42, v34, -v37
	s_barrier_wait -1
	v_fmac_f32_e32 v35, v43, v34
	s_delay_alu instid0(VALU_DEP_1) | instskip(SKIP_1) | instid1(VALU_DEP_1)
	v_dual_add_f32 v28, v28, v37 :: v_dual_add_f32 v30, v30, v35
	v_dual_mul_f32 v34, v3, v47 :: v_dual_mul_f32 v35, v2, v47
	v_dual_fma_f32 v34, v2, v46, -v34 :: v_dual_fmac_f32 v35, v3, v46
	s_delay_alu instid0(VALU_DEP_1) | instskip(NEXT) | instid1(VALU_DEP_1)
	v_dual_add_f32 v40, v20, v34 :: v_dual_mul_f32 v20, v3, v49
	v_dual_add_f32 v42, v36, v35 :: v_dual_fma_f32 v20, v2, v48, -v20
	s_delay_alu instid0(VALU_DEP_1) | instskip(NEXT) | instid1(VALU_DEP_1)
	v_dual_mul_f32 v2, v2, v49 :: v_dual_add_f32 v36, v1, v20
	v_dual_fmac_f32 v2, v3, v48 :: v_dual_mul_f32 v1, v44, v47
	s_delay_alu instid0(VALU_DEP_1) | instskip(NEXT) | instid1(VALU_DEP_2)
	v_fmac_f32_e32 v1, v45, v46
	v_dual_add_f32 v38, v0, v2 :: v_dual_mul_f32 v0, v45, v47
	s_delay_alu instid0(VALU_DEP_2) | instskip(NEXT) | instid1(VALU_DEP_2)
	v_add_f32_e32 v34, v33, v1
	v_dual_mul_f32 v1, v44, v49 :: v_dual_fma_f32 v0, v44, v46, -v0
	s_delay_alu instid0(VALU_DEP_1) | instskip(NEXT) | instid1(VALU_DEP_2)
	v_fmac_f32_e32 v1, v45, v48
	v_dual_add_f32 v32, v32, v0 :: v_dual_mul_f32 v0, v45, v49
	s_delay_alu instid0(VALU_DEP_1) | instskip(NEXT) | instid1(VALU_DEP_1)
	v_dual_add_f32 v30, v30, v1 :: v_dual_fma_f32 v0, v44, v48, -v0
	v_add_f32_e32 v28, v28, v0
	s_cbranch_vccz .LBB222_18
.LBB222_9:                              ;   Parent Loop BB222_6 Depth=1
                                        ; =>  This Inner Loop Header: Depth=2
	s_mov_b32 s29, 0
	s_mov_b32 s35, s14
	s_and_saveexec_b32 s34, s0
; %bb.10:                               ;   in Loop: Header=BB222_9 Depth=2
	v_add_nc_u32_e32 v20, s12, v6
	s_and_not1_b32 s35, s14, exec_lo
	s_mov_b32 s29, exec_lo
	s_delay_alu instid0(VALU_DEP_1) | instskip(SKIP_2) | instid1(SALU_CYCLE_1)
	v_cmp_le_u64_e32 vcc_lo, s[8:9], v[20:21]
	v_mov_b64_e32 v[22:23], v[20:21]
	s_and_b32 s36, vcc_lo, exec_lo
	s_or_b32 s35, s35, s36
; %bb.11:                               ;   in Loop: Header=BB222_9 Depth=2
	s_or_b32 exec_lo, exec_lo, s34
	s_and_saveexec_b32 s34, s35
	s_delay_alu instid0(SALU_CYCLE_1)
	s_xor_b32 s34, exec_lo, s34
; %bb.12:                               ;   in Loop: Header=BB222_9 Depth=2
	s_and_not1_b32 s29, s29, exec_lo
	ds_store_b32 v7, v21
; %bb.13:                               ;   in Loop: Header=BB222_9 Depth=2
	s_or_b32 exec_lo, exec_lo, s34
	v_dual_mov_b32 v0, 0 :: v_dual_mov_b32 v2, 0
	s_and_saveexec_b32 s34, s29
	s_cbranch_execz .LBB222_15
; %bb.14:                               ;   in Loop: Header=BB222_9 Depth=2
	v_lshl_add_u64 v[2:3], v[22:23], 3, v[24:25]
	global_load_b64 v[44:45], v[2:3], off
	s_wait_loadcnt 0x0
	s_wait_xcnt 0x0
	v_xor_b32_e32 v2, 0x80000000, v45
	ds_store_b32 v7, v44
.LBB222_15:                             ;   in Loop: Header=BB222_9 Depth=2
	s_or_b32 exec_lo, exec_lo, s34
	v_dual_mov_b32 v1, 0 :: v_dual_add_nc_u32 v20, s12, v4
	ds_store_b32 v7, v2 offset:4
	v_cmp_gt_u64_e32 vcc_lo, s[8:9], v[20:21]
	s_and_b32 s34, vcc_lo, s1
	s_delay_alu instid0(SALU_CYCLE_1)
	s_and_saveexec_b32 s29, s34
	s_cbranch_execz .LBB222_8
; %bb.16:                               ;   in Loop: Header=BB222_9 Depth=2
	v_lshl_add_u64 v[0:1], v[20:21], 3, v[26:27]
	global_load_b64 v[0:1], v[0:1], off
	s_branch .LBB222_8
.LBB222_17:                             ;   in Loop: Header=BB222_6 Depth=1
	v_dual_mov_b32 v40, v21 :: v_dual_mov_b32 v42, v21
	v_dual_mov_b32 v36, v21 :: v_dual_mov_b32 v38, v21
	;; [unrolled: 1-line block ×4, first 2 shown]
.LBB222_18:                             ;   in Loop: Header=BB222_6 Depth=1
	s_mul_u64 s[12:13], s[30:31], s[10:11]
	s_delay_alu instid0(SALU_CYCLE_1) | instskip(NEXT) | instid1(SALU_CYCLE_1)
	s_lshl_b64 s[12:13], s[12:13], 3
	s_add_nc_u64 s[12:13], s[26:27], s[12:13]
	s_delay_alu instid0(SALU_CYCLE_1)
	v_lshl_add_u64 v[0:1], v[10:11], 3, s[12:13]
	s_and_saveexec_b32 s29, s18
	s_cbranch_execz .LBB222_23
; %bb.19:                               ;   in Loop: Header=BB222_6 Depth=1
	v_mov_b64_e32 v[2:3], s[4:5]
	v_mov_b64_e32 v[24:25], s[24:25]
	s_and_b32 vcc_lo, exec_lo, s15
	s_mov_b32 s34, -1
	s_delay_alu instid0(VALU_DEP_2) | instskip(NEXT) | instid1(VALU_DEP_1)
	v_pk_mul_f32 v[2:3], v[42:43], v[2:3] op_sel_hi:[0,1]
	v_pk_fma_f32 v[26:27], v[40:41], v[24:25], v[2:3] op_sel_hi:[0,1,1]
	v_pk_fma_f32 v[2:3], v[40:41], v[24:25], v[2:3] neg_lo:[0,0,1] neg_hi:[0,0,1]
	v_lshl_add_u64 v[24:25], v[8:9], 3, v[0:1]
	s_delay_alu instid0(VALU_DEP_3)
	v_mov_b32_e32 v3, v27
	s_cbranch_vccz .LBB222_21
; %bb.20:                               ;   in Loop: Header=BB222_6 Depth=1
	global_load_b64 v[26:27], v[24:25], off
	v_mov_b64_e32 v[40:41], s[6:7]
	v_mov_b64_e32 v[42:43], s[2:3]
	s_mov_b32 s34, 0
	s_wait_loadcnt 0x0
	s_delay_alu instid0(VALU_DEP_2) | instskip(NEXT) | instid1(VALU_DEP_1)
	v_pk_mul_f32 v[40:41], v[26:27], v[40:41]
	v_pk_fma_f32 v[44:45], v[26:27], v[42:43], v[40:41] op_sel:[0,0,1] op_sel_hi:[1,1,0]
	v_pk_fma_f32 v[26:27], v[26:27], v[42:43], v[40:41] op_sel:[0,0,1] op_sel_hi:[1,1,0] neg_lo:[0,0,1] neg_hi:[0,0,1]
	s_delay_alu instid0(VALU_DEP_2) | instskip(NEXT) | instid1(VALU_DEP_1)
	v_mov_b32_e32 v27, v45
	v_pk_add_f32 v[26:27], v[2:3], v[26:27]
	global_store_b64 v[24:25], v[26:27], off
.LBB222_21:                             ;   in Loop: Header=BB222_6 Depth=1
	s_and_not1_b32 vcc_lo, exec_lo, s34
	s_cbranch_vccnz .LBB222_23
; %bb.22:                               ;   in Loop: Header=BB222_6 Depth=1
	global_store_b64 v[24:25], v[2:3], off
.LBB222_23:                             ;   in Loop: Header=BB222_6 Depth=1
	s_wait_xcnt 0x0
	s_or_b32 exec_lo, exec_lo, s29
	s_and_saveexec_b32 s29, s19
	s_cbranch_execz .LBB222_28
; %bb.24:                               ;   in Loop: Header=BB222_6 Depth=1
	v_mov_b64_e32 v[2:3], s[4:5]
	v_mov_b64_e32 v[24:25], s[24:25]
	v_lshl_add_u64 v[0:1], v[18:19], 3, v[0:1]
	s_and_not1_b32 vcc_lo, exec_lo, s15
	s_mov_b32 s34, -1
	s_delay_alu instid0(VALU_DEP_3) | instskip(NEXT) | instid1(VALU_DEP_1)
	v_pk_mul_f32 v[2:3], v[38:39], v[2:3] op_sel_hi:[0,1]
	v_pk_fma_f32 v[26:27], v[36:37], v[24:25], v[2:3] op_sel_hi:[0,1,1]
	v_pk_fma_f32 v[2:3], v[36:37], v[24:25], v[2:3] neg_lo:[0,0,1] neg_hi:[0,0,1]
	s_delay_alu instid0(VALU_DEP_2)
	v_mov_b32_e32 v3, v27
	s_cbranch_vccnz .LBB222_26
; %bb.25:                               ;   in Loop: Header=BB222_6 Depth=1
	global_load_b64 v[24:25], v[0:1], off
	v_mov_b64_e32 v[26:27], s[6:7]
	v_mov_b64_e32 v[36:37], s[2:3]
	s_mov_b32 s34, 0
	s_wait_loadcnt 0x0
	s_delay_alu instid0(VALU_DEP_2) | instskip(NEXT) | instid1(VALU_DEP_1)
	v_pk_mul_f32 v[26:27], v[24:25], v[26:27]
	v_pk_fma_f32 v[38:39], v[24:25], v[36:37], v[26:27] op_sel:[0,0,1] op_sel_hi:[1,1,0]
	v_pk_fma_f32 v[24:25], v[24:25], v[36:37], v[26:27] op_sel:[0,0,1] op_sel_hi:[1,1,0] neg_lo:[0,0,1] neg_hi:[0,0,1]
	s_delay_alu instid0(VALU_DEP_2) | instskip(NEXT) | instid1(VALU_DEP_1)
	v_mov_b32_e32 v25, v39
	v_pk_add_f32 v[24:25], v[2:3], v[24:25]
	global_store_b64 v[0:1], v[24:25], off
.LBB222_26:                             ;   in Loop: Header=BB222_6 Depth=1
	s_and_not1_b32 vcc_lo, exec_lo, s34
	s_cbranch_vccnz .LBB222_28
; %bb.27:                               ;   in Loop: Header=BB222_6 Depth=1
	global_store_b64 v[0:1], v[2:3], off
.LBB222_28:                             ;   in Loop: Header=BB222_6 Depth=1
	s_wait_xcnt 0x0
	s_or_b32 exec_lo, exec_lo, s29
	v_lshl_add_u64 v[0:1], v[12:13], 3, s[12:13]
	s_and_saveexec_b32 s12, s20
	s_cbranch_execz .LBB222_33
; %bb.29:                               ;   in Loop: Header=BB222_6 Depth=1
	v_mov_b64_e32 v[2:3], s[4:5]
	v_mov_b64_e32 v[24:25], s[24:25]
	s_and_not1_b32 vcc_lo, exec_lo, s15
	s_mov_b32 s13, -1
	s_delay_alu instid0(VALU_DEP_2) | instskip(NEXT) | instid1(VALU_DEP_1)
	v_pk_mul_f32 v[2:3], v[34:35], v[2:3] op_sel_hi:[0,1]
	v_pk_fma_f32 v[26:27], v[32:33], v[24:25], v[2:3] op_sel_hi:[0,1,1]
	v_pk_fma_f32 v[2:3], v[32:33], v[24:25], v[2:3] neg_lo:[0,0,1] neg_hi:[0,0,1]
	v_lshl_add_u64 v[24:25], v[8:9], 3, v[0:1]
	s_delay_alu instid0(VALU_DEP_3)
	v_mov_b32_e32 v3, v27
	s_cbranch_vccnz .LBB222_31
; %bb.30:                               ;   in Loop: Header=BB222_6 Depth=1
	global_load_b64 v[26:27], v[24:25], off
	v_mov_b64_e32 v[32:33], s[6:7]
	v_mov_b64_e32 v[34:35], s[2:3]
	s_mov_b32 s13, 0
	s_wait_loadcnt 0x0
	s_delay_alu instid0(VALU_DEP_2) | instskip(NEXT) | instid1(VALU_DEP_1)
	v_pk_mul_f32 v[32:33], v[26:27], v[32:33]
	v_pk_fma_f32 v[36:37], v[26:27], v[34:35], v[32:33] op_sel:[0,0,1] op_sel_hi:[1,1,0]
	v_pk_fma_f32 v[26:27], v[26:27], v[34:35], v[32:33] op_sel:[0,0,1] op_sel_hi:[1,1,0] neg_lo:[0,0,1] neg_hi:[0,0,1]
	s_delay_alu instid0(VALU_DEP_2) | instskip(NEXT) | instid1(VALU_DEP_1)
	v_mov_b32_e32 v27, v37
	v_pk_add_f32 v[26:27], v[2:3], v[26:27]
	global_store_b64 v[24:25], v[26:27], off
.LBB222_31:                             ;   in Loop: Header=BB222_6 Depth=1
	s_and_not1_b32 vcc_lo, exec_lo, s13
	s_cbranch_vccnz .LBB222_33
; %bb.32:                               ;   in Loop: Header=BB222_6 Depth=1
	global_store_b64 v[24:25], v[2:3], off
.LBB222_33:                             ;   in Loop: Header=BB222_6 Depth=1
	s_wait_xcnt 0x0
	s_or_b32 exec_lo, exec_lo, s12
	s_and_saveexec_b32 s12, s21
	s_cbranch_execz .LBB222_5
; %bb.34:                               ;   in Loop: Header=BB222_6 Depth=1
	v_mov_b64_e32 v[2:3], s[4:5]
	v_mov_b64_e32 v[24:25], s[24:25]
	v_lshl_add_u64 v[0:1], v[18:19], 3, v[0:1]
	s_and_not1_b32 vcc_lo, exec_lo, s15
	s_mov_b32 s13, -1
	s_delay_alu instid0(VALU_DEP_3) | instskip(NEXT) | instid1(VALU_DEP_1)
	v_pk_mul_f32 v[2:3], v[30:31], v[2:3] op_sel_hi:[0,1]
	v_pk_fma_f32 v[26:27], v[28:29], v[24:25], v[2:3] op_sel_hi:[0,1,1]
	v_pk_fma_f32 v[2:3], v[28:29], v[24:25], v[2:3] neg_lo:[0,0,1] neg_hi:[0,0,1]
	s_delay_alu instid0(VALU_DEP_2)
	v_mov_b32_e32 v3, v27
	s_cbranch_vccnz .LBB222_36
; %bb.35:                               ;   in Loop: Header=BB222_6 Depth=1
	global_load_b64 v[24:25], v[0:1], off
	v_mov_b64_e32 v[26:27], s[6:7]
	v_mov_b64_e32 v[32:33], s[2:3]
	s_mov_b32 s13, 0
	s_wait_loadcnt 0x0
	s_delay_alu instid0(VALU_DEP_2) | instskip(NEXT) | instid1(VALU_DEP_1)
	v_pk_mul_f32 v[26:27], v[24:25], v[26:27]
	v_pk_fma_f32 v[34:35], v[24:25], v[32:33], v[26:27] op_sel:[0,0,1] op_sel_hi:[1,1,0]
	v_pk_fma_f32 v[24:25], v[24:25], v[32:33], v[26:27] op_sel:[0,0,1] op_sel_hi:[1,1,0] neg_lo:[0,0,1] neg_hi:[0,0,1]
	s_delay_alu instid0(VALU_DEP_2) | instskip(NEXT) | instid1(VALU_DEP_1)
	v_mov_b32_e32 v25, v35
	v_pk_add_f32 v[24:25], v[2:3], v[24:25]
	global_store_b64 v[0:1], v[24:25], off
.LBB222_36:                             ;   in Loop: Header=BB222_6 Depth=1
	s_and_not1_b32 vcc_lo, exec_lo, s13
	s_cbranch_vccnz .LBB222_5
; %bb.37:                               ;   in Loop: Header=BB222_6 Depth=1
	global_store_b64 v[0:1], v[2:3], off
	s_branch .LBB222_5
.LBB222_38:
	s_endpgm
	.section	.rodata,"a",@progbits
	.p2align	6, 0x0
	.amdhsa_kernel _ZL29rocblas_internal_gemmt_kernelIlLi16ELi32ELi8ELc67ELc78ELc85ELb1ELb0E19rocblas_complex_numIfEPKS1_S3_PS1_EviT_T9_T10_S5_lS7_S5_lS6_T11_S5_li
		.amdhsa_group_segment_fixed_size 4096
		.amdhsa_private_segment_fixed_size 0
		.amdhsa_kernarg_size 108
		.amdhsa_user_sgpr_count 2
		.amdhsa_user_sgpr_dispatch_ptr 0
		.amdhsa_user_sgpr_queue_ptr 0
		.amdhsa_user_sgpr_kernarg_segment_ptr 1
		.amdhsa_user_sgpr_dispatch_id 0
		.amdhsa_user_sgpr_kernarg_preload_length 0
		.amdhsa_user_sgpr_kernarg_preload_offset 0
		.amdhsa_user_sgpr_private_segment_size 0
		.amdhsa_wavefront_size32 1
		.amdhsa_uses_dynamic_stack 0
		.amdhsa_enable_private_segment 0
		.amdhsa_system_sgpr_workgroup_id_x 1
		.amdhsa_system_sgpr_workgroup_id_y 1
		.amdhsa_system_sgpr_workgroup_id_z 1
		.amdhsa_system_sgpr_workgroup_info 0
		.amdhsa_system_vgpr_workitem_id 1
		.amdhsa_next_free_vgpr 60
		.amdhsa_next_free_sgpr 37
		.amdhsa_named_barrier_count 0
		.amdhsa_reserve_vcc 1
		.amdhsa_float_round_mode_32 0
		.amdhsa_float_round_mode_16_64 0
		.amdhsa_float_denorm_mode_32 3
		.amdhsa_float_denorm_mode_16_64 3
		.amdhsa_fp16_overflow 0
		.amdhsa_memory_ordered 1
		.amdhsa_forward_progress 1
		.amdhsa_inst_pref_size 26
		.amdhsa_round_robin_scheduling 0
		.amdhsa_exception_fp_ieee_invalid_op 0
		.amdhsa_exception_fp_denorm_src 0
		.amdhsa_exception_fp_ieee_div_zero 0
		.amdhsa_exception_fp_ieee_overflow 0
		.amdhsa_exception_fp_ieee_underflow 0
		.amdhsa_exception_fp_ieee_inexact 0
		.amdhsa_exception_int_div_zero 0
	.end_amdhsa_kernel
	.section	.text._ZL29rocblas_internal_gemmt_kernelIlLi16ELi32ELi8ELc67ELc78ELc85ELb1ELb0E19rocblas_complex_numIfEPKS1_S3_PS1_EviT_T9_T10_S5_lS7_S5_lS6_T11_S5_li,"axG",@progbits,_ZL29rocblas_internal_gemmt_kernelIlLi16ELi32ELi8ELc67ELc78ELc85ELb1ELb0E19rocblas_complex_numIfEPKS1_S3_PS1_EviT_T9_T10_S5_lS7_S5_lS6_T11_S5_li,comdat
.Lfunc_end222:
	.size	_ZL29rocblas_internal_gemmt_kernelIlLi16ELi32ELi8ELc67ELc78ELc85ELb1ELb0E19rocblas_complex_numIfEPKS1_S3_PS1_EviT_T9_T10_S5_lS7_S5_lS6_T11_S5_li, .Lfunc_end222-_ZL29rocblas_internal_gemmt_kernelIlLi16ELi32ELi8ELc67ELc78ELc85ELb1ELb0E19rocblas_complex_numIfEPKS1_S3_PS1_EviT_T9_T10_S5_lS7_S5_lS6_T11_S5_li
                                        ; -- End function
	.set _ZL29rocblas_internal_gemmt_kernelIlLi16ELi32ELi8ELc67ELc78ELc85ELb1ELb0E19rocblas_complex_numIfEPKS1_S3_PS1_EviT_T9_T10_S5_lS7_S5_lS6_T11_S5_li.num_vgpr, 60
	.set _ZL29rocblas_internal_gemmt_kernelIlLi16ELi32ELi8ELc67ELc78ELc85ELb1ELb0E19rocblas_complex_numIfEPKS1_S3_PS1_EviT_T9_T10_S5_lS7_S5_lS6_T11_S5_li.num_agpr, 0
	.set _ZL29rocblas_internal_gemmt_kernelIlLi16ELi32ELi8ELc67ELc78ELc85ELb1ELb0E19rocblas_complex_numIfEPKS1_S3_PS1_EviT_T9_T10_S5_lS7_S5_lS6_T11_S5_li.numbered_sgpr, 37
	.set _ZL29rocblas_internal_gemmt_kernelIlLi16ELi32ELi8ELc67ELc78ELc85ELb1ELb0E19rocblas_complex_numIfEPKS1_S3_PS1_EviT_T9_T10_S5_lS7_S5_lS6_T11_S5_li.num_named_barrier, 0
	.set _ZL29rocblas_internal_gemmt_kernelIlLi16ELi32ELi8ELc67ELc78ELc85ELb1ELb0E19rocblas_complex_numIfEPKS1_S3_PS1_EviT_T9_T10_S5_lS7_S5_lS6_T11_S5_li.private_seg_size, 0
	.set _ZL29rocblas_internal_gemmt_kernelIlLi16ELi32ELi8ELc67ELc78ELc85ELb1ELb0E19rocblas_complex_numIfEPKS1_S3_PS1_EviT_T9_T10_S5_lS7_S5_lS6_T11_S5_li.uses_vcc, 1
	.set _ZL29rocblas_internal_gemmt_kernelIlLi16ELi32ELi8ELc67ELc78ELc85ELb1ELb0E19rocblas_complex_numIfEPKS1_S3_PS1_EviT_T9_T10_S5_lS7_S5_lS6_T11_S5_li.uses_flat_scratch, 0
	.set _ZL29rocblas_internal_gemmt_kernelIlLi16ELi32ELi8ELc67ELc78ELc85ELb1ELb0E19rocblas_complex_numIfEPKS1_S3_PS1_EviT_T9_T10_S5_lS7_S5_lS6_T11_S5_li.has_dyn_sized_stack, 0
	.set _ZL29rocblas_internal_gemmt_kernelIlLi16ELi32ELi8ELc67ELc78ELc85ELb1ELb0E19rocblas_complex_numIfEPKS1_S3_PS1_EviT_T9_T10_S5_lS7_S5_lS6_T11_S5_li.has_recursion, 0
	.set _ZL29rocblas_internal_gemmt_kernelIlLi16ELi32ELi8ELc67ELc78ELc85ELb1ELb0E19rocblas_complex_numIfEPKS1_S3_PS1_EviT_T9_T10_S5_lS7_S5_lS6_T11_S5_li.has_indirect_call, 0
	.section	.AMDGPU.csdata,"",@progbits
; Kernel info:
; codeLenInByte = 3228
; TotalNumSgprs: 39
; NumVgprs: 60
; ScratchSize: 0
; MemoryBound: 0
; FloatMode: 240
; IeeeMode: 1
; LDSByteSize: 4096 bytes/workgroup (compile time only)
; SGPRBlocks: 0
; VGPRBlocks: 3
; NumSGPRsForWavesPerEU: 39
; NumVGPRsForWavesPerEU: 60
; NamedBarCnt: 0
; Occupancy: 16
; WaveLimiterHint : 0
; COMPUTE_PGM_RSRC2:SCRATCH_EN: 0
; COMPUTE_PGM_RSRC2:USER_SGPR: 2
; COMPUTE_PGM_RSRC2:TRAP_HANDLER: 0
; COMPUTE_PGM_RSRC2:TGID_X_EN: 1
; COMPUTE_PGM_RSRC2:TGID_Y_EN: 1
; COMPUTE_PGM_RSRC2:TGID_Z_EN: 1
; COMPUTE_PGM_RSRC2:TIDIG_COMP_CNT: 1
	.section	.text._ZL29rocblas_internal_gemmt_kernelIlLi16ELi32ELi8ELc67ELc84ELc85ELb1ELb0E19rocblas_complex_numIfEPKS1_S3_PS1_EviT_T9_T10_S5_lS7_S5_lS6_T11_S5_li,"axG",@progbits,_ZL29rocblas_internal_gemmt_kernelIlLi16ELi32ELi8ELc67ELc84ELc85ELb1ELb0E19rocblas_complex_numIfEPKS1_S3_PS1_EviT_T9_T10_S5_lS7_S5_lS6_T11_S5_li,comdat
	.globl	_ZL29rocblas_internal_gemmt_kernelIlLi16ELi32ELi8ELc67ELc84ELc85ELb1ELb0E19rocblas_complex_numIfEPKS1_S3_PS1_EviT_T9_T10_S5_lS7_S5_lS6_T11_S5_li ; -- Begin function _ZL29rocblas_internal_gemmt_kernelIlLi16ELi32ELi8ELc67ELc84ELc85ELb1ELb0E19rocblas_complex_numIfEPKS1_S3_PS1_EviT_T9_T10_S5_lS7_S5_lS6_T11_S5_li
	.p2align	8
	.type	_ZL29rocblas_internal_gemmt_kernelIlLi16ELi32ELi8ELc67ELc84ELc85ELb1ELb0E19rocblas_complex_numIfEPKS1_S3_PS1_EviT_T9_T10_S5_lS7_S5_lS6_T11_S5_li,@function
_ZL29rocblas_internal_gemmt_kernelIlLi16ELi32ELi8ELc67ELc84ELc85ELb1ELb0E19rocblas_complex_numIfEPKS1_S3_PS1_EviT_T9_T10_S5_lS7_S5_lS6_T11_S5_li: ; @_ZL29rocblas_internal_gemmt_kernelIlLi16ELi32ELi8ELc67ELc84ELc85ELb1ELb0E19rocblas_complex_numIfEPKS1_S3_PS1_EviT_T9_T10_S5_lS7_S5_lS6_T11_S5_li
; %bb.0:
	s_load_b256 s[24:31], s[0:1], 0x48
	s_wait_kmcnt 0x0
	s_load_b64 s[6:7], s[24:25], 0x0
	s_load_b512 s[8:23], s[0:1], 0x8
	s_wait_kmcnt 0x0
	s_cmp_neq_f32 s6, 1.0
	s_load_b64 s[24:25], s[10:11], 0x0
	s_cselect_b32 s2, -1, 0
	s_and_b32 s4, s7, 0x7fffffff
	s_delay_alu instid0(SALU_CYCLE_1) | instskip(SKIP_3) | instid1(SALU_CYCLE_1)
	s_cmp_eq_u32 s4, 0
	s_cselect_b32 s3, -1, 0
	s_cmp_lg_u32 s4, 0
	s_cselect_b32 s4, -1, 0
	s_or_b32 s2, s2, s4
	s_delay_alu instid0(SALU_CYCLE_1)
	s_and_b32 vcc_lo, exec_lo, s2
	s_cbranch_vccnz .LBB223_2
; %bb.1:
	s_cmp_lg_u64 s[8:9], 0
	s_cselect_b32 s2, -1, 0
	s_wait_kmcnt 0x0
	s_cmp_neq_f32 s24, 0
	s_cselect_b32 s4, -1, 0
	s_cmp_neq_f32 s25, 0
	s_cselect_b32 s5, -1, 0
	s_delay_alu instid0(SALU_CYCLE_1) | instskip(NEXT) | instid1(SALU_CYCLE_1)
	s_or_b32 s4, s4, s5
	s_and_b32 s2, s2, s4
.LBB223_2:
	s_delay_alu instid0(SALU_CYCLE_1)
	s_and_not1_b32 vcc_lo, exec_lo, s2
	s_cbranch_vccnz .LBB223_38
; %bb.3:
	s_load_b32 s33, s[0:1], 0x68
	s_bfe_u32 s2, ttmp6, 0x40014
	s_lshr_b32 s4, ttmp7, 16
	s_add_co_i32 s2, s2, 1
	s_wait_xcnt 0x0
	s_bfe_u32 s10, ttmp6, 0x40008
	s_mul_i32 s5, s4, s2
	s_getreg_b32 s2, hwreg(HW_REG_IB_STS2, 6, 4)
	s_add_co_i32 s10, s10, s5
	s_cmp_eq_u32 s2, 0
	s_mov_b32 s11, 0
	s_cselect_b32 s10, s4, s10
	s_wait_kmcnt 0x0
	s_cmp_ge_u32 s10, s33
	s_cbranch_scc1 .LBB223_38
; %bb.4:
	v_and_b32_e32 v7, 0x3ff, v0
	v_bfe_u32 v9, v0, 10, 10
	s_bfe_u32 s4, ttmp6, 0x4000c
	s_bfe_u32 s34, ttmp6, 0x40010
	s_add_co_i32 s4, s4, 1
	s_and_b32 s35, ttmp7, 0xffff
	s_add_co_i32 s34, s34, 1
	v_lshl_add_u32 v8, v9, 4, v7
	s_and_b32 s5, ttmp6, 15
	s_mul_i32 s4, ttmp9, s4
	s_mul_i32 s34, s35, s34
	s_bfe_u32 s36, ttmp6, 0x40004
	s_add_co_i32 s5, s5, s4
	s_add_co_i32 s36, s36, s34
	s_cmp_eq_u32 s2, 0
	v_and_b32_e32 v10, 31, v8
	s_cselect_b32 s2, ttmp9, s5
	s_cselect_b32 s4, s35, s36
	s_lshl_b32 s2, s2, 5
	v_dual_lshlrev_b32 v5, 3, v7 :: v_dual_bitop2_b32 v4, 7, v0 bitop3:0x40
	v_or_b32_e32 v2, s2, v10
	s_load_b32 s5, s[0:1], 0x0
	s_wait_xcnt 0x0
	s_lshl_b32 s0, s4, 5
	v_lshlrev_b32_e32 v11, 3, v4
	v_dual_lshrrev_b32 v6, 5, v8 :: v_dual_ashrrev_i32 v3, 31, v2
	v_add_nc_u32_e32 v20, s0, v9
	s_cmp_neq_f32 s24, 0
	v_cmp_gt_i64_e64 s34, s[8:9], 0
	v_lshl_add_u32 v31, v9, 6, 0x800
	v_mul_u64_e32 v[0:1], s[14:15], v[2:3]
	v_dual_lshrrev_b32 v3, 3, v8 :: v_dual_add_nc_u32 v8, s2, v7
	v_dual_add_nc_u32 v22, 16, v20 :: v_dual_ashrrev_i32 v21, 31, v20
	s_delay_alu instid0(VALU_DEP_2) | instskip(NEXT) | instid1(VALU_DEP_2)
	v_dual_lshlrev_b32 v7, 3, v10 :: v_dual_add_nc_u32 v16, s0, v3
	v_dual_add_nc_u32 v10, 16, v8 :: v_dual_ashrrev_i32 v23, 31, v22
	s_delay_alu instid0(VALU_DEP_3)
	v_mul_u64_e32 v[12:13], s[28:29], v[20:21]
	s_cselect_b32 s2, -1, 0
	s_cmp_neq_f32 s25, 0
	v_cmp_le_i32_e32 vcc_lo, v8, v20
	v_mul_u64_e32 v[14:15], s[28:29], v[22:23]
	v_ashrrev_i32_e32 v17, 31, v16
	s_cselect_b32 s4, -1, 0
	v_lshl_or_b32 v3, v3, 6, v11
	s_or_b32 s35, s2, s4
	s_cmp_neq_f32 s6, 0
	s_wait_kmcnt 0x0
	v_cmp_gt_i32_e64 s2, s5, v20
	v_cmp_gt_i32_e64 s0, s5, v2
	v_cmp_le_i32_e64 s14, s5, v2
	s_cselect_b32 s4, -1, 0
	s_xor_b32 s3, s3, -1
	v_cmp_gt_i32_e64 s1, s5, v16
	s_or_b32 s15, s4, s3
	v_cmp_gt_i32_e64 s3, s5, v22
	v_cmp_le_i32_e64 s4, v8, v22
	v_cmp_le_i32_e64 s5, v10, v22
	v_ashrrev_i32_e32 v11, 31, v10
	v_lshl_add_u64 v[16:17], v[16:17], 3, s[18:19]
	s_and_b32 s18, s2, vcc_lo
	v_cmp_le_i32_e32 vcc_lo, v10, v20
	v_lshl_or_b32 v7, v6, 8, v7
	v_add_nc_u32_e32 v29, 0x800, v3
	v_lshl_add_u64 v[18:19], v[0:1], 3, s[12:13]
	v_dual_ashrrev_i32 v9, 31, v8 :: v_dual_mov_b32 v21, 0
	s_and_b32 s19, s2, vcc_lo
	s_and_b32 s28, s3, s4
	s_and_b32 s29, s3, s5
	s_mov_b32 s2, s6
	s_mov_b32 s3, s6
	s_and_b32 s34, s35, s34
	s_mov_b32 s6, s7
	s_mov_b32 s4, s25
	;; [unrolled: 1-line block ×3, first 2 shown]
                                        ; implicit-def: $vgpr22_vgpr23
	s_branch .LBB223_6
.LBB223_5:                              ;   in Loop: Header=BB223_6 Depth=1
	s_wait_xcnt 0x0
	s_or_b32 exec_lo, exec_lo, s12
	s_add_co_i32 s10, s10, 0x10000
	s_delay_alu instid0(SALU_CYCLE_1)
	s_cmp_lt_u32 s10, s33
	s_cbranch_scc0 .LBB223_38
.LBB223_6:                              ; =>This Loop Header: Depth=1
                                        ;     Child Loop BB223_9 Depth 2
	s_and_not1_b32 vcc_lo, exec_lo, s34
	s_cbranch_vccnz .LBB223_17
; %bb.7:                                ;   in Loop: Header=BB223_6 Depth=1
	s_mul_u64 s[12:13], s[16:17], s[10:11]
	s_mul_u64 s[36:37], s[22:23], s[10:11]
	v_lshl_add_u64 v[24:25], s[12:13], 3, v[18:19]
	v_lshl_add_u64 v[26:27], s[36:37], 3, v[16:17]
	v_dual_mov_b32 v30, 0 :: v_dual_mov_b32 v28, 0
	v_dual_mov_b32 v34, 0 :: v_dual_mov_b32 v32, 0
	;; [unrolled: 1-line block ×4, first 2 shown]
	s_mov_b64 s[12:13], 0
	s_branch .LBB223_9
.LBB223_8:                              ;   in Loop: Header=BB223_9 Depth=2
	s_wait_xcnt 0x0
	s_or_b32 exec_lo, exec_lo, s35
	s_wait_loadcnt 0x0
	ds_store_b64 v29, v[0:1]
	s_wait_dscnt 0x0
	s_barrier_signal -1
	s_barrier_wait -1
	ds_load_b128 v[44:47], v31
	ds_load_b128 v[48:51], v31 offset:16
	ds_load_b128 v[52:55], v31 offset:32
	ds_load_b128 v[0:3], v31 offset:48
	ds_load_2addr_b64 v[56:59], v5 offset1:16
	s_add_nc_u64 s[12:13], s[12:13], 8
	s_delay_alu instid0(SALU_CYCLE_1) | instskip(SKIP_3) | instid1(VALU_DEP_1)
	v_cmp_gt_i64_e64 s35, s[8:9], s[12:13]
	s_and_b32 vcc_lo, exec_lo, s35
	s_wait_dscnt 0x0
	v_dual_mul_f32 v20, v45, v57 :: v_dual_mul_f32 v33, v44, v57
	v_dual_mul_f32 v35, v44, v59 :: v_dual_fma_f32 v20, v44, v56, -v20
	s_delay_alu instid0(VALU_DEP_1) | instskip(NEXT) | instid1(VALU_DEP_1)
	v_dual_fmac_f32 v33, v45, v56 :: v_dual_fmac_f32 v35, v45, v58
	v_dual_add_f32 v20, v40, v20 :: v_dual_add_f32 v40, v42, v33
	v_mul_f32_e32 v33, v45, v59
	s_delay_alu instid0(VALU_DEP_1) | instskip(NEXT) | instid1(VALU_DEP_1)
	v_dual_add_f32 v42, v38, v35 :: v_dual_fma_f32 v33, v44, v58, -v33
	v_add_f32_e32 v41, v36, v33
	ds_load_b128 v[36:39], v31 offset:1024
	s_wait_dscnt 0x0
	v_dual_mul_f32 v33, v37, v57 :: v_dual_mul_f32 v35, v36, v57
	s_delay_alu instid0(VALU_DEP_1) | instskip(NEXT) | instid1(VALU_DEP_1)
	v_dual_fma_f32 v33, v36, v56, -v33 :: v_dual_fmac_f32 v35, v37, v56
	v_dual_add_f32 v43, v32, v33 :: v_dual_add_f32 v44, v34, v35
	v_dual_mul_f32 v32, v37, v59 :: v_dual_mul_f32 v33, v36, v59
	s_delay_alu instid0(VALU_DEP_1) | instskip(NEXT) | instid1(VALU_DEP_1)
	v_dual_fma_f32 v32, v36, v58, -v32 :: v_dual_fmac_f32 v33, v37, v58
	v_dual_add_f32 v28, v28, v32 :: v_dual_add_f32 v30, v30, v33
	ds_load_2addr_b64 v[32:35], v5 offset0:32 offset1:48
	s_wait_dscnt 0x0
	v_dual_mul_f32 v36, v47, v33 :: v_dual_mul_f32 v37, v46, v33
	s_delay_alu instid0(VALU_DEP_1) | instskip(NEXT) | instid1(VALU_DEP_1)
	v_dual_fma_f32 v36, v46, v32, -v36 :: v_dual_fmac_f32 v37, v47, v32
	v_add_f32_e32 v20, v20, v36
	s_delay_alu instid0(VALU_DEP_2) | instskip(NEXT) | instid1(VALU_DEP_1)
	v_dual_add_f32 v36, v40, v37 :: v_dual_mul_f32 v37, v47, v35
	v_dual_fma_f32 v37, v46, v34, -v37 :: v_dual_mul_f32 v40, v46, v35
	s_delay_alu instid0(VALU_DEP_1) | instskip(SKIP_1) | instid1(VALU_DEP_1)
	v_add_f32_e32 v37, v41, v37
	v_dual_mul_f32 v41, v39, v33 :: v_dual_mul_f32 v33, v38, v33
	v_dual_fmac_f32 v40, v47, v34 :: v_dual_fma_f32 v41, v38, v32, -v41
	s_delay_alu instid0(VALU_DEP_2) | instskip(NEXT) | instid1(VALU_DEP_2)
	v_dual_fmac_f32 v33, v39, v32 :: v_dual_mul_f32 v32, v39, v35
	v_dual_add_f32 v40, v42, v40 :: v_dual_add_f32 v41, v43, v41
	s_delay_alu instid0(VALU_DEP_2) | instskip(NEXT) | instid1(VALU_DEP_1)
	v_dual_add_f32 v42, v44, v33 :: v_dual_fma_f32 v32, v38, v34, -v32
	v_dual_mul_f32 v33, v38, v35 :: v_dual_add_f32 v28, v28, v32
	s_delay_alu instid0(VALU_DEP_1) | instskip(NEXT) | instid1(VALU_DEP_1)
	v_fmac_f32_e32 v33, v39, v34
	v_add_f32_e32 v30, v30, v33
	ds_load_2addr_b64 v[32:35], v5 offset0:64 offset1:80
	s_wait_dscnt 0x0
	v_dual_mul_f32 v38, v49, v33 :: v_dual_mul_f32 v39, v48, v33
	s_delay_alu instid0(VALU_DEP_1) | instskip(NEXT) | instid1(VALU_DEP_1)
	v_dual_fma_f32 v38, v48, v32, -v38 :: v_dual_fmac_f32 v39, v49, v32
	v_add_f32_e32 v20, v20, v38
	v_mul_f32_e32 v38, v48, v35
	s_delay_alu instid0(VALU_DEP_3) | instskip(SKIP_1) | instid1(VALU_DEP_1)
	v_add_f32_e32 v43, v36, v39
	v_mul_f32_e32 v36, v49, v35
	v_fma_f32 v36, v48, v34, -v36
	s_delay_alu instid0(VALU_DEP_1) | instskip(SKIP_1) | instid1(VALU_DEP_1)
	v_add_f32_e32 v44, v37, v36
	v_fmac_f32_e32 v38, v49, v34
	v_add_f32_e32 v40, v40, v38
	ds_load_b128 v[36:39], v31 offset:1040
	s_wait_dscnt 0x0
	v_dual_mul_f32 v45, v37, v33 :: v_dual_mul_f32 v33, v36, v33
	s_delay_alu instid0(VALU_DEP_1) | instskip(NEXT) | instid1(VALU_DEP_2)
	v_fma_f32 v45, v36, v32, -v45
	v_dual_fmac_f32 v33, v37, v32 :: v_dual_mul_f32 v32, v37, v35
	s_delay_alu instid0(VALU_DEP_2) | instskip(NEXT) | instid1(VALU_DEP_2)
	v_add_f32_e32 v41, v41, v45
	v_dual_add_f32 v42, v42, v33 :: v_dual_mul_f32 v33, v36, v35
	s_delay_alu instid0(VALU_DEP_1) | instskip(NEXT) | instid1(VALU_DEP_1)
	v_dual_fma_f32 v32, v36, v34, -v32 :: v_dual_fmac_f32 v33, v37, v34
	v_dual_add_f32 v28, v28, v32 :: v_dual_add_f32 v30, v30, v33
	ds_load_2addr_b64 v[32:35], v5 offset0:96 offset1:112
	s_wait_dscnt 0x0
	v_mul_f32_e32 v36, v51, v33
	s_delay_alu instid0(VALU_DEP_1) | instskip(NEXT) | instid1(VALU_DEP_1)
	v_dual_fma_f32 v36, v50, v32, -v36 :: v_dual_mul_f32 v37, v50, v33
	v_add_f32_e32 v20, v20, v36
	s_delay_alu instid0(VALU_DEP_2) | instskip(NEXT) | instid1(VALU_DEP_1)
	v_fmac_f32_e32 v37, v51, v32
	v_dual_add_f32 v36, v43, v37 :: v_dual_mul_f32 v43, v50, v35
	s_delay_alu instid0(VALU_DEP_1) | instskip(NEXT) | instid1(VALU_DEP_1)
	v_dual_mul_f32 v37, v51, v35 :: v_dual_fmac_f32 v43, v51, v34
	v_dual_fma_f32 v37, v50, v34, -v37 :: v_dual_add_f32 v40, v40, v43
	v_mul_f32_e32 v43, v39, v33
	s_delay_alu instid0(VALU_DEP_1) | instskip(NEXT) | instid1(VALU_DEP_1)
	v_dual_add_f32 v37, v44, v37 :: v_dual_fma_f32 v43, v38, v32, -v43
	v_dual_mul_f32 v33, v38, v33 :: v_dual_add_f32 v41, v41, v43
	s_delay_alu instid0(VALU_DEP_1) | instskip(NEXT) | instid1(VALU_DEP_1)
	v_dual_fmac_f32 v33, v39, v32 :: v_dual_mul_f32 v32, v39, v35
	v_add_f32_e32 v42, v42, v33
	s_delay_alu instid0(VALU_DEP_2) | instskip(NEXT) | instid1(VALU_DEP_1)
	v_dual_fma_f32 v32, v38, v34, -v32 :: v_dual_mul_f32 v33, v38, v35
	v_dual_fmac_f32 v33, v39, v34 :: v_dual_add_f32 v28, v28, v32
	s_delay_alu instid0(VALU_DEP_1) | instskip(SKIP_3) | instid1(VALU_DEP_1)
	v_add_f32_e32 v30, v30, v33
	ds_load_2addr_b64 v[32:35], v5 offset0:128 offset1:144
	s_wait_dscnt 0x0
	v_dual_mul_f32 v38, v53, v33 :: v_dual_mul_f32 v39, v52, v33
	v_dual_fma_f32 v38, v52, v32, -v38 :: v_dual_fmac_f32 v39, v53, v32
	s_delay_alu instid0(VALU_DEP_1) | instskip(SKIP_1) | instid1(VALU_DEP_3)
	v_add_f32_e32 v20, v20, v38
	v_mul_f32_e32 v38, v52, v35
	v_add_f32_e32 v43, v36, v39
	v_mul_f32_e32 v36, v53, v35
	s_delay_alu instid0(VALU_DEP_1) | instskip(NEXT) | instid1(VALU_DEP_1)
	v_fma_f32 v36, v52, v34, -v36
	v_add_f32_e32 v44, v37, v36
	v_fmac_f32_e32 v38, v53, v34
	s_delay_alu instid0(VALU_DEP_1) | instskip(SKIP_3) | instid1(VALU_DEP_1)
	v_add_f32_e32 v40, v40, v38
	ds_load_b128 v[36:39], v31 offset:1056
	s_wait_dscnt 0x0
	v_dual_mul_f32 v45, v37, v33 :: v_dual_mul_f32 v33, v36, v33
	v_fma_f32 v45, v36, v32, -v45
	s_delay_alu instid0(VALU_DEP_2) | instskip(NEXT) | instid1(VALU_DEP_2)
	v_dual_fmac_f32 v33, v37, v32 :: v_dual_mul_f32 v32, v37, v35
	v_add_f32_e32 v41, v41, v45
	s_delay_alu instid0(VALU_DEP_2) | instskip(NEXT) | instid1(VALU_DEP_1)
	v_dual_add_f32 v42, v42, v33 :: v_dual_mul_f32 v33, v36, v35
	v_dual_fma_f32 v32, v36, v34, -v32 :: v_dual_fmac_f32 v33, v37, v34
	s_delay_alu instid0(VALU_DEP_1) | instskip(SKIP_3) | instid1(VALU_DEP_1)
	v_dual_add_f32 v28, v28, v32 :: v_dual_add_f32 v30, v30, v33
	ds_load_2addr_b64 v[32:35], v5 offset0:160 offset1:176
	s_wait_dscnt 0x0
	v_mul_f32_e32 v36, v55, v33
	v_dual_fma_f32 v36, v54, v32, -v36 :: v_dual_mul_f32 v37, v54, v33
	s_delay_alu instid0(VALU_DEP_1) | instskip(NEXT) | instid1(VALU_DEP_2)
	v_add_f32_e32 v20, v20, v36
	v_fmac_f32_e32 v37, v55, v32
	s_delay_alu instid0(VALU_DEP_1) | instskip(NEXT) | instid1(VALU_DEP_1)
	v_dual_add_f32 v36, v43, v37 :: v_dual_mul_f32 v43, v54, v35
	v_dual_mul_f32 v37, v55, v35 :: v_dual_fmac_f32 v43, v55, v34
	s_delay_alu instid0(VALU_DEP_1) | instskip(SKIP_1) | instid1(VALU_DEP_1)
	v_dual_fma_f32 v37, v54, v34, -v37 :: v_dual_add_f32 v40, v40, v43
	v_mul_f32_e32 v43, v39, v33
	v_dual_add_f32 v37, v44, v37 :: v_dual_fma_f32 v43, v38, v32, -v43
	s_delay_alu instid0(VALU_DEP_1) | instskip(NEXT) | instid1(VALU_DEP_1)
	v_dual_mul_f32 v33, v38, v33 :: v_dual_add_f32 v41, v41, v43
	v_dual_fmac_f32 v33, v39, v32 :: v_dual_mul_f32 v32, v39, v35
	s_delay_alu instid0(VALU_DEP_1) | instskip(NEXT) | instid1(VALU_DEP_2)
	v_add_f32_e32 v46, v42, v33
	v_dual_fma_f32 v32, v38, v34, -v32 :: v_dual_mul_f32 v33, v38, v35
	ds_load_b128 v[42:45], v31 offset:1072
	v_dual_fmac_f32 v33, v39, v34 :: v_dual_add_f32 v28, v28, v32
	s_delay_alu instid0(VALU_DEP_1) | instskip(SKIP_3) | instid1(VALU_DEP_1)
	v_add_f32_e32 v30, v30, v33
	ds_load_2addr_b64 v[32:35], v5 offset0:192 offset1:208
	s_wait_dscnt 0x0
	v_dual_mul_f32 v38, v1, v33 :: v_dual_mul_f32 v39, v0, v33
	v_dual_fma_f32 v38, v0, v32, -v38 :: v_dual_fmac_f32 v39, v1, v32
	s_delay_alu instid0(VALU_DEP_1) | instskip(NEXT) | instid1(VALU_DEP_1)
	v_dual_add_f32 v20, v20, v38 :: v_dual_mul_f32 v38, v1, v35
	v_dual_fma_f32 v38, v0, v34, -v38 :: v_dual_mul_f32 v0, v0, v35
	s_delay_alu instid0(VALU_DEP_1) | instskip(NEXT) | instid1(VALU_DEP_2)
	v_dual_add_f32 v36, v36, v39 :: v_dual_fmac_f32 v0, v1, v34
	v_dual_add_f32 v1, v37, v38 :: v_dual_mul_f32 v37, v43, v33
	s_delay_alu instid0(VALU_DEP_2) | instskip(NEXT) | instid1(VALU_DEP_2)
	v_dual_mul_f32 v33, v42, v33 :: v_dual_add_f32 v0, v40, v0
	v_fma_f32 v37, v42, v32, -v37
	s_delay_alu instid0(VALU_DEP_1) | instskip(NEXT) | instid1(VALU_DEP_1)
	v_dual_fmac_f32 v33, v43, v32 :: v_dual_add_f32 v32, v41, v37
	v_dual_add_f32 v33, v46, v33 :: v_dual_mul_f32 v37, v43, v35
	ds_load_2addr_b64 v[46:49], v5 offset0:224 offset1:240
	v_mul_f32_e32 v35, v42, v35
	s_wait_dscnt 0x0
	s_barrier_signal -1
	v_fma_f32 v37, v42, v34, -v37
	s_barrier_wait -1
	v_fmac_f32_e32 v35, v43, v34
	s_delay_alu instid0(VALU_DEP_1) | instskip(SKIP_1) | instid1(VALU_DEP_1)
	v_dual_add_f32 v28, v28, v37 :: v_dual_add_f32 v30, v30, v35
	v_dual_mul_f32 v34, v3, v47 :: v_dual_mul_f32 v35, v2, v47
	v_dual_fma_f32 v34, v2, v46, -v34 :: v_dual_fmac_f32 v35, v3, v46
	s_delay_alu instid0(VALU_DEP_1) | instskip(NEXT) | instid1(VALU_DEP_1)
	v_dual_add_f32 v40, v20, v34 :: v_dual_mul_f32 v20, v3, v49
	v_dual_add_f32 v42, v36, v35 :: v_dual_fma_f32 v20, v2, v48, -v20
	s_delay_alu instid0(VALU_DEP_1) | instskip(NEXT) | instid1(VALU_DEP_1)
	v_dual_mul_f32 v2, v2, v49 :: v_dual_add_f32 v36, v1, v20
	v_dual_fmac_f32 v2, v3, v48 :: v_dual_mul_f32 v1, v44, v47
	s_delay_alu instid0(VALU_DEP_1) | instskip(NEXT) | instid1(VALU_DEP_2)
	v_fmac_f32_e32 v1, v45, v46
	v_dual_add_f32 v38, v0, v2 :: v_dual_mul_f32 v0, v45, v47
	s_delay_alu instid0(VALU_DEP_2) | instskip(NEXT) | instid1(VALU_DEP_2)
	v_add_f32_e32 v34, v33, v1
	v_dual_mul_f32 v1, v44, v49 :: v_dual_fma_f32 v0, v44, v46, -v0
	s_delay_alu instid0(VALU_DEP_1) | instskip(NEXT) | instid1(VALU_DEP_2)
	v_fmac_f32_e32 v1, v45, v48
	v_dual_add_f32 v32, v32, v0 :: v_dual_mul_f32 v0, v45, v49
	s_delay_alu instid0(VALU_DEP_1) | instskip(NEXT) | instid1(VALU_DEP_1)
	v_dual_add_f32 v30, v30, v1 :: v_dual_fma_f32 v0, v44, v48, -v0
	v_add_f32_e32 v28, v28, v0
	s_cbranch_vccz .LBB223_18
.LBB223_9:                              ;   Parent Loop BB223_6 Depth=1
                                        ; =>  This Inner Loop Header: Depth=2
	s_mov_b32 s35, 0
	s_mov_b32 s37, s14
	s_and_saveexec_b32 s36, s0
; %bb.10:                               ;   in Loop: Header=BB223_9 Depth=2
	v_add_nc_u32_e32 v20, s12, v6
	s_and_not1_b32 s37, s14, exec_lo
	s_mov_b32 s35, exec_lo
	s_delay_alu instid0(VALU_DEP_1) | instskip(SKIP_2) | instid1(SALU_CYCLE_1)
	v_cmp_le_u64_e32 vcc_lo, s[8:9], v[20:21]
	v_mov_b64_e32 v[22:23], v[20:21]
	s_and_b32 s38, vcc_lo, exec_lo
	s_or_b32 s37, s37, s38
; %bb.11:                               ;   in Loop: Header=BB223_9 Depth=2
	s_or_b32 exec_lo, exec_lo, s36
	s_and_saveexec_b32 s36, s37
	s_delay_alu instid0(SALU_CYCLE_1)
	s_xor_b32 s36, exec_lo, s36
; %bb.12:                               ;   in Loop: Header=BB223_9 Depth=2
	s_and_not1_b32 s35, s35, exec_lo
	ds_store_b32 v7, v21
; %bb.13:                               ;   in Loop: Header=BB223_9 Depth=2
	s_or_b32 exec_lo, exec_lo, s36
	v_dual_mov_b32 v0, 0 :: v_dual_mov_b32 v2, 0
	s_and_saveexec_b32 s36, s35
	s_cbranch_execz .LBB223_15
; %bb.14:                               ;   in Loop: Header=BB223_9 Depth=2
	v_lshl_add_u64 v[2:3], v[22:23], 3, v[24:25]
	global_load_b64 v[44:45], v[2:3], off
	s_wait_loadcnt 0x0
	s_wait_xcnt 0x0
	v_xor_b32_e32 v2, 0x80000000, v45
	ds_store_b32 v7, v44
.LBB223_15:                             ;   in Loop: Header=BB223_9 Depth=2
	s_or_b32 exec_lo, exec_lo, s36
	v_dual_mov_b32 v1, 0 :: v_dual_add_nc_u32 v20, s12, v4
	ds_store_b32 v7, v2 offset:4
	v_cmp_gt_u64_e32 vcc_lo, s[8:9], v[20:21]
	s_and_b32 s36, vcc_lo, s1
	s_delay_alu instid0(SALU_CYCLE_1)
	s_and_saveexec_b32 s35, s36
	s_cbranch_execz .LBB223_8
; %bb.16:                               ;   in Loop: Header=BB223_9 Depth=2
	v_mul_u64_e32 v[0:1], s[20:21], v[20:21]
	s_delay_alu instid0(VALU_DEP_1)
	v_lshl_add_u64 v[0:1], v[0:1], 3, v[26:27]
	global_load_b64 v[0:1], v[0:1], off
	s_branch .LBB223_8
.LBB223_17:                             ;   in Loop: Header=BB223_6 Depth=1
	v_dual_mov_b32 v40, v21 :: v_dual_mov_b32 v42, v21
	v_dual_mov_b32 v36, v21 :: v_dual_mov_b32 v38, v21
	;; [unrolled: 1-line block ×4, first 2 shown]
.LBB223_18:                             ;   in Loop: Header=BB223_6 Depth=1
	s_mul_u64 s[12:13], s[30:31], s[10:11]
	s_delay_alu instid0(SALU_CYCLE_1) | instskip(NEXT) | instid1(SALU_CYCLE_1)
	s_lshl_b64 s[12:13], s[12:13], 3
	s_add_nc_u64 s[12:13], s[26:27], s[12:13]
	s_delay_alu instid0(SALU_CYCLE_1)
	v_lshl_add_u64 v[0:1], v[12:13], 3, s[12:13]
	s_and_saveexec_b32 s35, s18
	s_cbranch_execz .LBB223_23
; %bb.19:                               ;   in Loop: Header=BB223_6 Depth=1
	v_mov_b64_e32 v[2:3], s[4:5]
	v_mov_b64_e32 v[24:25], s[24:25]
	s_and_b32 vcc_lo, exec_lo, s15
	s_mov_b32 s36, -1
	s_delay_alu instid0(VALU_DEP_2) | instskip(NEXT) | instid1(VALU_DEP_1)
	v_pk_mul_f32 v[2:3], v[42:43], v[2:3] op_sel_hi:[0,1]
	v_pk_fma_f32 v[26:27], v[40:41], v[24:25], v[2:3] op_sel_hi:[0,1,1]
	v_pk_fma_f32 v[2:3], v[40:41], v[24:25], v[2:3] neg_lo:[0,0,1] neg_hi:[0,0,1]
	v_lshl_add_u64 v[24:25], v[8:9], 3, v[0:1]
	s_delay_alu instid0(VALU_DEP_3)
	v_mov_b32_e32 v3, v27
	s_cbranch_vccz .LBB223_21
; %bb.20:                               ;   in Loop: Header=BB223_6 Depth=1
	global_load_b64 v[26:27], v[24:25], off
	v_mov_b64_e32 v[40:41], s[6:7]
	v_mov_b64_e32 v[42:43], s[2:3]
	s_mov_b32 s36, 0
	s_wait_loadcnt 0x0
	s_delay_alu instid0(VALU_DEP_2) | instskip(NEXT) | instid1(VALU_DEP_1)
	v_pk_mul_f32 v[40:41], v[26:27], v[40:41]
	v_pk_fma_f32 v[44:45], v[26:27], v[42:43], v[40:41] op_sel:[0,0,1] op_sel_hi:[1,1,0]
	v_pk_fma_f32 v[26:27], v[26:27], v[42:43], v[40:41] op_sel:[0,0,1] op_sel_hi:[1,1,0] neg_lo:[0,0,1] neg_hi:[0,0,1]
	s_delay_alu instid0(VALU_DEP_2) | instskip(NEXT) | instid1(VALU_DEP_1)
	v_mov_b32_e32 v27, v45
	v_pk_add_f32 v[26:27], v[2:3], v[26:27]
	global_store_b64 v[24:25], v[26:27], off
.LBB223_21:                             ;   in Loop: Header=BB223_6 Depth=1
	s_and_not1_b32 vcc_lo, exec_lo, s36
	s_cbranch_vccnz .LBB223_23
; %bb.22:                               ;   in Loop: Header=BB223_6 Depth=1
	global_store_b64 v[24:25], v[2:3], off
.LBB223_23:                             ;   in Loop: Header=BB223_6 Depth=1
	s_wait_xcnt 0x0
	s_or_b32 exec_lo, exec_lo, s35
	s_and_saveexec_b32 s35, s19
	s_cbranch_execz .LBB223_28
; %bb.24:                               ;   in Loop: Header=BB223_6 Depth=1
	v_mov_b64_e32 v[2:3], s[4:5]
	v_mov_b64_e32 v[24:25], s[24:25]
	v_lshl_add_u64 v[0:1], v[10:11], 3, v[0:1]
	s_and_not1_b32 vcc_lo, exec_lo, s15
	s_mov_b32 s36, -1
	s_delay_alu instid0(VALU_DEP_3) | instskip(NEXT) | instid1(VALU_DEP_1)
	v_pk_mul_f32 v[2:3], v[38:39], v[2:3] op_sel_hi:[0,1]
	v_pk_fma_f32 v[26:27], v[36:37], v[24:25], v[2:3] op_sel_hi:[0,1,1]
	v_pk_fma_f32 v[2:3], v[36:37], v[24:25], v[2:3] neg_lo:[0,0,1] neg_hi:[0,0,1]
	s_delay_alu instid0(VALU_DEP_2)
	v_mov_b32_e32 v3, v27
	s_cbranch_vccnz .LBB223_26
; %bb.25:                               ;   in Loop: Header=BB223_6 Depth=1
	global_load_b64 v[24:25], v[0:1], off
	v_mov_b64_e32 v[26:27], s[6:7]
	v_mov_b64_e32 v[36:37], s[2:3]
	s_mov_b32 s36, 0
	s_wait_loadcnt 0x0
	s_delay_alu instid0(VALU_DEP_2) | instskip(NEXT) | instid1(VALU_DEP_1)
	v_pk_mul_f32 v[26:27], v[24:25], v[26:27]
	v_pk_fma_f32 v[38:39], v[24:25], v[36:37], v[26:27] op_sel:[0,0,1] op_sel_hi:[1,1,0]
	v_pk_fma_f32 v[24:25], v[24:25], v[36:37], v[26:27] op_sel:[0,0,1] op_sel_hi:[1,1,0] neg_lo:[0,0,1] neg_hi:[0,0,1]
	s_delay_alu instid0(VALU_DEP_2) | instskip(NEXT) | instid1(VALU_DEP_1)
	v_mov_b32_e32 v25, v39
	v_pk_add_f32 v[24:25], v[2:3], v[24:25]
	global_store_b64 v[0:1], v[24:25], off
.LBB223_26:                             ;   in Loop: Header=BB223_6 Depth=1
	s_and_not1_b32 vcc_lo, exec_lo, s36
	s_cbranch_vccnz .LBB223_28
; %bb.27:                               ;   in Loop: Header=BB223_6 Depth=1
	global_store_b64 v[0:1], v[2:3], off
.LBB223_28:                             ;   in Loop: Header=BB223_6 Depth=1
	s_wait_xcnt 0x0
	s_or_b32 exec_lo, exec_lo, s35
	v_lshl_add_u64 v[0:1], v[14:15], 3, s[12:13]
	s_and_saveexec_b32 s12, s28
	s_cbranch_execz .LBB223_33
; %bb.29:                               ;   in Loop: Header=BB223_6 Depth=1
	v_mov_b64_e32 v[2:3], s[4:5]
	v_mov_b64_e32 v[24:25], s[24:25]
	s_and_not1_b32 vcc_lo, exec_lo, s15
	s_mov_b32 s13, -1
	s_delay_alu instid0(VALU_DEP_2) | instskip(NEXT) | instid1(VALU_DEP_1)
	v_pk_mul_f32 v[2:3], v[34:35], v[2:3] op_sel_hi:[0,1]
	v_pk_fma_f32 v[26:27], v[32:33], v[24:25], v[2:3] op_sel_hi:[0,1,1]
	v_pk_fma_f32 v[2:3], v[32:33], v[24:25], v[2:3] neg_lo:[0,0,1] neg_hi:[0,0,1]
	v_lshl_add_u64 v[24:25], v[8:9], 3, v[0:1]
	s_delay_alu instid0(VALU_DEP_3)
	v_mov_b32_e32 v3, v27
	s_cbranch_vccnz .LBB223_31
; %bb.30:                               ;   in Loop: Header=BB223_6 Depth=1
	global_load_b64 v[26:27], v[24:25], off
	v_mov_b64_e32 v[32:33], s[6:7]
	v_mov_b64_e32 v[34:35], s[2:3]
	s_mov_b32 s13, 0
	s_wait_loadcnt 0x0
	s_delay_alu instid0(VALU_DEP_2) | instskip(NEXT) | instid1(VALU_DEP_1)
	v_pk_mul_f32 v[32:33], v[26:27], v[32:33]
	v_pk_fma_f32 v[36:37], v[26:27], v[34:35], v[32:33] op_sel:[0,0,1] op_sel_hi:[1,1,0]
	v_pk_fma_f32 v[26:27], v[26:27], v[34:35], v[32:33] op_sel:[0,0,1] op_sel_hi:[1,1,0] neg_lo:[0,0,1] neg_hi:[0,0,1]
	s_delay_alu instid0(VALU_DEP_2) | instskip(NEXT) | instid1(VALU_DEP_1)
	v_mov_b32_e32 v27, v37
	v_pk_add_f32 v[26:27], v[2:3], v[26:27]
	global_store_b64 v[24:25], v[26:27], off
.LBB223_31:                             ;   in Loop: Header=BB223_6 Depth=1
	s_and_not1_b32 vcc_lo, exec_lo, s13
	s_cbranch_vccnz .LBB223_33
; %bb.32:                               ;   in Loop: Header=BB223_6 Depth=1
	global_store_b64 v[24:25], v[2:3], off
.LBB223_33:                             ;   in Loop: Header=BB223_6 Depth=1
	s_wait_xcnt 0x0
	s_or_b32 exec_lo, exec_lo, s12
	s_and_saveexec_b32 s12, s29
	s_cbranch_execz .LBB223_5
; %bb.34:                               ;   in Loop: Header=BB223_6 Depth=1
	v_mov_b64_e32 v[2:3], s[4:5]
	v_mov_b64_e32 v[24:25], s[24:25]
	v_lshl_add_u64 v[0:1], v[10:11], 3, v[0:1]
	s_and_not1_b32 vcc_lo, exec_lo, s15
	s_mov_b32 s13, -1
	s_delay_alu instid0(VALU_DEP_3) | instskip(NEXT) | instid1(VALU_DEP_1)
	v_pk_mul_f32 v[2:3], v[30:31], v[2:3] op_sel_hi:[0,1]
	v_pk_fma_f32 v[26:27], v[28:29], v[24:25], v[2:3] op_sel_hi:[0,1,1]
	v_pk_fma_f32 v[2:3], v[28:29], v[24:25], v[2:3] neg_lo:[0,0,1] neg_hi:[0,0,1]
	s_delay_alu instid0(VALU_DEP_2)
	v_mov_b32_e32 v3, v27
	s_cbranch_vccnz .LBB223_36
; %bb.35:                               ;   in Loop: Header=BB223_6 Depth=1
	global_load_b64 v[24:25], v[0:1], off
	v_mov_b64_e32 v[26:27], s[6:7]
	v_mov_b64_e32 v[32:33], s[2:3]
	s_mov_b32 s13, 0
	s_wait_loadcnt 0x0
	s_delay_alu instid0(VALU_DEP_2) | instskip(NEXT) | instid1(VALU_DEP_1)
	v_pk_mul_f32 v[26:27], v[24:25], v[26:27]
	v_pk_fma_f32 v[34:35], v[24:25], v[32:33], v[26:27] op_sel:[0,0,1] op_sel_hi:[1,1,0]
	v_pk_fma_f32 v[24:25], v[24:25], v[32:33], v[26:27] op_sel:[0,0,1] op_sel_hi:[1,1,0] neg_lo:[0,0,1] neg_hi:[0,0,1]
	s_delay_alu instid0(VALU_DEP_2) | instskip(NEXT) | instid1(VALU_DEP_1)
	v_mov_b32_e32 v25, v35
	v_pk_add_f32 v[24:25], v[2:3], v[24:25]
	global_store_b64 v[0:1], v[24:25], off
.LBB223_36:                             ;   in Loop: Header=BB223_6 Depth=1
	s_and_not1_b32 vcc_lo, exec_lo, s13
	s_cbranch_vccnz .LBB223_5
; %bb.37:                               ;   in Loop: Header=BB223_6 Depth=1
	global_store_b64 v[0:1], v[2:3], off
	s_branch .LBB223_5
.LBB223_38:
	s_endpgm
	.section	.rodata,"a",@progbits
	.p2align	6, 0x0
	.amdhsa_kernel _ZL29rocblas_internal_gemmt_kernelIlLi16ELi32ELi8ELc67ELc84ELc85ELb1ELb0E19rocblas_complex_numIfEPKS1_S3_PS1_EviT_T9_T10_S5_lS7_S5_lS6_T11_S5_li
		.amdhsa_group_segment_fixed_size 4096
		.amdhsa_private_segment_fixed_size 0
		.amdhsa_kernarg_size 108
		.amdhsa_user_sgpr_count 2
		.amdhsa_user_sgpr_dispatch_ptr 0
		.amdhsa_user_sgpr_queue_ptr 0
		.amdhsa_user_sgpr_kernarg_segment_ptr 1
		.amdhsa_user_sgpr_dispatch_id 0
		.amdhsa_user_sgpr_kernarg_preload_length 0
		.amdhsa_user_sgpr_kernarg_preload_offset 0
		.amdhsa_user_sgpr_private_segment_size 0
		.amdhsa_wavefront_size32 1
		.amdhsa_uses_dynamic_stack 0
		.amdhsa_enable_private_segment 0
		.amdhsa_system_sgpr_workgroup_id_x 1
		.amdhsa_system_sgpr_workgroup_id_y 1
		.amdhsa_system_sgpr_workgroup_id_z 1
		.amdhsa_system_sgpr_workgroup_info 0
		.amdhsa_system_vgpr_workitem_id 1
		.amdhsa_next_free_vgpr 60
		.amdhsa_next_free_sgpr 39
		.amdhsa_named_barrier_count 0
		.amdhsa_reserve_vcc 1
		.amdhsa_float_round_mode_32 0
		.amdhsa_float_round_mode_16_64 0
		.amdhsa_float_denorm_mode_32 3
		.amdhsa_float_denorm_mode_16_64 3
		.amdhsa_fp16_overflow 0
		.amdhsa_memory_ordered 1
		.amdhsa_forward_progress 1
		.amdhsa_inst_pref_size 26
		.amdhsa_round_robin_scheduling 0
		.amdhsa_exception_fp_ieee_invalid_op 0
		.amdhsa_exception_fp_denorm_src 0
		.amdhsa_exception_fp_ieee_div_zero 0
		.amdhsa_exception_fp_ieee_overflow 0
		.amdhsa_exception_fp_ieee_underflow 0
		.amdhsa_exception_fp_ieee_inexact 0
		.amdhsa_exception_int_div_zero 0
	.end_amdhsa_kernel
	.section	.text._ZL29rocblas_internal_gemmt_kernelIlLi16ELi32ELi8ELc67ELc84ELc85ELb1ELb0E19rocblas_complex_numIfEPKS1_S3_PS1_EviT_T9_T10_S5_lS7_S5_lS6_T11_S5_li,"axG",@progbits,_ZL29rocblas_internal_gemmt_kernelIlLi16ELi32ELi8ELc67ELc84ELc85ELb1ELb0E19rocblas_complex_numIfEPKS1_S3_PS1_EviT_T9_T10_S5_lS7_S5_lS6_T11_S5_li,comdat
.Lfunc_end223:
	.size	_ZL29rocblas_internal_gemmt_kernelIlLi16ELi32ELi8ELc67ELc84ELc85ELb1ELb0E19rocblas_complex_numIfEPKS1_S3_PS1_EviT_T9_T10_S5_lS7_S5_lS6_T11_S5_li, .Lfunc_end223-_ZL29rocblas_internal_gemmt_kernelIlLi16ELi32ELi8ELc67ELc84ELc85ELb1ELb0E19rocblas_complex_numIfEPKS1_S3_PS1_EviT_T9_T10_S5_lS7_S5_lS6_T11_S5_li
                                        ; -- End function
	.set _ZL29rocblas_internal_gemmt_kernelIlLi16ELi32ELi8ELc67ELc84ELc85ELb1ELb0E19rocblas_complex_numIfEPKS1_S3_PS1_EviT_T9_T10_S5_lS7_S5_lS6_T11_S5_li.num_vgpr, 60
	.set _ZL29rocblas_internal_gemmt_kernelIlLi16ELi32ELi8ELc67ELc84ELc85ELb1ELb0E19rocblas_complex_numIfEPKS1_S3_PS1_EviT_T9_T10_S5_lS7_S5_lS6_T11_S5_li.num_agpr, 0
	.set _ZL29rocblas_internal_gemmt_kernelIlLi16ELi32ELi8ELc67ELc84ELc85ELb1ELb0E19rocblas_complex_numIfEPKS1_S3_PS1_EviT_T9_T10_S5_lS7_S5_lS6_T11_S5_li.numbered_sgpr, 39
	.set _ZL29rocblas_internal_gemmt_kernelIlLi16ELi32ELi8ELc67ELc84ELc85ELb1ELb0E19rocblas_complex_numIfEPKS1_S3_PS1_EviT_T9_T10_S5_lS7_S5_lS6_T11_S5_li.num_named_barrier, 0
	.set _ZL29rocblas_internal_gemmt_kernelIlLi16ELi32ELi8ELc67ELc84ELc85ELb1ELb0E19rocblas_complex_numIfEPKS1_S3_PS1_EviT_T9_T10_S5_lS7_S5_lS6_T11_S5_li.private_seg_size, 0
	.set _ZL29rocblas_internal_gemmt_kernelIlLi16ELi32ELi8ELc67ELc84ELc85ELb1ELb0E19rocblas_complex_numIfEPKS1_S3_PS1_EviT_T9_T10_S5_lS7_S5_lS6_T11_S5_li.uses_vcc, 1
	.set _ZL29rocblas_internal_gemmt_kernelIlLi16ELi32ELi8ELc67ELc84ELc85ELb1ELb0E19rocblas_complex_numIfEPKS1_S3_PS1_EviT_T9_T10_S5_lS7_S5_lS6_T11_S5_li.uses_flat_scratch, 0
	.set _ZL29rocblas_internal_gemmt_kernelIlLi16ELi32ELi8ELc67ELc84ELc85ELb1ELb0E19rocblas_complex_numIfEPKS1_S3_PS1_EviT_T9_T10_S5_lS7_S5_lS6_T11_S5_li.has_dyn_sized_stack, 0
	.set _ZL29rocblas_internal_gemmt_kernelIlLi16ELi32ELi8ELc67ELc84ELc85ELb1ELb0E19rocblas_complex_numIfEPKS1_S3_PS1_EviT_T9_T10_S5_lS7_S5_lS6_T11_S5_li.has_recursion, 0
	.set _ZL29rocblas_internal_gemmt_kernelIlLi16ELi32ELi8ELc67ELc84ELc85ELb1ELb0E19rocblas_complex_numIfEPKS1_S3_PS1_EviT_T9_T10_S5_lS7_S5_lS6_T11_S5_li.has_indirect_call, 0
	.section	.AMDGPU.csdata,"",@progbits
; Kernel info:
; codeLenInByte = 3220
; TotalNumSgprs: 41
; NumVgprs: 60
; ScratchSize: 0
; MemoryBound: 0
; FloatMode: 240
; IeeeMode: 1
; LDSByteSize: 4096 bytes/workgroup (compile time only)
; SGPRBlocks: 0
; VGPRBlocks: 3
; NumSGPRsForWavesPerEU: 41
; NumVGPRsForWavesPerEU: 60
; NamedBarCnt: 0
; Occupancy: 16
; WaveLimiterHint : 0
; COMPUTE_PGM_RSRC2:SCRATCH_EN: 0
; COMPUTE_PGM_RSRC2:USER_SGPR: 2
; COMPUTE_PGM_RSRC2:TRAP_HANDLER: 0
; COMPUTE_PGM_RSRC2:TGID_X_EN: 1
; COMPUTE_PGM_RSRC2:TGID_Y_EN: 1
; COMPUTE_PGM_RSRC2:TGID_Z_EN: 1
; COMPUTE_PGM_RSRC2:TIDIG_COMP_CNT: 1
	.section	.text._ZL29rocblas_internal_gemmt_kernelIlLi16ELi32ELi8ELc67ELc67ELc85ELb1ELb1E19rocblas_complex_numIfEPKS1_S3_PS1_EviT_T9_T10_S5_lS7_S5_lS6_T11_S5_li,"axG",@progbits,_ZL29rocblas_internal_gemmt_kernelIlLi16ELi32ELi8ELc67ELc67ELc85ELb1ELb1E19rocblas_complex_numIfEPKS1_S3_PS1_EviT_T9_T10_S5_lS7_S5_lS6_T11_S5_li,comdat
	.globl	_ZL29rocblas_internal_gemmt_kernelIlLi16ELi32ELi8ELc67ELc67ELc85ELb1ELb1E19rocblas_complex_numIfEPKS1_S3_PS1_EviT_T9_T10_S5_lS7_S5_lS6_T11_S5_li ; -- Begin function _ZL29rocblas_internal_gemmt_kernelIlLi16ELi32ELi8ELc67ELc67ELc85ELb1ELb1E19rocblas_complex_numIfEPKS1_S3_PS1_EviT_T9_T10_S5_lS7_S5_lS6_T11_S5_li
	.p2align	8
	.type	_ZL29rocblas_internal_gemmt_kernelIlLi16ELi32ELi8ELc67ELc67ELc85ELb1ELb1E19rocblas_complex_numIfEPKS1_S3_PS1_EviT_T9_T10_S5_lS7_S5_lS6_T11_S5_li,@function
_ZL29rocblas_internal_gemmt_kernelIlLi16ELi32ELi8ELc67ELc67ELc85ELb1ELb1E19rocblas_complex_numIfEPKS1_S3_PS1_EviT_T9_T10_S5_lS7_S5_lS6_T11_S5_li: ; @_ZL29rocblas_internal_gemmt_kernelIlLi16ELi32ELi8ELc67ELc67ELc85ELb1ELb1E19rocblas_complex_numIfEPKS1_S3_PS1_EviT_T9_T10_S5_lS7_S5_lS6_T11_S5_li
; %bb.0:
	s_load_b256 s[24:31], s[0:1], 0x48
	s_wait_kmcnt 0x0
	s_load_b64 s[6:7], s[24:25], 0x0
	s_load_b512 s[8:23], s[0:1], 0x8
	s_wait_kmcnt 0x0
	s_cmp_neq_f32 s6, 1.0
	s_load_b64 s[24:25], s[10:11], 0x0
	s_cselect_b32 s2, -1, 0
	s_and_b32 s4, s7, 0x7fffffff
	s_delay_alu instid0(SALU_CYCLE_1) | instskip(SKIP_3) | instid1(SALU_CYCLE_1)
	s_cmp_eq_u32 s4, 0
	s_cselect_b32 s3, -1, 0
	s_cmp_lg_u32 s4, 0
	s_cselect_b32 s4, -1, 0
	s_or_b32 s2, s2, s4
	s_delay_alu instid0(SALU_CYCLE_1)
	s_and_b32 vcc_lo, exec_lo, s2
	s_cbranch_vccnz .LBB224_2
; %bb.1:
	s_cmp_lg_u64 s[8:9], 0
	s_cselect_b32 s2, -1, 0
	s_wait_kmcnt 0x0
	s_cmp_neq_f32 s24, 0
	s_cselect_b32 s4, -1, 0
	s_cmp_neq_f32 s25, 0
	s_cselect_b32 s5, -1, 0
	s_delay_alu instid0(SALU_CYCLE_1) | instskip(NEXT) | instid1(SALU_CYCLE_1)
	s_or_b32 s4, s4, s5
	s_and_b32 s2, s2, s4
.LBB224_2:
	s_delay_alu instid0(SALU_CYCLE_1)
	s_and_not1_b32 vcc_lo, exec_lo, s2
	s_cbranch_vccnz .LBB224_40
; %bb.3:
	s_load_b32 s33, s[0:1], 0x68
	s_bfe_u32 s2, ttmp6, 0x40014
	s_lshr_b32 s4, ttmp7, 16
	s_add_co_i32 s2, s2, 1
	s_wait_xcnt 0x0
	s_bfe_u32 s10, ttmp6, 0x40008
	s_mul_i32 s5, s4, s2
	s_getreg_b32 s2, hwreg(HW_REG_IB_STS2, 6, 4)
	s_add_co_i32 s10, s10, s5
	s_cmp_eq_u32 s2, 0
	s_mov_b32 s11, 0
	s_cselect_b32 s10, s4, s10
	s_wait_kmcnt 0x0
	s_cmp_ge_u32 s10, s33
	s_cbranch_scc1 .LBB224_40
; %bb.4:
	v_and_b32_e32 v7, 0x3ff, v0
	v_bfe_u32 v9, v0, 10, 10
	s_bfe_u32 s4, ttmp6, 0x4000c
	s_bfe_u32 s34, ttmp6, 0x40010
	s_add_co_i32 s4, s4, 1
	s_and_b32 s35, ttmp7, 0xffff
	s_add_co_i32 s34, s34, 1
	v_lshl_add_u32 v8, v9, 4, v7
	s_and_b32 s5, ttmp6, 15
	s_mul_i32 s4, ttmp9, s4
	s_mul_i32 s34, s35, s34
	s_bfe_u32 s36, ttmp6, 0x40004
	s_add_co_i32 s5, s5, s4
	s_add_co_i32 s36, s36, s34
	s_cmp_eq_u32 s2, 0
	v_and_b32_e32 v10, 31, v8
	s_cselect_b32 s2, ttmp9, s5
	s_cselect_b32 s4, s35, s36
	s_lshl_b32 s2, s2, 5
	v_dual_lshlrev_b32 v5, 3, v7 :: v_dual_bitop2_b32 v4, 7, v0 bitop3:0x40
	v_or_b32_e32 v2, s2, v10
	s_load_b32 s5, s[0:1], 0x0
	s_wait_xcnt 0x0
	s_lshl_b32 s0, s4, 5
	v_lshlrev_b32_e32 v11, 3, v4
	v_dual_lshrrev_b32 v6, 5, v8 :: v_dual_ashrrev_i32 v3, 31, v2
	v_add_nc_u32_e32 v20, s0, v9
	s_cmp_neq_f32 s24, 0
	v_cmp_gt_i64_e64 s34, s[8:9], 0
	v_lshl_add_u32 v31, v9, 6, 0x800
	v_mul_u64_e32 v[0:1], s[14:15], v[2:3]
	v_dual_lshrrev_b32 v3, 3, v8 :: v_dual_add_nc_u32 v8, s2, v7
	v_dual_ashrrev_i32 v21, 31, v20 :: v_dual_add_nc_u32 v22, 16, v20
	s_delay_alu instid0(VALU_DEP_2) | instskip(NEXT) | instid1(VALU_DEP_3)
	v_dual_lshlrev_b32 v7, 3, v10 :: v_dual_add_nc_u32 v16, s0, v3
	v_add_nc_u32_e32 v10, 16, v8
	s_delay_alu instid0(VALU_DEP_3) | instskip(NEXT) | instid1(VALU_DEP_4)
	v_mul_u64_e32 v[12:13], s[28:29], v[20:21]
	v_ashrrev_i32_e32 v23, 31, v22
	s_cselect_b32 s2, -1, 0
	s_cmp_neq_f32 s25, 0
	v_cmp_le_i32_e32 vcc_lo, v8, v20
	v_ashrrev_i32_e32 v17, 31, v16
	v_mul_u64_e32 v[14:15], s[28:29], v[22:23]
	s_cselect_b32 s4, -1, 0
	v_lshl_or_b32 v3, v3, 6, v11
	s_or_b32 s35, s2, s4
	s_cmp_neq_f32 s6, 0
	s_wait_kmcnt 0x0
	v_cmp_gt_i32_e64 s2, s5, v20
	v_cmp_gt_i32_e64 s0, s5, v2
	v_cmp_le_i32_e64 s14, s5, v2
	s_cselect_b32 s4, -1, 0
	s_xor_b32 s3, s3, -1
	v_cmp_gt_i32_e64 s1, s5, v16
	s_or_b32 s15, s4, s3
	v_cmp_gt_i32_e64 s3, s5, v22
	v_cmp_le_i32_e64 s4, v8, v22
	v_cmp_le_i32_e64 s5, v10, v22
	v_ashrrev_i32_e32 v11, 31, v10
	v_lshl_add_u64 v[16:17], v[16:17], 3, s[18:19]
	s_and_b32 s18, s2, vcc_lo
	v_cmp_le_i32_e32 vcc_lo, v10, v20
	v_lshl_or_b32 v7, v6, 8, v7
	v_add_nc_u32_e32 v29, 0x800, v3
	v_lshl_add_u64 v[18:19], v[0:1], 3, s[12:13]
	v_dual_ashrrev_i32 v9, 31, v8 :: v_dual_mov_b32 v21, 0
	s_and_b32 s19, s2, vcc_lo
	s_and_b32 s28, s3, s4
	s_and_b32 s29, s3, s5
	s_mov_b32 s2, s6
	s_mov_b32 s3, s6
	;; [unrolled: 1-line block ×3, first 2 shown]
	s_and_b32 s34, s35, s34
	s_mov_b32 s4, s25
	s_mov_b32 s5, s24
	s_xor_b32 s1, s1, -1
                                        ; implicit-def: $vgpr22_vgpr23
	s_branch .LBB224_6
.LBB224_5:                              ;   in Loop: Header=BB224_6 Depth=1
	s_wait_xcnt 0x0
	s_or_b32 exec_lo, exec_lo, s12
	s_add_co_i32 s10, s10, 0x10000
	s_delay_alu instid0(SALU_CYCLE_1)
	s_cmp_lt_u32 s10, s33
	s_cbranch_scc0 .LBB224_40
.LBB224_6:                              ; =>This Loop Header: Depth=1
                                        ;     Child Loop BB224_9 Depth 2
	s_and_not1_b32 vcc_lo, exec_lo, s34
	s_cbranch_vccnz .LBB224_19
; %bb.7:                                ;   in Loop: Header=BB224_6 Depth=1
	s_mul_u64 s[12:13], s[16:17], s[10:11]
	s_mul_u64 s[36:37], s[22:23], s[10:11]
	v_lshl_add_u64 v[24:25], s[12:13], 3, v[18:19]
	v_lshl_add_u64 v[26:27], s[36:37], 3, v[16:17]
	v_dual_mov_b32 v30, 0 :: v_dual_mov_b32 v28, 0
	v_dual_mov_b32 v34, 0 :: v_dual_mov_b32 v32, 0
	;; [unrolled: 1-line block ×4, first 2 shown]
	s_mov_b64 s[12:13], 0
	s_branch .LBB224_9
.LBB224_8:                              ;   in Loop: Header=BB224_9 Depth=2
	s_or_b32 exec_lo, exec_lo, s35
	ds_store_b32 v29, v0 offset:4
	s_wait_dscnt 0x0
	s_barrier_signal -1
	s_barrier_wait -1
	ds_load_b128 v[44:47], v31
	ds_load_b128 v[48:51], v31 offset:16
	ds_load_b128 v[52:55], v31 offset:32
	;; [unrolled: 1-line block ×3, first 2 shown]
	ds_load_2addr_b64 v[56:59], v5 offset1:16
	s_add_nc_u64 s[12:13], s[12:13], 8
	s_delay_alu instid0(SALU_CYCLE_1) | instskip(SKIP_3) | instid1(VALU_DEP_1)
	v_cmp_gt_i64_e64 s35, s[8:9], s[12:13]
	s_and_b32 vcc_lo, exec_lo, s35
	s_wait_dscnt 0x0
	v_dual_mul_f32 v20, v45, v57 :: v_dual_mul_f32 v33, v44, v57
	v_dual_mul_f32 v35, v44, v59 :: v_dual_fma_f32 v20, v44, v56, -v20
	s_delay_alu instid0(VALU_DEP_1) | instskip(NEXT) | instid1(VALU_DEP_1)
	v_dual_fmac_f32 v33, v45, v56 :: v_dual_fmac_f32 v35, v45, v58
	v_dual_add_f32 v20, v40, v20 :: v_dual_add_f32 v40, v42, v33
	v_mul_f32_e32 v33, v45, v59
	s_delay_alu instid0(VALU_DEP_1) | instskip(NEXT) | instid1(VALU_DEP_1)
	v_dual_add_f32 v42, v38, v35 :: v_dual_fma_f32 v33, v44, v58, -v33
	v_add_f32_e32 v41, v36, v33
	ds_load_b128 v[36:39], v31 offset:1024
	s_wait_dscnt 0x0
	v_dual_mul_f32 v33, v37, v57 :: v_dual_mul_f32 v35, v36, v57
	s_delay_alu instid0(VALU_DEP_1) | instskip(NEXT) | instid1(VALU_DEP_1)
	v_dual_fma_f32 v33, v36, v56, -v33 :: v_dual_fmac_f32 v35, v37, v56
	v_dual_add_f32 v43, v32, v33 :: v_dual_add_f32 v44, v34, v35
	v_dual_mul_f32 v32, v37, v59 :: v_dual_mul_f32 v33, v36, v59
	s_delay_alu instid0(VALU_DEP_1) | instskip(NEXT) | instid1(VALU_DEP_1)
	v_dual_fma_f32 v32, v36, v58, -v32 :: v_dual_fmac_f32 v33, v37, v58
	v_dual_add_f32 v28, v28, v32 :: v_dual_add_f32 v30, v30, v33
	ds_load_2addr_b64 v[32:35], v5 offset0:32 offset1:48
	s_wait_dscnt 0x0
	v_dual_mul_f32 v36, v47, v33 :: v_dual_mul_f32 v37, v46, v33
	s_delay_alu instid0(VALU_DEP_1) | instskip(NEXT) | instid1(VALU_DEP_1)
	v_dual_fma_f32 v36, v46, v32, -v36 :: v_dual_fmac_f32 v37, v47, v32
	v_add_f32_e32 v20, v20, v36
	s_delay_alu instid0(VALU_DEP_2) | instskip(NEXT) | instid1(VALU_DEP_1)
	v_dual_add_f32 v36, v40, v37 :: v_dual_mul_f32 v37, v47, v35
	v_dual_fma_f32 v37, v46, v34, -v37 :: v_dual_mul_f32 v40, v46, v35
	s_delay_alu instid0(VALU_DEP_1) | instskip(SKIP_1) | instid1(VALU_DEP_1)
	v_add_f32_e32 v37, v41, v37
	v_dual_mul_f32 v41, v39, v33 :: v_dual_mul_f32 v33, v38, v33
	v_dual_fmac_f32 v40, v47, v34 :: v_dual_fma_f32 v41, v38, v32, -v41
	s_delay_alu instid0(VALU_DEP_2) | instskip(NEXT) | instid1(VALU_DEP_2)
	v_dual_fmac_f32 v33, v39, v32 :: v_dual_mul_f32 v32, v39, v35
	v_dual_add_f32 v40, v42, v40 :: v_dual_add_f32 v41, v43, v41
	s_delay_alu instid0(VALU_DEP_2) | instskip(NEXT) | instid1(VALU_DEP_1)
	v_dual_add_f32 v42, v44, v33 :: v_dual_fma_f32 v32, v38, v34, -v32
	v_dual_mul_f32 v33, v38, v35 :: v_dual_add_f32 v28, v28, v32
	s_delay_alu instid0(VALU_DEP_1) | instskip(NEXT) | instid1(VALU_DEP_1)
	v_fmac_f32_e32 v33, v39, v34
	v_add_f32_e32 v30, v30, v33
	ds_load_2addr_b64 v[32:35], v5 offset0:64 offset1:80
	s_wait_dscnt 0x0
	v_dual_mul_f32 v38, v49, v33 :: v_dual_mul_f32 v39, v48, v33
	s_delay_alu instid0(VALU_DEP_1) | instskip(NEXT) | instid1(VALU_DEP_1)
	v_dual_fma_f32 v38, v48, v32, -v38 :: v_dual_fmac_f32 v39, v49, v32
	v_add_f32_e32 v20, v20, v38
	v_mul_f32_e32 v38, v48, v35
	s_delay_alu instid0(VALU_DEP_3) | instskip(SKIP_1) | instid1(VALU_DEP_1)
	v_add_f32_e32 v43, v36, v39
	v_mul_f32_e32 v36, v49, v35
	v_fma_f32 v36, v48, v34, -v36
	s_delay_alu instid0(VALU_DEP_1) | instskip(SKIP_1) | instid1(VALU_DEP_1)
	v_add_f32_e32 v44, v37, v36
	v_fmac_f32_e32 v38, v49, v34
	v_add_f32_e32 v40, v40, v38
	ds_load_b128 v[36:39], v31 offset:1040
	s_wait_dscnt 0x0
	v_dual_mul_f32 v45, v37, v33 :: v_dual_mul_f32 v33, v36, v33
	s_delay_alu instid0(VALU_DEP_1) | instskip(NEXT) | instid1(VALU_DEP_2)
	v_fma_f32 v45, v36, v32, -v45
	v_dual_fmac_f32 v33, v37, v32 :: v_dual_mul_f32 v32, v37, v35
	s_delay_alu instid0(VALU_DEP_2) | instskip(NEXT) | instid1(VALU_DEP_2)
	v_add_f32_e32 v41, v41, v45
	v_dual_add_f32 v42, v42, v33 :: v_dual_mul_f32 v33, v36, v35
	s_delay_alu instid0(VALU_DEP_1) | instskip(NEXT) | instid1(VALU_DEP_1)
	v_dual_fma_f32 v32, v36, v34, -v32 :: v_dual_fmac_f32 v33, v37, v34
	v_dual_add_f32 v28, v28, v32 :: v_dual_add_f32 v30, v30, v33
	ds_load_2addr_b64 v[32:35], v5 offset0:96 offset1:112
	s_wait_dscnt 0x0
	v_mul_f32_e32 v36, v51, v33
	s_delay_alu instid0(VALU_DEP_1) | instskip(NEXT) | instid1(VALU_DEP_1)
	v_dual_fma_f32 v36, v50, v32, -v36 :: v_dual_mul_f32 v37, v50, v33
	v_add_f32_e32 v20, v20, v36
	s_delay_alu instid0(VALU_DEP_2) | instskip(NEXT) | instid1(VALU_DEP_1)
	v_fmac_f32_e32 v37, v51, v32
	v_dual_add_f32 v36, v43, v37 :: v_dual_mul_f32 v43, v50, v35
	s_delay_alu instid0(VALU_DEP_1) | instskip(NEXT) | instid1(VALU_DEP_1)
	v_dual_mul_f32 v37, v51, v35 :: v_dual_fmac_f32 v43, v51, v34
	v_dual_fma_f32 v37, v50, v34, -v37 :: v_dual_add_f32 v40, v40, v43
	v_mul_f32_e32 v43, v39, v33
	s_delay_alu instid0(VALU_DEP_1) | instskip(NEXT) | instid1(VALU_DEP_1)
	v_dual_add_f32 v37, v44, v37 :: v_dual_fma_f32 v43, v38, v32, -v43
	v_dual_mul_f32 v33, v38, v33 :: v_dual_add_f32 v41, v41, v43
	s_delay_alu instid0(VALU_DEP_1) | instskip(NEXT) | instid1(VALU_DEP_1)
	v_dual_fmac_f32 v33, v39, v32 :: v_dual_mul_f32 v32, v39, v35
	v_add_f32_e32 v42, v42, v33
	s_delay_alu instid0(VALU_DEP_2) | instskip(NEXT) | instid1(VALU_DEP_1)
	v_dual_fma_f32 v32, v38, v34, -v32 :: v_dual_mul_f32 v33, v38, v35
	v_dual_fmac_f32 v33, v39, v34 :: v_dual_add_f32 v28, v28, v32
	s_delay_alu instid0(VALU_DEP_1) | instskip(SKIP_3) | instid1(VALU_DEP_1)
	v_add_f32_e32 v30, v30, v33
	ds_load_2addr_b64 v[32:35], v5 offset0:128 offset1:144
	s_wait_dscnt 0x0
	v_dual_mul_f32 v38, v53, v33 :: v_dual_mul_f32 v39, v52, v33
	v_dual_fma_f32 v38, v52, v32, -v38 :: v_dual_fmac_f32 v39, v53, v32
	s_delay_alu instid0(VALU_DEP_1) | instskip(SKIP_1) | instid1(VALU_DEP_3)
	v_add_f32_e32 v20, v20, v38
	v_mul_f32_e32 v38, v52, v35
	v_add_f32_e32 v43, v36, v39
	v_mul_f32_e32 v36, v53, v35
	s_delay_alu instid0(VALU_DEP_1) | instskip(NEXT) | instid1(VALU_DEP_1)
	v_fma_f32 v36, v52, v34, -v36
	v_add_f32_e32 v44, v37, v36
	v_fmac_f32_e32 v38, v53, v34
	s_delay_alu instid0(VALU_DEP_1) | instskip(SKIP_3) | instid1(VALU_DEP_1)
	v_add_f32_e32 v40, v40, v38
	ds_load_b128 v[36:39], v31 offset:1056
	s_wait_dscnt 0x0
	v_dual_mul_f32 v45, v37, v33 :: v_dual_mul_f32 v33, v36, v33
	v_fma_f32 v45, v36, v32, -v45
	s_delay_alu instid0(VALU_DEP_2) | instskip(NEXT) | instid1(VALU_DEP_2)
	v_dual_fmac_f32 v33, v37, v32 :: v_dual_mul_f32 v32, v37, v35
	v_add_f32_e32 v41, v41, v45
	s_delay_alu instid0(VALU_DEP_2) | instskip(NEXT) | instid1(VALU_DEP_1)
	v_dual_add_f32 v42, v42, v33 :: v_dual_mul_f32 v33, v36, v35
	v_dual_fma_f32 v32, v36, v34, -v32 :: v_dual_fmac_f32 v33, v37, v34
	s_delay_alu instid0(VALU_DEP_1) | instskip(SKIP_3) | instid1(VALU_DEP_1)
	v_dual_add_f32 v28, v28, v32 :: v_dual_add_f32 v30, v30, v33
	ds_load_2addr_b64 v[32:35], v5 offset0:160 offset1:176
	s_wait_dscnt 0x0
	v_mul_f32_e32 v36, v55, v33
	v_dual_fma_f32 v36, v54, v32, -v36 :: v_dual_mul_f32 v37, v54, v33
	s_delay_alu instid0(VALU_DEP_1) | instskip(NEXT) | instid1(VALU_DEP_2)
	v_add_f32_e32 v20, v20, v36
	v_fmac_f32_e32 v37, v55, v32
	s_delay_alu instid0(VALU_DEP_1) | instskip(NEXT) | instid1(VALU_DEP_1)
	v_dual_add_f32 v36, v43, v37 :: v_dual_mul_f32 v43, v54, v35
	v_dual_mul_f32 v37, v55, v35 :: v_dual_fmac_f32 v43, v55, v34
	s_delay_alu instid0(VALU_DEP_1) | instskip(SKIP_1) | instid1(VALU_DEP_1)
	v_dual_fma_f32 v37, v54, v34, -v37 :: v_dual_add_f32 v40, v40, v43
	v_mul_f32_e32 v43, v39, v33
	v_dual_add_f32 v37, v44, v37 :: v_dual_fma_f32 v43, v38, v32, -v43
	s_delay_alu instid0(VALU_DEP_1) | instskip(NEXT) | instid1(VALU_DEP_1)
	v_dual_mul_f32 v33, v38, v33 :: v_dual_add_f32 v41, v41, v43
	v_dual_fmac_f32 v33, v39, v32 :: v_dual_mul_f32 v32, v39, v35
	s_delay_alu instid0(VALU_DEP_1) | instskip(NEXT) | instid1(VALU_DEP_2)
	v_add_f32_e32 v46, v42, v33
	v_dual_fma_f32 v32, v38, v34, -v32 :: v_dual_mul_f32 v33, v38, v35
	ds_load_b128 v[42:45], v31 offset:1072
	v_dual_fmac_f32 v33, v39, v34 :: v_dual_add_f32 v28, v28, v32
	s_delay_alu instid0(VALU_DEP_1) | instskip(SKIP_3) | instid1(VALU_DEP_1)
	v_add_f32_e32 v30, v30, v33
	ds_load_2addr_b64 v[32:35], v5 offset0:192 offset1:208
	s_wait_dscnt 0x0
	v_dual_mul_f32 v38, v1, v33 :: v_dual_mul_f32 v39, v0, v33
	v_dual_fma_f32 v38, v0, v32, -v38 :: v_dual_fmac_f32 v39, v1, v32
	s_delay_alu instid0(VALU_DEP_1) | instskip(NEXT) | instid1(VALU_DEP_1)
	v_dual_add_f32 v20, v20, v38 :: v_dual_mul_f32 v38, v1, v35
	v_dual_fma_f32 v38, v0, v34, -v38 :: v_dual_mul_f32 v0, v0, v35
	s_delay_alu instid0(VALU_DEP_1) | instskip(NEXT) | instid1(VALU_DEP_2)
	v_dual_add_f32 v36, v36, v39 :: v_dual_fmac_f32 v0, v1, v34
	v_dual_add_f32 v1, v37, v38 :: v_dual_mul_f32 v37, v43, v33
	s_delay_alu instid0(VALU_DEP_2) | instskip(NEXT) | instid1(VALU_DEP_2)
	v_dual_mul_f32 v33, v42, v33 :: v_dual_add_f32 v0, v40, v0
	v_fma_f32 v37, v42, v32, -v37
	s_delay_alu instid0(VALU_DEP_1) | instskip(NEXT) | instid1(VALU_DEP_1)
	v_dual_fmac_f32 v33, v43, v32 :: v_dual_add_f32 v32, v41, v37
	v_dual_add_f32 v33, v46, v33 :: v_dual_mul_f32 v37, v43, v35
	ds_load_2addr_b64 v[46:49], v5 offset0:224 offset1:240
	v_mul_f32_e32 v35, v42, v35
	s_wait_dscnt 0x0
	s_barrier_signal -1
	v_fma_f32 v37, v42, v34, -v37
	s_barrier_wait -1
	v_fmac_f32_e32 v35, v43, v34
	s_delay_alu instid0(VALU_DEP_1) | instskip(SKIP_1) | instid1(VALU_DEP_1)
	v_dual_add_f32 v28, v28, v37 :: v_dual_add_f32 v30, v30, v35
	v_dual_mul_f32 v34, v3, v47 :: v_dual_mul_f32 v35, v2, v47
	v_dual_fma_f32 v34, v2, v46, -v34 :: v_dual_fmac_f32 v35, v3, v46
	s_delay_alu instid0(VALU_DEP_1) | instskip(NEXT) | instid1(VALU_DEP_1)
	v_dual_add_f32 v40, v20, v34 :: v_dual_mul_f32 v20, v3, v49
	v_dual_add_f32 v42, v36, v35 :: v_dual_fma_f32 v20, v2, v48, -v20
	s_delay_alu instid0(VALU_DEP_1) | instskip(NEXT) | instid1(VALU_DEP_1)
	v_dual_mul_f32 v2, v2, v49 :: v_dual_add_f32 v36, v1, v20
	v_dual_fmac_f32 v2, v3, v48 :: v_dual_mul_f32 v1, v44, v47
	s_delay_alu instid0(VALU_DEP_1) | instskip(NEXT) | instid1(VALU_DEP_2)
	v_fmac_f32_e32 v1, v45, v46
	v_dual_add_f32 v38, v0, v2 :: v_dual_mul_f32 v0, v45, v47
	s_delay_alu instid0(VALU_DEP_2) | instskip(NEXT) | instid1(VALU_DEP_2)
	v_add_f32_e32 v34, v33, v1
	v_dual_mul_f32 v1, v44, v49 :: v_dual_fma_f32 v0, v44, v46, -v0
	s_delay_alu instid0(VALU_DEP_1) | instskip(NEXT) | instid1(VALU_DEP_2)
	v_fmac_f32_e32 v1, v45, v48
	v_dual_add_f32 v32, v32, v0 :: v_dual_mul_f32 v0, v45, v49
	s_delay_alu instid0(VALU_DEP_1) | instskip(NEXT) | instid1(VALU_DEP_1)
	v_dual_add_f32 v30, v30, v1 :: v_dual_fma_f32 v0, v44, v48, -v0
	v_add_f32_e32 v28, v28, v0
	s_cbranch_vccz .LBB224_20
.LBB224_9:                              ;   Parent Loop BB224_6 Depth=1
                                        ; =>  This Inner Loop Header: Depth=2
	s_mov_b32 s35, 0
	s_mov_b32 s37, s14
	s_and_saveexec_b32 s36, s0
	s_cbranch_execnz .LBB224_17
; %bb.10:                               ;   in Loop: Header=BB224_9 Depth=2
	s_or_b32 exec_lo, exec_lo, s36
	s_and_saveexec_b32 s36, s37
	s_delay_alu instid0(SALU_CYCLE_1)
	s_xor_b32 s36, exec_lo, s36
	s_cbranch_execnz .LBB224_18
.LBB224_11:                             ;   in Loop: Header=BB224_9 Depth=2
	s_or_b32 exec_lo, exec_lo, s36
	v_mov_b32_e32 v0, 0
	s_and_saveexec_b32 s36, s35
	s_cbranch_execz .LBB224_13
.LBB224_12:                             ;   in Loop: Header=BB224_9 Depth=2
	v_lshl_add_u64 v[0:1], v[22:23], 3, v[24:25]
	global_load_b64 v[2:3], v[0:1], off
	s_wait_loadcnt 0x0
	s_wait_xcnt 0x0
	v_xor_b32_e32 v0, 0x80000000, v3
	ds_store_b32 v7, v2
.LBB224_13:                             ;   in Loop: Header=BB224_9 Depth=2
	s_or_b32 exec_lo, exec_lo, s36
	v_add_nc_u32_e32 v20, s12, v4
	ds_store_b32 v7, v0 offset:4
	v_cmp_le_u64_e32 vcc_lo, s[8:9], v[20:21]
	s_or_b32 s35, vcc_lo, s1
	s_delay_alu instid0(SALU_CYCLE_1) | instskip(NEXT) | instid1(SALU_CYCLE_1)
	s_and_saveexec_b32 s36, s35
	s_xor_b32 s35, exec_lo, s36
; %bb.14:                               ;   in Loop: Header=BB224_9 Depth=2
	ds_store_b32 v29, v21
; %bb.15:                               ;   in Loop: Header=BB224_9 Depth=2
	s_or_saveexec_b32 s35, s35
	v_mov_b32_e32 v0, 0
	s_xor_b32 exec_lo, exec_lo, s35
	s_cbranch_execz .LBB224_8
; %bb.16:                               ;   in Loop: Header=BB224_9 Depth=2
	v_mul_u64_e32 v[0:1], s[20:21], v[20:21]
	s_delay_alu instid0(VALU_DEP_1)
	v_lshl_add_u64 v[0:1], v[0:1], 3, v[26:27]
	global_load_b64 v[2:3], v[0:1], off
	s_wait_loadcnt 0x0
	s_wait_xcnt 0x0
	v_xor_b32_e32 v0, 0x80000000, v3
	ds_store_b32 v29, v2
	s_branch .LBB224_8
.LBB224_17:                             ;   in Loop: Header=BB224_9 Depth=2
	v_add_nc_u32_e32 v20, s12, v6
	s_and_not1_b32 s37, s14, exec_lo
	s_mov_b32 s35, exec_lo
	s_delay_alu instid0(VALU_DEP_1) | instskip(SKIP_2) | instid1(SALU_CYCLE_1)
	v_cmp_le_u64_e32 vcc_lo, s[8:9], v[20:21]
	v_mov_b64_e32 v[22:23], v[20:21]
	s_and_b32 s38, vcc_lo, exec_lo
	s_or_b32 s37, s37, s38
	s_or_b32 exec_lo, exec_lo, s36
	s_and_saveexec_b32 s36, s37
	s_delay_alu instid0(SALU_CYCLE_1)
	s_xor_b32 s36, exec_lo, s36
	s_cbranch_execz .LBB224_11
.LBB224_18:                             ;   in Loop: Header=BB224_9 Depth=2
	s_and_not1_b32 s35, s35, exec_lo
	ds_store_b32 v7, v21
	s_or_b32 exec_lo, exec_lo, s36
	v_mov_b32_e32 v0, 0
	s_and_saveexec_b32 s36, s35
	s_cbranch_execnz .LBB224_12
	s_branch .LBB224_13
.LBB224_19:                             ;   in Loop: Header=BB224_6 Depth=1
	v_dual_mov_b32 v40, v21 :: v_dual_mov_b32 v42, v21
	v_dual_mov_b32 v36, v21 :: v_dual_mov_b32 v38, v21
	;; [unrolled: 1-line block ×4, first 2 shown]
.LBB224_20:                             ;   in Loop: Header=BB224_6 Depth=1
	s_mul_u64 s[12:13], s[30:31], s[10:11]
	s_delay_alu instid0(SALU_CYCLE_1) | instskip(NEXT) | instid1(SALU_CYCLE_1)
	s_lshl_b64 s[12:13], s[12:13], 3
	s_add_nc_u64 s[12:13], s[26:27], s[12:13]
	s_delay_alu instid0(SALU_CYCLE_1)
	v_lshl_add_u64 v[0:1], v[12:13], 3, s[12:13]
	s_and_saveexec_b32 s35, s18
	s_cbranch_execz .LBB224_25
; %bb.21:                               ;   in Loop: Header=BB224_6 Depth=1
	v_mov_b64_e32 v[2:3], s[4:5]
	v_mov_b64_e32 v[24:25], s[24:25]
	s_and_b32 vcc_lo, exec_lo, s15
	s_mov_b32 s36, -1
	s_delay_alu instid0(VALU_DEP_2) | instskip(NEXT) | instid1(VALU_DEP_1)
	v_pk_mul_f32 v[2:3], v[42:43], v[2:3] op_sel_hi:[0,1]
	v_pk_fma_f32 v[26:27], v[40:41], v[24:25], v[2:3] op_sel_hi:[0,1,1]
	v_pk_fma_f32 v[2:3], v[40:41], v[24:25], v[2:3] neg_lo:[0,0,1] neg_hi:[0,0,1]
	v_lshl_add_u64 v[24:25], v[8:9], 3, v[0:1]
	s_delay_alu instid0(VALU_DEP_3)
	v_mov_b32_e32 v3, v27
	s_cbranch_vccz .LBB224_23
; %bb.22:                               ;   in Loop: Header=BB224_6 Depth=1
	global_load_b64 v[26:27], v[24:25], off
	v_mov_b64_e32 v[40:41], s[6:7]
	v_mov_b64_e32 v[42:43], s[2:3]
	s_mov_b32 s36, 0
	s_wait_loadcnt 0x0
	s_delay_alu instid0(VALU_DEP_2) | instskip(NEXT) | instid1(VALU_DEP_1)
	v_pk_mul_f32 v[40:41], v[26:27], v[40:41]
	v_pk_fma_f32 v[44:45], v[26:27], v[42:43], v[40:41] op_sel:[0,0,1] op_sel_hi:[1,1,0]
	v_pk_fma_f32 v[26:27], v[26:27], v[42:43], v[40:41] op_sel:[0,0,1] op_sel_hi:[1,1,0] neg_lo:[0,0,1] neg_hi:[0,0,1]
	s_delay_alu instid0(VALU_DEP_2) | instskip(NEXT) | instid1(VALU_DEP_1)
	v_mov_b32_e32 v27, v45
	v_pk_add_f32 v[26:27], v[2:3], v[26:27]
	global_store_b64 v[24:25], v[26:27], off
.LBB224_23:                             ;   in Loop: Header=BB224_6 Depth=1
	s_and_not1_b32 vcc_lo, exec_lo, s36
	s_cbranch_vccnz .LBB224_25
; %bb.24:                               ;   in Loop: Header=BB224_6 Depth=1
	global_store_b64 v[24:25], v[2:3], off
.LBB224_25:                             ;   in Loop: Header=BB224_6 Depth=1
	s_wait_xcnt 0x0
	s_or_b32 exec_lo, exec_lo, s35
	s_and_saveexec_b32 s35, s19
	s_cbranch_execz .LBB224_30
; %bb.26:                               ;   in Loop: Header=BB224_6 Depth=1
	v_mov_b64_e32 v[2:3], s[4:5]
	v_mov_b64_e32 v[24:25], s[24:25]
	v_lshl_add_u64 v[0:1], v[10:11], 3, v[0:1]
	s_and_not1_b32 vcc_lo, exec_lo, s15
	s_mov_b32 s36, -1
	s_delay_alu instid0(VALU_DEP_3) | instskip(NEXT) | instid1(VALU_DEP_1)
	v_pk_mul_f32 v[2:3], v[38:39], v[2:3] op_sel_hi:[0,1]
	v_pk_fma_f32 v[26:27], v[36:37], v[24:25], v[2:3] op_sel_hi:[0,1,1]
	v_pk_fma_f32 v[2:3], v[36:37], v[24:25], v[2:3] neg_lo:[0,0,1] neg_hi:[0,0,1]
	s_delay_alu instid0(VALU_DEP_2)
	v_mov_b32_e32 v3, v27
	s_cbranch_vccnz .LBB224_28
; %bb.27:                               ;   in Loop: Header=BB224_6 Depth=1
	global_load_b64 v[24:25], v[0:1], off
	v_mov_b64_e32 v[26:27], s[6:7]
	v_mov_b64_e32 v[36:37], s[2:3]
	s_mov_b32 s36, 0
	s_wait_loadcnt 0x0
	s_delay_alu instid0(VALU_DEP_2) | instskip(NEXT) | instid1(VALU_DEP_1)
	v_pk_mul_f32 v[26:27], v[24:25], v[26:27]
	v_pk_fma_f32 v[38:39], v[24:25], v[36:37], v[26:27] op_sel:[0,0,1] op_sel_hi:[1,1,0]
	v_pk_fma_f32 v[24:25], v[24:25], v[36:37], v[26:27] op_sel:[0,0,1] op_sel_hi:[1,1,0] neg_lo:[0,0,1] neg_hi:[0,0,1]
	s_delay_alu instid0(VALU_DEP_2) | instskip(NEXT) | instid1(VALU_DEP_1)
	v_mov_b32_e32 v25, v39
	v_pk_add_f32 v[24:25], v[2:3], v[24:25]
	global_store_b64 v[0:1], v[24:25], off
.LBB224_28:                             ;   in Loop: Header=BB224_6 Depth=1
	s_and_not1_b32 vcc_lo, exec_lo, s36
	s_cbranch_vccnz .LBB224_30
; %bb.29:                               ;   in Loop: Header=BB224_6 Depth=1
	global_store_b64 v[0:1], v[2:3], off
.LBB224_30:                             ;   in Loop: Header=BB224_6 Depth=1
	s_wait_xcnt 0x0
	s_or_b32 exec_lo, exec_lo, s35
	v_lshl_add_u64 v[0:1], v[14:15], 3, s[12:13]
	s_and_saveexec_b32 s12, s28
	s_cbranch_execz .LBB224_35
; %bb.31:                               ;   in Loop: Header=BB224_6 Depth=1
	v_mov_b64_e32 v[2:3], s[4:5]
	v_mov_b64_e32 v[24:25], s[24:25]
	s_and_not1_b32 vcc_lo, exec_lo, s15
	s_mov_b32 s13, -1
	s_delay_alu instid0(VALU_DEP_2) | instskip(NEXT) | instid1(VALU_DEP_1)
	v_pk_mul_f32 v[2:3], v[34:35], v[2:3] op_sel_hi:[0,1]
	v_pk_fma_f32 v[26:27], v[32:33], v[24:25], v[2:3] op_sel_hi:[0,1,1]
	v_pk_fma_f32 v[2:3], v[32:33], v[24:25], v[2:3] neg_lo:[0,0,1] neg_hi:[0,0,1]
	v_lshl_add_u64 v[24:25], v[8:9], 3, v[0:1]
	s_delay_alu instid0(VALU_DEP_3)
	v_mov_b32_e32 v3, v27
	s_cbranch_vccnz .LBB224_33
; %bb.32:                               ;   in Loop: Header=BB224_6 Depth=1
	global_load_b64 v[26:27], v[24:25], off
	v_mov_b64_e32 v[32:33], s[6:7]
	v_mov_b64_e32 v[34:35], s[2:3]
	s_mov_b32 s13, 0
	s_wait_loadcnt 0x0
	s_delay_alu instid0(VALU_DEP_2) | instskip(NEXT) | instid1(VALU_DEP_1)
	v_pk_mul_f32 v[32:33], v[26:27], v[32:33]
	v_pk_fma_f32 v[36:37], v[26:27], v[34:35], v[32:33] op_sel:[0,0,1] op_sel_hi:[1,1,0]
	v_pk_fma_f32 v[26:27], v[26:27], v[34:35], v[32:33] op_sel:[0,0,1] op_sel_hi:[1,1,0] neg_lo:[0,0,1] neg_hi:[0,0,1]
	s_delay_alu instid0(VALU_DEP_2) | instskip(NEXT) | instid1(VALU_DEP_1)
	v_mov_b32_e32 v27, v37
	v_pk_add_f32 v[26:27], v[2:3], v[26:27]
	global_store_b64 v[24:25], v[26:27], off
.LBB224_33:                             ;   in Loop: Header=BB224_6 Depth=1
	s_and_not1_b32 vcc_lo, exec_lo, s13
	s_cbranch_vccnz .LBB224_35
; %bb.34:                               ;   in Loop: Header=BB224_6 Depth=1
	global_store_b64 v[24:25], v[2:3], off
.LBB224_35:                             ;   in Loop: Header=BB224_6 Depth=1
	s_wait_xcnt 0x0
	s_or_b32 exec_lo, exec_lo, s12
	s_and_saveexec_b32 s12, s29
	s_cbranch_execz .LBB224_5
; %bb.36:                               ;   in Loop: Header=BB224_6 Depth=1
	v_mov_b64_e32 v[2:3], s[4:5]
	v_mov_b64_e32 v[24:25], s[24:25]
	v_lshl_add_u64 v[0:1], v[10:11], 3, v[0:1]
	s_and_not1_b32 vcc_lo, exec_lo, s15
	s_mov_b32 s13, -1
	s_delay_alu instid0(VALU_DEP_3) | instskip(NEXT) | instid1(VALU_DEP_1)
	v_pk_mul_f32 v[2:3], v[30:31], v[2:3] op_sel_hi:[0,1]
	v_pk_fma_f32 v[26:27], v[28:29], v[24:25], v[2:3] op_sel_hi:[0,1,1]
	v_pk_fma_f32 v[2:3], v[28:29], v[24:25], v[2:3] neg_lo:[0,0,1] neg_hi:[0,0,1]
	s_delay_alu instid0(VALU_DEP_2)
	v_mov_b32_e32 v3, v27
	s_cbranch_vccnz .LBB224_38
; %bb.37:                               ;   in Loop: Header=BB224_6 Depth=1
	global_load_b64 v[24:25], v[0:1], off
	v_mov_b64_e32 v[26:27], s[6:7]
	v_mov_b64_e32 v[32:33], s[2:3]
	s_mov_b32 s13, 0
	s_wait_loadcnt 0x0
	s_delay_alu instid0(VALU_DEP_2) | instskip(NEXT) | instid1(VALU_DEP_1)
	v_pk_mul_f32 v[26:27], v[24:25], v[26:27]
	v_pk_fma_f32 v[34:35], v[24:25], v[32:33], v[26:27] op_sel:[0,0,1] op_sel_hi:[1,1,0]
	v_pk_fma_f32 v[24:25], v[24:25], v[32:33], v[26:27] op_sel:[0,0,1] op_sel_hi:[1,1,0] neg_lo:[0,0,1] neg_hi:[0,0,1]
	s_delay_alu instid0(VALU_DEP_2) | instskip(NEXT) | instid1(VALU_DEP_1)
	v_mov_b32_e32 v25, v35
	v_pk_add_f32 v[24:25], v[2:3], v[24:25]
	global_store_b64 v[0:1], v[24:25], off
.LBB224_38:                             ;   in Loop: Header=BB224_6 Depth=1
	s_and_not1_b32 vcc_lo, exec_lo, s13
	s_cbranch_vccnz .LBB224_5
; %bb.39:                               ;   in Loop: Header=BB224_6 Depth=1
	global_store_b64 v[0:1], v[2:3], off
	s_branch .LBB224_5
.LBB224_40:
	s_endpgm
	.section	.rodata,"a",@progbits
	.p2align	6, 0x0
	.amdhsa_kernel _ZL29rocblas_internal_gemmt_kernelIlLi16ELi32ELi8ELc67ELc67ELc85ELb1ELb1E19rocblas_complex_numIfEPKS1_S3_PS1_EviT_T9_T10_S5_lS7_S5_lS6_T11_S5_li
		.amdhsa_group_segment_fixed_size 4096
		.amdhsa_private_segment_fixed_size 0
		.amdhsa_kernarg_size 108
		.amdhsa_user_sgpr_count 2
		.amdhsa_user_sgpr_dispatch_ptr 0
		.amdhsa_user_sgpr_queue_ptr 0
		.amdhsa_user_sgpr_kernarg_segment_ptr 1
		.amdhsa_user_sgpr_dispatch_id 0
		.amdhsa_user_sgpr_kernarg_preload_length 0
		.amdhsa_user_sgpr_kernarg_preload_offset 0
		.amdhsa_user_sgpr_private_segment_size 0
		.amdhsa_wavefront_size32 1
		.amdhsa_uses_dynamic_stack 0
		.amdhsa_enable_private_segment 0
		.amdhsa_system_sgpr_workgroup_id_x 1
		.amdhsa_system_sgpr_workgroup_id_y 1
		.amdhsa_system_sgpr_workgroup_id_z 1
		.amdhsa_system_sgpr_workgroup_info 0
		.amdhsa_system_vgpr_workitem_id 1
		.amdhsa_next_free_vgpr 60
		.amdhsa_next_free_sgpr 39
		.amdhsa_named_barrier_count 0
		.amdhsa_reserve_vcc 1
		.amdhsa_float_round_mode_32 0
		.amdhsa_float_round_mode_16_64 0
		.amdhsa_float_denorm_mode_32 3
		.amdhsa_float_denorm_mode_16_64 3
		.amdhsa_fp16_overflow 0
		.amdhsa_memory_ordered 1
		.amdhsa_forward_progress 1
		.amdhsa_inst_pref_size 26
		.amdhsa_round_robin_scheduling 0
		.amdhsa_exception_fp_ieee_invalid_op 0
		.amdhsa_exception_fp_denorm_src 0
		.amdhsa_exception_fp_ieee_div_zero 0
		.amdhsa_exception_fp_ieee_overflow 0
		.amdhsa_exception_fp_ieee_underflow 0
		.amdhsa_exception_fp_ieee_inexact 0
		.amdhsa_exception_int_div_zero 0
	.end_amdhsa_kernel
	.section	.text._ZL29rocblas_internal_gemmt_kernelIlLi16ELi32ELi8ELc67ELc67ELc85ELb1ELb1E19rocblas_complex_numIfEPKS1_S3_PS1_EviT_T9_T10_S5_lS7_S5_lS6_T11_S5_li,"axG",@progbits,_ZL29rocblas_internal_gemmt_kernelIlLi16ELi32ELi8ELc67ELc67ELc85ELb1ELb1E19rocblas_complex_numIfEPKS1_S3_PS1_EviT_T9_T10_S5_lS7_S5_lS6_T11_S5_li,comdat
.Lfunc_end224:
	.size	_ZL29rocblas_internal_gemmt_kernelIlLi16ELi32ELi8ELc67ELc67ELc85ELb1ELb1E19rocblas_complex_numIfEPKS1_S3_PS1_EviT_T9_T10_S5_lS7_S5_lS6_T11_S5_li, .Lfunc_end224-_ZL29rocblas_internal_gemmt_kernelIlLi16ELi32ELi8ELc67ELc67ELc85ELb1ELb1E19rocblas_complex_numIfEPKS1_S3_PS1_EviT_T9_T10_S5_lS7_S5_lS6_T11_S5_li
                                        ; -- End function
	.set _ZL29rocblas_internal_gemmt_kernelIlLi16ELi32ELi8ELc67ELc67ELc85ELb1ELb1E19rocblas_complex_numIfEPKS1_S3_PS1_EviT_T9_T10_S5_lS7_S5_lS6_T11_S5_li.num_vgpr, 60
	.set _ZL29rocblas_internal_gemmt_kernelIlLi16ELi32ELi8ELc67ELc67ELc85ELb1ELb1E19rocblas_complex_numIfEPKS1_S3_PS1_EviT_T9_T10_S5_lS7_S5_lS6_T11_S5_li.num_agpr, 0
	.set _ZL29rocblas_internal_gemmt_kernelIlLi16ELi32ELi8ELc67ELc67ELc85ELb1ELb1E19rocblas_complex_numIfEPKS1_S3_PS1_EviT_T9_T10_S5_lS7_S5_lS6_T11_S5_li.numbered_sgpr, 39
	.set _ZL29rocblas_internal_gemmt_kernelIlLi16ELi32ELi8ELc67ELc67ELc85ELb1ELb1E19rocblas_complex_numIfEPKS1_S3_PS1_EviT_T9_T10_S5_lS7_S5_lS6_T11_S5_li.num_named_barrier, 0
	.set _ZL29rocblas_internal_gemmt_kernelIlLi16ELi32ELi8ELc67ELc67ELc85ELb1ELb1E19rocblas_complex_numIfEPKS1_S3_PS1_EviT_T9_T10_S5_lS7_S5_lS6_T11_S5_li.private_seg_size, 0
	.set _ZL29rocblas_internal_gemmt_kernelIlLi16ELi32ELi8ELc67ELc67ELc85ELb1ELb1E19rocblas_complex_numIfEPKS1_S3_PS1_EviT_T9_T10_S5_lS7_S5_lS6_T11_S5_li.uses_vcc, 1
	.set _ZL29rocblas_internal_gemmt_kernelIlLi16ELi32ELi8ELc67ELc67ELc85ELb1ELb1E19rocblas_complex_numIfEPKS1_S3_PS1_EviT_T9_T10_S5_lS7_S5_lS6_T11_S5_li.uses_flat_scratch, 0
	.set _ZL29rocblas_internal_gemmt_kernelIlLi16ELi32ELi8ELc67ELc67ELc85ELb1ELb1E19rocblas_complex_numIfEPKS1_S3_PS1_EviT_T9_T10_S5_lS7_S5_lS6_T11_S5_li.has_dyn_sized_stack, 0
	.set _ZL29rocblas_internal_gemmt_kernelIlLi16ELi32ELi8ELc67ELc67ELc85ELb1ELb1E19rocblas_complex_numIfEPKS1_S3_PS1_EviT_T9_T10_S5_lS7_S5_lS6_T11_S5_li.has_recursion, 0
	.set _ZL29rocblas_internal_gemmt_kernelIlLi16ELi32ELi8ELc67ELc67ELc85ELb1ELb1E19rocblas_complex_numIfEPKS1_S3_PS1_EviT_T9_T10_S5_lS7_S5_lS6_T11_S5_li.has_indirect_call, 0
	.section	.AMDGPU.csdata,"",@progbits
; Kernel info:
; codeLenInByte = 3296
; TotalNumSgprs: 41
; NumVgprs: 60
; ScratchSize: 0
; MemoryBound: 0
; FloatMode: 240
; IeeeMode: 1
; LDSByteSize: 4096 bytes/workgroup (compile time only)
; SGPRBlocks: 0
; VGPRBlocks: 3
; NumSGPRsForWavesPerEU: 41
; NumVGPRsForWavesPerEU: 60
; NamedBarCnt: 0
; Occupancy: 16
; WaveLimiterHint : 0
; COMPUTE_PGM_RSRC2:SCRATCH_EN: 0
; COMPUTE_PGM_RSRC2:USER_SGPR: 2
; COMPUTE_PGM_RSRC2:TRAP_HANDLER: 0
; COMPUTE_PGM_RSRC2:TGID_X_EN: 1
; COMPUTE_PGM_RSRC2:TGID_Y_EN: 1
; COMPUTE_PGM_RSRC2:TGID_Z_EN: 1
; COMPUTE_PGM_RSRC2:TIDIG_COMP_CNT: 1
	.section	.text._ZL29rocblas_internal_gemmt_kernelIlLi16ELi32ELi8ELc78ELc78ELc76ELb0ELb0E19rocblas_complex_numIfEPKS1_S3_PS1_EviT_T9_T10_S5_lS7_S5_lS6_T11_S5_li,"axG",@progbits,_ZL29rocblas_internal_gemmt_kernelIlLi16ELi32ELi8ELc78ELc78ELc76ELb0ELb0E19rocblas_complex_numIfEPKS1_S3_PS1_EviT_T9_T10_S5_lS7_S5_lS6_T11_S5_li,comdat
	.globl	_ZL29rocblas_internal_gemmt_kernelIlLi16ELi32ELi8ELc78ELc78ELc76ELb0ELb0E19rocblas_complex_numIfEPKS1_S3_PS1_EviT_T9_T10_S5_lS7_S5_lS6_T11_S5_li ; -- Begin function _ZL29rocblas_internal_gemmt_kernelIlLi16ELi32ELi8ELc78ELc78ELc76ELb0ELb0E19rocblas_complex_numIfEPKS1_S3_PS1_EviT_T9_T10_S5_lS7_S5_lS6_T11_S5_li
	.p2align	8
	.type	_ZL29rocblas_internal_gemmt_kernelIlLi16ELi32ELi8ELc78ELc78ELc76ELb0ELb0E19rocblas_complex_numIfEPKS1_S3_PS1_EviT_T9_T10_S5_lS7_S5_lS6_T11_S5_li,@function
_ZL29rocblas_internal_gemmt_kernelIlLi16ELi32ELi8ELc78ELc78ELc76ELb0ELb0E19rocblas_complex_numIfEPKS1_S3_PS1_EviT_T9_T10_S5_lS7_S5_lS6_T11_S5_li: ; @_ZL29rocblas_internal_gemmt_kernelIlLi16ELi32ELi8ELc78ELc78ELc76ELb0ELb0E19rocblas_complex_numIfEPKS1_S3_PS1_EviT_T9_T10_S5_lS7_S5_lS6_T11_S5_li
; %bb.0:
	s_load_b256 s[24:31], s[0:1], 0x48
	s_wait_kmcnt 0x0
	s_load_b64 s[6:7], s[24:25], 0x0
	s_load_b512 s[8:23], s[0:1], 0x8
	s_wait_kmcnt 0x0
	s_cmp_neq_f32 s6, 1.0
	s_load_b64 s[24:25], s[10:11], 0x0
	s_cselect_b32 s2, -1, 0
	s_and_b32 s4, s7, 0x7fffffff
	s_delay_alu instid0(SALU_CYCLE_1) | instskip(SKIP_3) | instid1(SALU_CYCLE_1)
	s_cmp_eq_u32 s4, 0
	s_cselect_b32 s3, -1, 0
	s_cmp_lg_u32 s4, 0
	s_cselect_b32 s4, -1, 0
	s_or_b32 s2, s2, s4
	s_delay_alu instid0(SALU_CYCLE_1)
	s_and_b32 vcc_lo, exec_lo, s2
	s_cbranch_vccnz .LBB225_2
; %bb.1:
	s_cmp_lg_u64 s[8:9], 0
	s_cselect_b32 s2, -1, 0
	s_wait_kmcnt 0x0
	s_cmp_neq_f32 s24, 0
	s_cselect_b32 s4, -1, 0
	s_cmp_neq_f32 s25, 0
	s_cselect_b32 s5, -1, 0
	s_delay_alu instid0(SALU_CYCLE_1) | instskip(NEXT) | instid1(SALU_CYCLE_1)
	s_or_b32 s4, s4, s5
	s_and_b32 s2, s2, s4
.LBB225_2:
	s_delay_alu instid0(SALU_CYCLE_1)
	s_and_not1_b32 vcc_lo, exec_lo, s2
	s_cbranch_vccnz .LBB225_35
; %bb.3:
	s_load_b32 s33, s[0:1], 0x68
	s_bfe_u32 s2, ttmp6, 0x40014
	s_lshr_b32 s4, ttmp7, 16
	s_add_co_i32 s2, s2, 1
	s_wait_xcnt 0x0
	s_bfe_u32 s10, ttmp6, 0x40008
	s_mul_i32 s5, s4, s2
	s_getreg_b32 s2, hwreg(HW_REG_IB_STS2, 6, 4)
	s_add_co_i32 s10, s10, s5
	s_cmp_eq_u32 s2, 0
	s_mov_b32 s11, 0
	s_cselect_b32 s10, s4, s10
	s_wait_kmcnt 0x0
	s_cmp_ge_u32 s10, s33
	s_cbranch_scc1 .LBB225_35
; %bb.4:
	v_and_b32_e32 v7, 0x3ff, v0
	v_bfe_u32 v9, v0, 10, 10
	s_bfe_u32 s4, ttmp6, 0x4000c
	s_bfe_u32 s34, ttmp6, 0x40010
	s_add_co_i32 s4, s4, 1
	s_and_b32 s35, ttmp7, 0xffff
	s_add_co_i32 s34, s34, 1
	v_lshl_add_u32 v8, v9, 4, v7
	s_and_b32 s5, ttmp6, 15
	s_mul_i32 s4, ttmp9, s4
	s_mul_i32 s34, s35, s34
	s_bfe_u32 s36, ttmp6, 0x40004
	s_add_co_i32 s5, s5, s4
	s_add_co_i32 s36, s36, s34
	s_cmp_eq_u32 s2, 0
	v_lshrrev_b32_e32 v10, 3, v8
	s_cselect_b32 s2, s35, s36
	s_cselect_b32 s4, ttmp9, s5
	s_lshl_b32 s2, s2, 5
	s_delay_alu instid0(VALU_DEP_1) | instid1(SALU_CYCLE_1)
	v_dual_add_nc_u32 v2, s2, v10 :: v_dual_bitop2_b32 v4, 7, v0 bitop3:0x40
	s_load_b32 s5, s[0:1], 0x0
	s_wait_xcnt 0x0
	s_lshl_b32 s0, s4, 5
	v_lshrrev_b32_e32 v6, 5, v8
	v_dual_lshlrev_b32 v11, 3, v4 :: v_dual_lshlrev_b32 v5, 3, v7
	v_dual_ashrrev_i32 v3, 31, v2 :: v_dual_add_nc_u32 v20, s2, v9
	s_cmp_neq_f32 s24, 0
	s_delay_alu instid0(VALU_DEP_2) | instskip(SKIP_1) | instid1(VALU_DEP_3)
	v_lshl_or_b32 v11, v10, 6, v11
	v_cmp_gt_i64_e64 s34, s[8:9], 0
	v_mul_u64_e32 v[0:1], s[20:21], v[2:3]
	v_dual_add_nc_u32 v8, s0, v7 :: v_dual_bitop2_b32 v3, 31, v8 bitop3:0x40
	v_dual_add_nc_u32 v22, 16, v20 :: v_dual_ashrrev_i32 v21, 31, v20
	s_cselect_b32 s2, -1, 0
	s_cmp_neq_f32 s25, 0
	s_delay_alu instid0(VALU_DEP_1) | instskip(NEXT) | instid1(VALU_DEP_2)
	v_dual_add_nc_u32 v10, 16, v8 :: v_dual_ashrrev_i32 v23, 31, v22
	v_mul_u64_e32 v[12:13], s[28:29], v[20:21]
	s_cselect_b32 s4, -1, 0
	v_dual_lshlrev_b32 v3, 3, v3 :: v_dual_bitop2_b32 v16, s0, v3 bitop3:0x54
	s_delay_alu instid0(VALU_DEP_3)
	v_mul_u64_e32 v[14:15], s[28:29], v[22:23]
	s_or_b32 s29, s2, s4
	s_cmp_neq_f32 s6, 0
	v_cmp_le_i32_e32 vcc_lo, v20, v8
	s_wait_kmcnt 0x0
	v_cmp_gt_i32_e64 s2, s5, v8
	v_ashrrev_i32_e32 v17, 31, v16
	s_cselect_b32 s4, -1, 0
	s_xor_b32 s3, s3, -1
	v_cmp_gt_i32_e64 s0, s5, v16
	v_cmp_gt_i32_e64 s1, s5, v2
	v_lshl_or_b32 v7, v6, 8, v3
	v_add_nc_u32_e32 v27, 0x800, v11
	v_lshl_add_u32 v29, v9, 6, 0x800
	v_dual_ashrrev_i32 v9, 31, v8 :: v_dual_mov_b32 v21, 0
	v_ashrrev_i32_e32 v11, 31, v10
	v_lshl_add_u64 v[16:17], v[16:17], 3, s[12:13]
	s_and_b32 s29, s29, s34
	v_lshl_add_u64 v[18:19], v[0:1], 3, s[18:19]
	s_or_b32 s18, s4, s3
	v_cmp_le_i32_e64 s3, v20, v10
	v_cmp_gt_i32_e64 s4, s5, v10
	s_and_b32 s19, vcc_lo, s2
	v_cmp_le_i32_e32 vcc_lo, v22, v8
	v_cmp_le_i32_e64 s5, v22, v10
	s_and_b32 s20, s3, s4
	s_mov_b32 s3, s6
	s_and_b32 s21, vcc_lo, s2
	s_and_b32 s28, s5, s4
	s_mov_b32 s2, s6
	s_mov_b32 s6, s7
	;; [unrolled: 1-line block ×4, first 2 shown]
	s_branch .LBB225_6
.LBB225_5:                              ;   in Loop: Header=BB225_6 Depth=1
	s_wait_xcnt 0x0
	s_or_b32 exec_lo, exec_lo, s12
	s_add_co_i32 s10, s10, 0x10000
	s_delay_alu instid0(SALU_CYCLE_1)
	s_cmp_lt_u32 s10, s33
	s_cbranch_scc0 .LBB225_35
.LBB225_6:                              ; =>This Loop Header: Depth=1
                                        ;     Child Loop BB225_9 Depth 2
	v_dual_mov_b32 v38, v21 :: v_dual_mov_b32 v40, v21
	v_dual_mov_b32 v34, v21 :: v_dual_mov_b32 v36, v21
	;; [unrolled: 1-line block ×4, first 2 shown]
	s_and_not1_b32 vcc_lo, exec_lo, s29
	s_cbranch_vccnz .LBB225_15
; %bb.7:                                ;   in Loop: Header=BB225_6 Depth=1
	s_mul_u64 s[12:13], s[16:17], s[10:11]
	s_mul_u64 s[34:35], s[22:23], s[10:11]
	v_lshl_add_u64 v[22:23], s[12:13], 3, v[16:17]
	v_lshl_add_u64 v[24:25], s[34:35], 3, v[18:19]
	v_dual_mov_b32 v28, 0 :: v_dual_mov_b32 v26, 0
	v_dual_mov_b32 v32, 0 :: v_dual_mov_b32 v30, 0
	v_dual_mov_b32 v36, 0 :: v_dual_mov_b32 v34, 0
	v_dual_mov_b32 v40, 0 :: v_dual_mov_b32 v38, 0
	s_mov_b64 s[12:13], 0
	s_branch .LBB225_9
.LBB225_8:                              ;   in Loop: Header=BB225_9 Depth=2
	s_wait_xcnt 0x0
	s_or_b32 exec_lo, exec_lo, s34
	s_wait_loadcnt 0x0
	ds_store_b64 v27, v[2:3]
	s_wait_dscnt 0x0
	s_barrier_signal -1
	s_barrier_wait -1
	ds_load_b128 v[42:45], v29
	ds_load_b128 v[46:49], v29 offset:16
	ds_load_b128 v[50:53], v29 offset:32
	;; [unrolled: 1-line block ×3, first 2 shown]
	ds_load_2addr_b64 v[54:57], v5 offset1:16
	s_add_nc_u64 s[12:13], s[12:13], 8
	s_delay_alu instid0(SALU_CYCLE_1) | instskip(SKIP_3) | instid1(VALU_DEP_1)
	v_cmp_gt_i64_e64 s34, s[8:9], s[12:13]
	s_and_b32 vcc_lo, exec_lo, s34
	s_wait_dscnt 0x0
	v_dual_mul_f32 v20, v43, v55 :: v_dual_mul_f32 v31, v42, v55
	v_dual_mul_f32 v33, v42, v57 :: v_dual_fma_f32 v20, v42, v54, -v20
	s_delay_alu instid0(VALU_DEP_1) | instskip(NEXT) | instid1(VALU_DEP_1)
	v_dual_fmac_f32 v31, v43, v54 :: v_dual_fmac_f32 v33, v43, v56
	v_dual_add_f32 v20, v38, v20 :: v_dual_add_f32 v38, v40, v31
	v_mul_f32_e32 v31, v43, v57
	s_delay_alu instid0(VALU_DEP_1) | instskip(NEXT) | instid1(VALU_DEP_1)
	v_dual_add_f32 v40, v36, v33 :: v_dual_fma_f32 v31, v42, v56, -v31
	v_add_f32_e32 v39, v34, v31
	ds_load_b128 v[34:37], v29 offset:1024
	s_wait_dscnt 0x0
	v_dual_mul_f32 v31, v35, v55 :: v_dual_mul_f32 v33, v34, v55
	s_delay_alu instid0(VALU_DEP_1) | instskip(NEXT) | instid1(VALU_DEP_1)
	v_dual_fma_f32 v31, v34, v54, -v31 :: v_dual_fmac_f32 v33, v35, v54
	v_dual_add_f32 v41, v30, v31 :: v_dual_add_f32 v42, v32, v33
	v_dual_mul_f32 v30, v35, v57 :: v_dual_mul_f32 v31, v34, v57
	s_delay_alu instid0(VALU_DEP_1) | instskip(NEXT) | instid1(VALU_DEP_1)
	v_dual_fma_f32 v30, v34, v56, -v30 :: v_dual_fmac_f32 v31, v35, v56
	v_dual_add_f32 v26, v26, v30 :: v_dual_add_f32 v28, v28, v31
	ds_load_2addr_b64 v[30:33], v5 offset0:32 offset1:48
	s_wait_dscnt 0x0
	v_dual_mul_f32 v34, v45, v31 :: v_dual_mul_f32 v35, v44, v31
	s_delay_alu instid0(VALU_DEP_1) | instskip(NEXT) | instid1(VALU_DEP_1)
	v_dual_fma_f32 v34, v44, v30, -v34 :: v_dual_fmac_f32 v35, v45, v30
	v_dual_add_f32 v20, v20, v34 :: v_dual_add_f32 v34, v38, v35
	v_dual_mul_f32 v35, v45, v33 :: v_dual_mul_f32 v38, v44, v33
	s_delay_alu instid0(VALU_DEP_1) | instskip(NEXT) | instid1(VALU_DEP_1)
	v_dual_fma_f32 v35, v44, v32, -v35 :: v_dual_fmac_f32 v38, v45, v32
	v_dual_add_f32 v35, v39, v35 :: v_dual_add_f32 v38, v40, v38
	v_dual_mul_f32 v39, v37, v31 :: v_dual_mul_f32 v31, v36, v31
	s_delay_alu instid0(VALU_DEP_1) | instskip(NEXT) | instid1(VALU_DEP_2)
	v_fmac_f32_e32 v31, v37, v30
	v_dual_fma_f32 v39, v36, v30, -v39 :: v_dual_mul_f32 v30, v37, v33
	s_delay_alu instid0(VALU_DEP_2) | instskip(NEXT) | instid1(VALU_DEP_2)
	v_add_f32_e32 v40, v42, v31
	v_dual_add_f32 v39, v41, v39 :: v_dual_fma_f32 v30, v36, v32, -v30
	s_delay_alu instid0(VALU_DEP_1) | instskip(NEXT) | instid1(VALU_DEP_1)
	v_dual_mul_f32 v31, v36, v33 :: v_dual_add_f32 v26, v26, v30
	v_fmac_f32_e32 v31, v37, v32
	s_delay_alu instid0(VALU_DEP_1) | instskip(SKIP_3) | instid1(VALU_DEP_1)
	v_add_f32_e32 v28, v28, v31
	ds_load_2addr_b64 v[30:33], v5 offset0:64 offset1:80
	s_wait_dscnt 0x0
	v_mul_f32_e32 v36, v47, v31
	v_dual_fma_f32 v36, v46, v30, -v36 :: v_dual_mul_f32 v37, v46, v31
	s_delay_alu instid0(VALU_DEP_1) | instskip(SKIP_1) | instid1(VALU_DEP_2)
	v_dual_add_f32 v20, v20, v36 :: v_dual_fmac_f32 v37, v47, v30
	v_mul_f32_e32 v36, v46, v33
	v_add_f32_e32 v41, v34, v37
	v_mul_f32_e32 v34, v47, v33
	s_delay_alu instid0(VALU_DEP_1) | instskip(NEXT) | instid1(VALU_DEP_1)
	v_fma_f32 v34, v46, v32, -v34
	v_add_f32_e32 v42, v35, v34
	v_fmac_f32_e32 v36, v47, v32
	s_delay_alu instid0(VALU_DEP_1) | instskip(SKIP_3) | instid1(VALU_DEP_1)
	v_add_f32_e32 v38, v38, v36
	ds_load_b128 v[34:37], v29 offset:1040
	s_wait_dscnt 0x0
	v_dual_mul_f32 v43, v35, v31 :: v_dual_mul_f32 v31, v34, v31
	v_fma_f32 v43, v34, v30, -v43
	s_delay_alu instid0(VALU_DEP_2) | instskip(NEXT) | instid1(VALU_DEP_2)
	v_dual_fmac_f32 v31, v35, v30 :: v_dual_mul_f32 v30, v35, v33
	v_add_f32_e32 v39, v39, v43
	s_delay_alu instid0(VALU_DEP_2) | instskip(NEXT) | instid1(VALU_DEP_1)
	v_dual_add_f32 v40, v40, v31 :: v_dual_mul_f32 v31, v34, v33
	v_dual_fma_f32 v30, v34, v32, -v30 :: v_dual_fmac_f32 v31, v35, v32
	s_delay_alu instid0(VALU_DEP_1) | instskip(SKIP_3) | instid1(VALU_DEP_1)
	v_dual_add_f32 v26, v26, v30 :: v_dual_add_f32 v28, v28, v31
	ds_load_2addr_b64 v[30:33], v5 offset0:96 offset1:112
	s_wait_dscnt 0x0
	v_dual_mul_f32 v34, v49, v31 :: v_dual_mul_f32 v35, v48, v31
	v_dual_fma_f32 v34, v48, v30, -v34 :: v_dual_fmac_f32 v35, v49, v30
	s_delay_alu instid0(VALU_DEP_1) | instskip(SKIP_1) | instid1(VALU_DEP_1)
	v_dual_add_f32 v20, v20, v34 :: v_dual_add_f32 v34, v41, v35
	v_mul_f32_e32 v41, v48, v33
	v_fmac_f32_e32 v41, v49, v32
	s_delay_alu instid0(VALU_DEP_1) | instskip(SKIP_1) | instid1(VALU_DEP_2)
	v_dual_add_f32 v38, v38, v41 :: v_dual_mul_f32 v41, v37, v31
	v_dual_mul_f32 v35, v49, v33 :: v_dual_mul_f32 v31, v36, v31
	v_fma_f32 v41, v36, v30, -v41
	s_delay_alu instid0(VALU_DEP_2) | instskip(NEXT) | instid1(VALU_DEP_3)
	v_fma_f32 v35, v48, v32, -v35
	v_dual_fmac_f32 v31, v37, v30 :: v_dual_mul_f32 v30, v37, v33
	s_delay_alu instid0(VALU_DEP_2) | instskip(NEXT) | instid1(VALU_DEP_2)
	v_dual_add_f32 v39, v39, v41 :: v_dual_add_f32 v35, v42, v35
	v_add_f32_e32 v40, v40, v31
	s_delay_alu instid0(VALU_DEP_3) | instskip(NEXT) | instid1(VALU_DEP_1)
	v_dual_fma_f32 v30, v36, v32, -v30 :: v_dual_mul_f32 v31, v36, v33
	v_dual_fmac_f32 v31, v37, v32 :: v_dual_add_f32 v26, v26, v30
	s_delay_alu instid0(VALU_DEP_1) | instskip(SKIP_3) | instid1(VALU_DEP_1)
	v_add_f32_e32 v28, v28, v31
	ds_load_2addr_b64 v[30:33], v5 offset0:128 offset1:144
	s_wait_dscnt 0x0
	v_dual_mul_f32 v36, v51, v31 :: v_dual_mul_f32 v37, v50, v31
	v_dual_fma_f32 v36, v50, v30, -v36 :: v_dual_fmac_f32 v37, v51, v30
	s_delay_alu instid0(VALU_DEP_1) | instskip(SKIP_1) | instid1(VALU_DEP_1)
	v_dual_add_f32 v20, v20, v36 :: v_dual_add_f32 v41, v34, v37
	v_dual_mul_f32 v34, v51, v33 :: v_dual_mul_f32 v36, v50, v33
	v_dual_fma_f32 v34, v50, v32, -v34 :: v_dual_fmac_f32 v36, v51, v32
	s_delay_alu instid0(VALU_DEP_1) | instskip(SKIP_3) | instid1(VALU_DEP_1)
	v_dual_add_f32 v42, v35, v34 :: v_dual_add_f32 v38, v38, v36
	ds_load_b128 v[34:37], v29 offset:1056
	s_wait_dscnt 0x0
	v_dual_mul_f32 v43, v35, v31 :: v_dual_mul_f32 v31, v34, v31
	v_fmac_f32_e32 v31, v35, v30
	s_delay_alu instid0(VALU_DEP_2) | instskip(NEXT) | instid1(VALU_DEP_2)
	v_dual_fma_f32 v43, v34, v30, -v43 :: v_dual_mul_f32 v30, v35, v33
	v_dual_add_f32 v40, v40, v31 :: v_dual_mul_f32 v31, v34, v33
	s_delay_alu instid0(VALU_DEP_2) | instskip(NEXT) | instid1(VALU_DEP_1)
	v_dual_add_f32 v39, v39, v43 :: v_dual_fma_f32 v30, v34, v32, -v30
	v_dual_fmac_f32 v31, v35, v32 :: v_dual_add_f32 v26, v26, v30
	s_delay_alu instid0(VALU_DEP_1) | instskip(SKIP_3) | instid1(VALU_DEP_1)
	v_add_f32_e32 v28, v28, v31
	ds_load_2addr_b64 v[30:33], v5 offset0:160 offset1:176
	s_wait_dscnt 0x0
	v_dual_mul_f32 v34, v53, v31 :: v_dual_mul_f32 v35, v52, v31
	v_dual_fma_f32 v34, v52, v30, -v34 :: v_dual_fmac_f32 v35, v53, v30
	s_delay_alu instid0(VALU_DEP_1) | instskip(SKIP_1) | instid1(VALU_DEP_1)
	v_dual_add_f32 v20, v20, v34 :: v_dual_add_f32 v34, v41, v35
	v_mul_f32_e32 v41, v52, v33
	v_fmac_f32_e32 v41, v53, v32
	s_delay_alu instid0(VALU_DEP_1) | instskip(SKIP_1) | instid1(VALU_DEP_2)
	v_dual_add_f32 v38, v38, v41 :: v_dual_mul_f32 v41, v37, v31
	v_dual_mul_f32 v35, v53, v33 :: v_dual_mul_f32 v31, v36, v31
	v_fma_f32 v41, v36, v30, -v41
	s_delay_alu instid0(VALU_DEP_2) | instskip(NEXT) | instid1(VALU_DEP_3)
	v_fma_f32 v35, v52, v32, -v35
	v_dual_fmac_f32 v31, v37, v30 :: v_dual_mul_f32 v30, v37, v33
	s_delay_alu instid0(VALU_DEP_2) | instskip(NEXT) | instid1(VALU_DEP_2)
	v_dual_add_f32 v39, v39, v41 :: v_dual_add_f32 v35, v42, v35
	v_add_f32_e32 v44, v40, v31
	s_delay_alu instid0(VALU_DEP_3) | instskip(SKIP_2) | instid1(VALU_DEP_1)
	v_dual_fma_f32 v30, v36, v32, -v30 :: v_dual_mul_f32 v31, v36, v33
	ds_load_b128 v[40:43], v29 offset:1072
	v_dual_fmac_f32 v31, v37, v32 :: v_dual_add_f32 v26, v26, v30
	v_add_f32_e32 v28, v28, v31
	ds_load_2addr_b64 v[30:33], v5 offset0:192 offset1:208
	s_wait_dscnt 0x0
	v_dual_mul_f32 v36, v1, v31 :: v_dual_mul_f32 v37, v0, v31
	s_delay_alu instid0(VALU_DEP_1) | instskip(NEXT) | instid1(VALU_DEP_1)
	v_dual_fma_f32 v36, v0, v30, -v36 :: v_dual_fmac_f32 v37, v1, v30
	v_dual_add_f32 v20, v20, v36 :: v_dual_add_f32 v34, v34, v37
	v_mul_f32_e32 v36, v1, v33
	s_delay_alu instid0(VALU_DEP_1) | instskip(NEXT) | instid1(VALU_DEP_1)
	v_dual_fma_f32 v36, v0, v32, -v36 :: v_dual_mul_f32 v0, v0, v33
	v_fmac_f32_e32 v0, v1, v32
	s_delay_alu instid0(VALU_DEP_2) | instskip(NEXT) | instid1(VALU_DEP_1)
	v_dual_add_f32 v1, v35, v36 :: v_dual_mul_f32 v35, v41, v31
	v_dual_mul_f32 v31, v40, v31 :: v_dual_fma_f32 v35, v40, v30, -v35
	s_delay_alu instid0(VALU_DEP_1) | instskip(NEXT) | instid1(VALU_DEP_2)
	v_dual_add_f32 v0, v38, v0 :: v_dual_fmac_f32 v31, v41, v30
	v_dual_add_f32 v30, v39, v35 :: v_dual_mul_f32 v35, v41, v33
	v_mul_f32_e32 v33, v40, v33
	s_delay_alu instid0(VALU_DEP_3)
	v_add_f32_e32 v31, v44, v31
	ds_load_2addr_b64 v[44:47], v5 offset0:224 offset1:240
	s_wait_dscnt 0x0
	v_dual_fma_f32 v35, v40, v32, -v35 :: v_dual_fmac_f32 v33, v41, v32
	s_barrier_signal -1
	s_barrier_wait -1
	s_delay_alu instid0(VALU_DEP_1) | instskip(SKIP_1) | instid1(VALU_DEP_1)
	v_dual_add_f32 v26, v26, v35 :: v_dual_add_f32 v28, v28, v33
	v_dual_mul_f32 v32, v3, v45 :: v_dual_mul_f32 v33, v2, v45
	v_dual_fma_f32 v32, v2, v44, -v32 :: v_dual_fmac_f32 v33, v3, v44
	s_delay_alu instid0(VALU_DEP_1) | instskip(SKIP_1) | instid1(VALU_DEP_1)
	v_dual_add_f32 v38, v20, v32 :: v_dual_add_f32 v40, v34, v33
	v_mul_f32_e32 v20, v3, v47
	v_dual_fma_f32 v20, v2, v46, -v20 :: v_dual_mul_f32 v2, v2, v47
	s_delay_alu instid0(VALU_DEP_1) | instskip(NEXT) | instid1(VALU_DEP_1)
	v_dual_fmac_f32 v2, v3, v46 :: v_dual_add_f32 v34, v1, v20
	v_dual_mul_f32 v1, v42, v45 :: v_dual_add_f32 v36, v0, v2
	s_delay_alu instid0(VALU_DEP_1) | instskip(NEXT) | instid1(VALU_DEP_1)
	v_dual_mul_f32 v0, v43, v45 :: v_dual_fmac_f32 v1, v43, v44
	v_dual_fma_f32 v0, v42, v44, -v0 :: v_dual_add_f32 v32, v31, v1
	v_mul_f32_e32 v1, v42, v47
	s_delay_alu instid0(VALU_DEP_2) | instskip(NEXT) | instid1(VALU_DEP_1)
	v_dual_add_f32 v30, v30, v0 :: v_dual_mul_f32 v0, v43, v47
	v_dual_fmac_f32 v1, v43, v46 :: v_dual_fma_f32 v0, v42, v46, -v0
	s_delay_alu instid0(VALU_DEP_1)
	v_dual_add_f32 v28, v28, v1 :: v_dual_add_f32 v26, v26, v0
	s_cbranch_vccz .LBB225_15
.LBB225_9:                              ;   Parent Loop BB225_6 Depth=1
                                        ; =>  This Inner Loop Header: Depth=2
	v_dual_mov_b32 v0, 0 :: v_dual_mov_b32 v1, 0
	s_and_saveexec_b32 s34, s0
	s_cbranch_execz .LBB225_13
; %bb.10:                               ;   in Loop: Header=BB225_9 Depth=2
	v_dual_mov_b32 v1, 0 :: v_dual_add_nc_u32 v20, s12, v6
	v_mov_b32_e32 v0, 0
	s_mov_b32 s35, exec_lo
	s_delay_alu instid0(VALU_DEP_2)
	v_cmpx_gt_u64_e64 s[8:9], v[20:21]
	s_cbranch_execz .LBB225_12
; %bb.11:                               ;   in Loop: Header=BB225_9 Depth=2
	v_mul_u64_e32 v[0:1], s[14:15], v[20:21]
	s_delay_alu instid0(VALU_DEP_1)
	v_lshl_add_u64 v[0:1], v[0:1], 3, v[22:23]
	global_load_b64 v[0:1], v[0:1], off
.LBB225_12:                             ;   in Loop: Header=BB225_9 Depth=2
	s_wait_xcnt 0x0
	s_or_b32 exec_lo, exec_lo, s35
.LBB225_13:                             ;   in Loop: Header=BB225_9 Depth=2
	s_delay_alu instid0(SALU_CYCLE_1)
	s_or_b32 exec_lo, exec_lo, s34
	v_dual_add_nc_u32 v20, s12, v4 :: v_dual_mov_b32 v2, 0
	v_mov_b32_e32 v3, 0
	s_wait_loadcnt 0x0
	ds_store_b64 v7, v[0:1]
	v_cmp_gt_u64_e32 vcc_lo, s[8:9], v[20:21]
	s_and_b32 s35, vcc_lo, s1
	s_delay_alu instid0(SALU_CYCLE_1)
	s_and_saveexec_b32 s34, s35
	s_cbranch_execz .LBB225_8
; %bb.14:                               ;   in Loop: Header=BB225_9 Depth=2
	v_lshl_add_u64 v[0:1], v[20:21], 3, v[24:25]
	global_load_b64 v[2:3], v[0:1], off
	s_branch .LBB225_8
.LBB225_15:                             ;   in Loop: Header=BB225_6 Depth=1
	s_mul_u64 s[12:13], s[30:31], s[10:11]
	s_delay_alu instid0(SALU_CYCLE_1) | instskip(NEXT) | instid1(SALU_CYCLE_1)
	s_lshl_b64 s[12:13], s[12:13], 3
	s_add_nc_u64 s[12:13], s[26:27], s[12:13]
	s_delay_alu instid0(SALU_CYCLE_1)
	v_lshl_add_u64 v[0:1], v[12:13], 3, s[12:13]
	s_and_saveexec_b32 s34, s19
	s_cbranch_execz .LBB225_20
; %bb.16:                               ;   in Loop: Header=BB225_6 Depth=1
	v_mov_b64_e32 v[2:3], s[4:5]
	v_mov_b64_e32 v[22:23], s[24:25]
	s_and_b32 vcc_lo, exec_lo, s18
	s_mov_b32 s35, -1
	s_delay_alu instid0(VALU_DEP_2) | instskip(NEXT) | instid1(VALU_DEP_1)
	v_pk_mul_f32 v[2:3], v[40:41], v[2:3] op_sel_hi:[0,1]
	v_pk_fma_f32 v[24:25], v[38:39], v[22:23], v[2:3] op_sel_hi:[0,1,1]
	v_pk_fma_f32 v[2:3], v[38:39], v[22:23], v[2:3] neg_lo:[0,0,1] neg_hi:[0,0,1]
	v_lshl_add_u64 v[22:23], v[8:9], 3, v[0:1]
	s_delay_alu instid0(VALU_DEP_3)
	v_mov_b32_e32 v3, v25
	s_cbranch_vccz .LBB225_18
; %bb.17:                               ;   in Loop: Header=BB225_6 Depth=1
	global_load_b64 v[24:25], v[22:23], off
	v_mov_b64_e32 v[38:39], s[6:7]
	v_mov_b64_e32 v[40:41], s[2:3]
	s_mov_b32 s35, 0
	s_wait_loadcnt 0x0
	s_delay_alu instid0(VALU_DEP_2) | instskip(NEXT) | instid1(VALU_DEP_1)
	v_pk_mul_f32 v[38:39], v[24:25], v[38:39]
	v_pk_fma_f32 v[42:43], v[24:25], v[40:41], v[38:39] op_sel:[0,0,1] op_sel_hi:[1,1,0]
	v_pk_fma_f32 v[24:25], v[24:25], v[40:41], v[38:39] op_sel:[0,0,1] op_sel_hi:[1,1,0] neg_lo:[0,0,1] neg_hi:[0,0,1]
	s_delay_alu instid0(VALU_DEP_2) | instskip(NEXT) | instid1(VALU_DEP_1)
	v_mov_b32_e32 v25, v43
	v_pk_add_f32 v[24:25], v[2:3], v[24:25]
	global_store_b64 v[22:23], v[24:25], off
.LBB225_18:                             ;   in Loop: Header=BB225_6 Depth=1
	s_and_not1_b32 vcc_lo, exec_lo, s35
	s_cbranch_vccnz .LBB225_20
; %bb.19:                               ;   in Loop: Header=BB225_6 Depth=1
	global_store_b64 v[22:23], v[2:3], off
.LBB225_20:                             ;   in Loop: Header=BB225_6 Depth=1
	s_wait_xcnt 0x0
	s_or_b32 exec_lo, exec_lo, s34
	s_and_saveexec_b32 s34, s20
	s_cbranch_execz .LBB225_25
; %bb.21:                               ;   in Loop: Header=BB225_6 Depth=1
	v_mov_b64_e32 v[2:3], s[4:5]
	v_mov_b64_e32 v[22:23], s[24:25]
	v_lshl_add_u64 v[0:1], v[10:11], 3, v[0:1]
	s_and_not1_b32 vcc_lo, exec_lo, s18
	s_mov_b32 s35, -1
	s_delay_alu instid0(VALU_DEP_3) | instskip(NEXT) | instid1(VALU_DEP_1)
	v_pk_mul_f32 v[2:3], v[36:37], v[2:3] op_sel_hi:[0,1]
	v_pk_fma_f32 v[24:25], v[34:35], v[22:23], v[2:3] op_sel_hi:[0,1,1]
	v_pk_fma_f32 v[2:3], v[34:35], v[22:23], v[2:3] neg_lo:[0,0,1] neg_hi:[0,0,1]
	s_delay_alu instid0(VALU_DEP_2)
	v_mov_b32_e32 v3, v25
	s_cbranch_vccnz .LBB225_23
; %bb.22:                               ;   in Loop: Header=BB225_6 Depth=1
	global_load_b64 v[22:23], v[0:1], off
	v_mov_b64_e32 v[24:25], s[6:7]
	v_mov_b64_e32 v[34:35], s[2:3]
	s_mov_b32 s35, 0
	s_wait_loadcnt 0x0
	s_delay_alu instid0(VALU_DEP_2) | instskip(NEXT) | instid1(VALU_DEP_1)
	v_pk_mul_f32 v[24:25], v[22:23], v[24:25]
	v_pk_fma_f32 v[36:37], v[22:23], v[34:35], v[24:25] op_sel:[0,0,1] op_sel_hi:[1,1,0]
	v_pk_fma_f32 v[22:23], v[22:23], v[34:35], v[24:25] op_sel:[0,0,1] op_sel_hi:[1,1,0] neg_lo:[0,0,1] neg_hi:[0,0,1]
	s_delay_alu instid0(VALU_DEP_2) | instskip(NEXT) | instid1(VALU_DEP_1)
	v_mov_b32_e32 v23, v37
	v_pk_add_f32 v[22:23], v[2:3], v[22:23]
	global_store_b64 v[0:1], v[22:23], off
.LBB225_23:                             ;   in Loop: Header=BB225_6 Depth=1
	s_and_not1_b32 vcc_lo, exec_lo, s35
	s_cbranch_vccnz .LBB225_25
; %bb.24:                               ;   in Loop: Header=BB225_6 Depth=1
	global_store_b64 v[0:1], v[2:3], off
.LBB225_25:                             ;   in Loop: Header=BB225_6 Depth=1
	s_wait_xcnt 0x0
	s_or_b32 exec_lo, exec_lo, s34
	v_lshl_add_u64 v[0:1], v[14:15], 3, s[12:13]
	s_and_saveexec_b32 s12, s21
	s_cbranch_execz .LBB225_30
; %bb.26:                               ;   in Loop: Header=BB225_6 Depth=1
	v_mov_b64_e32 v[2:3], s[4:5]
	v_mov_b64_e32 v[22:23], s[24:25]
	s_and_not1_b32 vcc_lo, exec_lo, s18
	s_mov_b32 s13, -1
	s_delay_alu instid0(VALU_DEP_2) | instskip(NEXT) | instid1(VALU_DEP_1)
	v_pk_mul_f32 v[2:3], v[32:33], v[2:3] op_sel_hi:[0,1]
	v_pk_fma_f32 v[24:25], v[30:31], v[22:23], v[2:3] op_sel_hi:[0,1,1]
	v_pk_fma_f32 v[2:3], v[30:31], v[22:23], v[2:3] neg_lo:[0,0,1] neg_hi:[0,0,1]
	v_lshl_add_u64 v[22:23], v[8:9], 3, v[0:1]
	s_delay_alu instid0(VALU_DEP_3)
	v_mov_b32_e32 v3, v25
	s_cbranch_vccnz .LBB225_28
; %bb.27:                               ;   in Loop: Header=BB225_6 Depth=1
	global_load_b64 v[24:25], v[22:23], off
	v_mov_b64_e32 v[30:31], s[6:7]
	v_mov_b64_e32 v[32:33], s[2:3]
	s_mov_b32 s13, 0
	s_wait_loadcnt 0x0
	s_delay_alu instid0(VALU_DEP_2) | instskip(NEXT) | instid1(VALU_DEP_1)
	v_pk_mul_f32 v[30:31], v[24:25], v[30:31]
	v_pk_fma_f32 v[34:35], v[24:25], v[32:33], v[30:31] op_sel:[0,0,1] op_sel_hi:[1,1,0]
	v_pk_fma_f32 v[24:25], v[24:25], v[32:33], v[30:31] op_sel:[0,0,1] op_sel_hi:[1,1,0] neg_lo:[0,0,1] neg_hi:[0,0,1]
	s_delay_alu instid0(VALU_DEP_2) | instskip(NEXT) | instid1(VALU_DEP_1)
	v_mov_b32_e32 v25, v35
	v_pk_add_f32 v[24:25], v[2:3], v[24:25]
	global_store_b64 v[22:23], v[24:25], off
.LBB225_28:                             ;   in Loop: Header=BB225_6 Depth=1
	s_and_not1_b32 vcc_lo, exec_lo, s13
	s_cbranch_vccnz .LBB225_30
; %bb.29:                               ;   in Loop: Header=BB225_6 Depth=1
	global_store_b64 v[22:23], v[2:3], off
.LBB225_30:                             ;   in Loop: Header=BB225_6 Depth=1
	s_wait_xcnt 0x0
	s_or_b32 exec_lo, exec_lo, s12
	s_and_saveexec_b32 s12, s28
	s_cbranch_execz .LBB225_5
; %bb.31:                               ;   in Loop: Header=BB225_6 Depth=1
	v_mov_b64_e32 v[2:3], s[4:5]
	v_mov_b64_e32 v[22:23], s[24:25]
	v_lshl_add_u64 v[0:1], v[10:11], 3, v[0:1]
	s_and_not1_b32 vcc_lo, exec_lo, s18
	s_mov_b32 s13, -1
	s_delay_alu instid0(VALU_DEP_3) | instskip(NEXT) | instid1(VALU_DEP_1)
	v_pk_mul_f32 v[2:3], v[28:29], v[2:3] op_sel_hi:[0,1]
	v_pk_fma_f32 v[24:25], v[26:27], v[22:23], v[2:3] op_sel_hi:[0,1,1]
	v_pk_fma_f32 v[2:3], v[26:27], v[22:23], v[2:3] neg_lo:[0,0,1] neg_hi:[0,0,1]
	s_delay_alu instid0(VALU_DEP_2)
	v_mov_b32_e32 v3, v25
	s_cbranch_vccnz .LBB225_33
; %bb.32:                               ;   in Loop: Header=BB225_6 Depth=1
	global_load_b64 v[22:23], v[0:1], off
	v_mov_b64_e32 v[24:25], s[6:7]
	v_mov_b64_e32 v[30:31], s[2:3]
	s_mov_b32 s13, 0
	s_wait_loadcnt 0x0
	s_delay_alu instid0(VALU_DEP_2) | instskip(NEXT) | instid1(VALU_DEP_1)
	v_pk_mul_f32 v[24:25], v[22:23], v[24:25]
	v_pk_fma_f32 v[32:33], v[22:23], v[30:31], v[24:25] op_sel:[0,0,1] op_sel_hi:[1,1,0]
	v_pk_fma_f32 v[22:23], v[22:23], v[30:31], v[24:25] op_sel:[0,0,1] op_sel_hi:[1,1,0] neg_lo:[0,0,1] neg_hi:[0,0,1]
	s_delay_alu instid0(VALU_DEP_2) | instskip(NEXT) | instid1(VALU_DEP_1)
	v_mov_b32_e32 v23, v33
	v_pk_add_f32 v[22:23], v[2:3], v[22:23]
	global_store_b64 v[0:1], v[22:23], off
.LBB225_33:                             ;   in Loop: Header=BB225_6 Depth=1
	s_and_not1_b32 vcc_lo, exec_lo, s13
	s_cbranch_vccnz .LBB225_5
; %bb.34:                               ;   in Loop: Header=BB225_6 Depth=1
	global_store_b64 v[0:1], v[2:3], off
	s_branch .LBB225_5
.LBB225_35:
	s_endpgm
	.section	.rodata,"a",@progbits
	.p2align	6, 0x0
	.amdhsa_kernel _ZL29rocblas_internal_gemmt_kernelIlLi16ELi32ELi8ELc78ELc78ELc76ELb0ELb0E19rocblas_complex_numIfEPKS1_S3_PS1_EviT_T9_T10_S5_lS7_S5_lS6_T11_S5_li
		.amdhsa_group_segment_fixed_size 4096
		.amdhsa_private_segment_fixed_size 0
		.amdhsa_kernarg_size 108
		.amdhsa_user_sgpr_count 2
		.amdhsa_user_sgpr_dispatch_ptr 0
		.amdhsa_user_sgpr_queue_ptr 0
		.amdhsa_user_sgpr_kernarg_segment_ptr 1
		.amdhsa_user_sgpr_dispatch_id 0
		.amdhsa_user_sgpr_kernarg_preload_length 0
		.amdhsa_user_sgpr_kernarg_preload_offset 0
		.amdhsa_user_sgpr_private_segment_size 0
		.amdhsa_wavefront_size32 1
		.amdhsa_uses_dynamic_stack 0
		.amdhsa_enable_private_segment 0
		.amdhsa_system_sgpr_workgroup_id_x 1
		.amdhsa_system_sgpr_workgroup_id_y 1
		.amdhsa_system_sgpr_workgroup_id_z 1
		.amdhsa_system_sgpr_workgroup_info 0
		.amdhsa_system_vgpr_workitem_id 1
		.amdhsa_next_free_vgpr 58
		.amdhsa_next_free_sgpr 37
		.amdhsa_named_barrier_count 0
		.amdhsa_reserve_vcc 1
		.amdhsa_float_round_mode_32 0
		.amdhsa_float_round_mode_16_64 0
		.amdhsa_float_denorm_mode_32 3
		.amdhsa_float_denorm_mode_16_64 3
		.amdhsa_fp16_overflow 0
		.amdhsa_memory_ordered 1
		.amdhsa_forward_progress 1
		.amdhsa_inst_pref_size 25
		.amdhsa_round_robin_scheduling 0
		.amdhsa_exception_fp_ieee_invalid_op 0
		.amdhsa_exception_fp_denorm_src 0
		.amdhsa_exception_fp_ieee_div_zero 0
		.amdhsa_exception_fp_ieee_overflow 0
		.amdhsa_exception_fp_ieee_underflow 0
		.amdhsa_exception_fp_ieee_inexact 0
		.amdhsa_exception_int_div_zero 0
	.end_amdhsa_kernel
	.section	.text._ZL29rocblas_internal_gemmt_kernelIlLi16ELi32ELi8ELc78ELc78ELc76ELb0ELb0E19rocblas_complex_numIfEPKS1_S3_PS1_EviT_T9_T10_S5_lS7_S5_lS6_T11_S5_li,"axG",@progbits,_ZL29rocblas_internal_gemmt_kernelIlLi16ELi32ELi8ELc78ELc78ELc76ELb0ELb0E19rocblas_complex_numIfEPKS1_S3_PS1_EviT_T9_T10_S5_lS7_S5_lS6_T11_S5_li,comdat
.Lfunc_end225:
	.size	_ZL29rocblas_internal_gemmt_kernelIlLi16ELi32ELi8ELc78ELc78ELc76ELb0ELb0E19rocblas_complex_numIfEPKS1_S3_PS1_EviT_T9_T10_S5_lS7_S5_lS6_T11_S5_li, .Lfunc_end225-_ZL29rocblas_internal_gemmt_kernelIlLi16ELi32ELi8ELc78ELc78ELc76ELb0ELb0E19rocblas_complex_numIfEPKS1_S3_PS1_EviT_T9_T10_S5_lS7_S5_lS6_T11_S5_li
                                        ; -- End function
	.set _ZL29rocblas_internal_gemmt_kernelIlLi16ELi32ELi8ELc78ELc78ELc76ELb0ELb0E19rocblas_complex_numIfEPKS1_S3_PS1_EviT_T9_T10_S5_lS7_S5_lS6_T11_S5_li.num_vgpr, 58
	.set _ZL29rocblas_internal_gemmt_kernelIlLi16ELi32ELi8ELc78ELc78ELc76ELb0ELb0E19rocblas_complex_numIfEPKS1_S3_PS1_EviT_T9_T10_S5_lS7_S5_lS6_T11_S5_li.num_agpr, 0
	.set _ZL29rocblas_internal_gemmt_kernelIlLi16ELi32ELi8ELc78ELc78ELc76ELb0ELb0E19rocblas_complex_numIfEPKS1_S3_PS1_EviT_T9_T10_S5_lS7_S5_lS6_T11_S5_li.numbered_sgpr, 37
	.set _ZL29rocblas_internal_gemmt_kernelIlLi16ELi32ELi8ELc78ELc78ELc76ELb0ELb0E19rocblas_complex_numIfEPKS1_S3_PS1_EviT_T9_T10_S5_lS7_S5_lS6_T11_S5_li.num_named_barrier, 0
	.set _ZL29rocblas_internal_gemmt_kernelIlLi16ELi32ELi8ELc78ELc78ELc76ELb0ELb0E19rocblas_complex_numIfEPKS1_S3_PS1_EviT_T9_T10_S5_lS7_S5_lS6_T11_S5_li.private_seg_size, 0
	.set _ZL29rocblas_internal_gemmt_kernelIlLi16ELi32ELi8ELc78ELc78ELc76ELb0ELb0E19rocblas_complex_numIfEPKS1_S3_PS1_EviT_T9_T10_S5_lS7_S5_lS6_T11_S5_li.uses_vcc, 1
	.set _ZL29rocblas_internal_gemmt_kernelIlLi16ELi32ELi8ELc78ELc78ELc76ELb0ELb0E19rocblas_complex_numIfEPKS1_S3_PS1_EviT_T9_T10_S5_lS7_S5_lS6_T11_S5_li.uses_flat_scratch, 0
	.set _ZL29rocblas_internal_gemmt_kernelIlLi16ELi32ELi8ELc78ELc78ELc76ELb0ELb0E19rocblas_complex_numIfEPKS1_S3_PS1_EviT_T9_T10_S5_lS7_S5_lS6_T11_S5_li.has_dyn_sized_stack, 0
	.set _ZL29rocblas_internal_gemmt_kernelIlLi16ELi32ELi8ELc78ELc78ELc76ELb0ELb0E19rocblas_complex_numIfEPKS1_S3_PS1_EviT_T9_T10_S5_lS7_S5_lS6_T11_S5_li.has_recursion, 0
	.set _ZL29rocblas_internal_gemmt_kernelIlLi16ELi32ELi8ELc78ELc78ELc76ELb0ELb0E19rocblas_complex_numIfEPKS1_S3_PS1_EviT_T9_T10_S5_lS7_S5_lS6_T11_S5_li.has_indirect_call, 0
	.section	.AMDGPU.csdata,"",@progbits
; Kernel info:
; codeLenInByte = 3172
; TotalNumSgprs: 39
; NumVgprs: 58
; ScratchSize: 0
; MemoryBound: 0
; FloatMode: 240
; IeeeMode: 1
; LDSByteSize: 4096 bytes/workgroup (compile time only)
; SGPRBlocks: 0
; VGPRBlocks: 3
; NumSGPRsForWavesPerEU: 39
; NumVGPRsForWavesPerEU: 58
; NamedBarCnt: 0
; Occupancy: 16
; WaveLimiterHint : 0
; COMPUTE_PGM_RSRC2:SCRATCH_EN: 0
; COMPUTE_PGM_RSRC2:USER_SGPR: 2
; COMPUTE_PGM_RSRC2:TRAP_HANDLER: 0
; COMPUTE_PGM_RSRC2:TGID_X_EN: 1
; COMPUTE_PGM_RSRC2:TGID_Y_EN: 1
; COMPUTE_PGM_RSRC2:TGID_Z_EN: 1
; COMPUTE_PGM_RSRC2:TIDIG_COMP_CNT: 1
	.section	.text._ZL29rocblas_internal_gemmt_kernelIlLi16ELi32ELi8ELc78ELc84ELc76ELb0ELb0E19rocblas_complex_numIfEPKS1_S3_PS1_EviT_T9_T10_S5_lS7_S5_lS6_T11_S5_li,"axG",@progbits,_ZL29rocblas_internal_gemmt_kernelIlLi16ELi32ELi8ELc78ELc84ELc76ELb0ELb0E19rocblas_complex_numIfEPKS1_S3_PS1_EviT_T9_T10_S5_lS7_S5_lS6_T11_S5_li,comdat
	.globl	_ZL29rocblas_internal_gemmt_kernelIlLi16ELi32ELi8ELc78ELc84ELc76ELb0ELb0E19rocblas_complex_numIfEPKS1_S3_PS1_EviT_T9_T10_S5_lS7_S5_lS6_T11_S5_li ; -- Begin function _ZL29rocblas_internal_gemmt_kernelIlLi16ELi32ELi8ELc78ELc84ELc76ELb0ELb0E19rocblas_complex_numIfEPKS1_S3_PS1_EviT_T9_T10_S5_lS7_S5_lS6_T11_S5_li
	.p2align	8
	.type	_ZL29rocblas_internal_gemmt_kernelIlLi16ELi32ELi8ELc78ELc84ELc76ELb0ELb0E19rocblas_complex_numIfEPKS1_S3_PS1_EviT_T9_T10_S5_lS7_S5_lS6_T11_S5_li,@function
_ZL29rocblas_internal_gemmt_kernelIlLi16ELi32ELi8ELc78ELc84ELc76ELb0ELb0E19rocblas_complex_numIfEPKS1_S3_PS1_EviT_T9_T10_S5_lS7_S5_lS6_T11_S5_li: ; @_ZL29rocblas_internal_gemmt_kernelIlLi16ELi32ELi8ELc78ELc84ELc76ELb0ELb0E19rocblas_complex_numIfEPKS1_S3_PS1_EviT_T9_T10_S5_lS7_S5_lS6_T11_S5_li
; %bb.0:
	s_load_b256 s[24:31], s[0:1], 0x48
	s_wait_kmcnt 0x0
	s_load_b64 s[6:7], s[24:25], 0x0
	s_load_b512 s[8:23], s[0:1], 0x8
	s_wait_kmcnt 0x0
	s_cmp_neq_f32 s6, 1.0
	s_load_b64 s[24:25], s[10:11], 0x0
	s_cselect_b32 s3, -1, 0
	s_and_b32 s4, s7, 0x7fffffff
	s_delay_alu instid0(SALU_CYCLE_1) | instskip(SKIP_3) | instid1(SALU_CYCLE_1)
	s_cmp_eq_u32 s4, 0
	s_cselect_b32 s2, -1, 0
	s_cmp_lg_u32 s4, 0
	s_cselect_b32 s4, -1, 0
	s_or_b32 s3, s3, s4
	s_delay_alu instid0(SALU_CYCLE_1)
	s_and_b32 vcc_lo, exec_lo, s3
	s_cbranch_vccnz .LBB226_2
; %bb.1:
	s_cmp_lg_u64 s[8:9], 0
	s_cselect_b32 s3, -1, 0
	s_wait_kmcnt 0x0
	s_cmp_neq_f32 s24, 0
	s_cselect_b32 s4, -1, 0
	s_cmp_neq_f32 s25, 0
	s_cselect_b32 s5, -1, 0
	s_delay_alu instid0(SALU_CYCLE_1) | instskip(NEXT) | instid1(SALU_CYCLE_1)
	s_or_b32 s4, s4, s5
	s_and_b32 s3, s3, s4
.LBB226_2:
	s_delay_alu instid0(SALU_CYCLE_1)
	s_and_not1_b32 vcc_lo, exec_lo, s3
	s_cbranch_vccnz .LBB226_35
; %bb.3:
	s_load_b32 s33, s[0:1], 0x68
	s_bfe_u32 s3, ttmp6, 0x40014
	s_lshr_b32 s4, ttmp7, 16
	s_add_co_i32 s3, s3, 1
	s_wait_xcnt 0x0
	s_bfe_u32 s10, ttmp6, 0x40008
	s_mul_i32 s5, s4, s3
	s_getreg_b32 s3, hwreg(HW_REG_IB_STS2, 6, 4)
	s_add_co_i32 s10, s10, s5
	s_cmp_eq_u32 s3, 0
	s_mov_b32 s11, 0
	s_cselect_b32 s10, s4, s10
	s_wait_kmcnt 0x0
	s_cmp_ge_u32 s10, s33
	s_cbranch_scc1 .LBB226_35
; %bb.4:
	s_bfe_u32 s4, ttmp6, 0x4000c
	s_bfe_u32 s34, ttmp6, 0x40010
	s_add_co_i32 s4, s4, 1
	s_and_b32 s35, ttmp7, 0xffff
	s_add_co_i32 s34, s34, 1
	v_and_b32_e32 v15, 0x3ff, v0
	v_bfe_u32 v19, v0, 10, 10
	s_and_b32 s5, ttmp6, 15
	s_mul_i32 s4, ttmp9, s4
	s_mul_i32 s34, s35, s34
	s_bfe_u32 s36, ttmp6, 0x40004
	s_add_co_i32 s5, s5, s4
	s_add_co_i32 s36, s36, s34
	s_cmp_eq_u32 s3, 0
	v_lshl_add_u32 v1, v19, 4, v15
	s_load_b32 s4, s[0:1], 0x0
	s_wait_xcnt 0x0
	s_cselect_b32 s0, ttmp9, s5
	s_cselect_b32 s1, s35, s36
	s_lshl_b32 s3, s0, 5
	s_lshl_b32 s0, s1, 5
	v_dual_lshrrev_b32 v3, 3, v1 :: v_dual_bitop2_b32 v5, 31, v1 bitop3:0x40
	v_dual_add_nc_u32 v20, s0, v19 :: v_dual_lshrrev_b32 v4, 5, v1
	v_dual_add_nc_u32 v14, s3, v15 :: v_dual_bitop2_b32 v6, 7, v0 bitop3:0x40
	s_delay_alu instid0(VALU_DEP_3) | instskip(NEXT) | instid1(VALU_DEP_3)
	v_dual_add_nc_u32 v2, s0, v3 :: v_dual_bitop2_b32 v0, s3, v5 bitop3:0x54
	v_dual_lshlrev_b32 v5, 3, v5 :: v_dual_add_nc_u32 v22, 16, v20
	v_ashrrev_i32_e32 v21, 31, v20
	s_cmp_neq_f32 s24, 0
	s_delay_alu instid0(VALU_DEP_3) | instskip(NEXT) | instid1(VALU_DEP_3)
	v_dual_ashrrev_i32 v1, 31, v0 :: v_dual_lshlrev_b32 v7, 3, v6
	v_ashrrev_i32_e32 v23, 31, v22
	s_delay_alu instid0(VALU_DEP_3)
	v_mul_u64_e32 v[10:11], s[28:29], v[20:21]
	s_cselect_b32 s1, -1, 0
	s_cmp_neq_f32 s25, 0
	s_wait_kmcnt 0x0
	v_cmp_gt_i32_e64 s0, s4, v0
	v_mul_u64_e32 v[12:13], s[28:29], v[22:23]
	v_lshl_add_u64 v[8:9], v[0:1], 3, s[12:13]
	s_cselect_b32 s5, -1, 0
	v_lshl_or_b32 v0, v3, 6, v7
	s_or_b32 s35, s1, s5
	s_cmp_neq_f32 s6, 0
	v_dual_ashrrev_i32 v3, 31, v2 :: v_dual_lshlrev_b32 v27, 3, v15
	v_dual_add_nc_u32 v18, 16, v14 :: v_dual_ashrrev_i32 v15, 31, v14
	s_cselect_b32 s3, -1, 0
	s_xor_b32 s5, s2, -1
	v_cmp_le_i32_e32 vcc_lo, v20, v14
	v_cmp_gt_i32_e64 s2, s4, v14
	v_cmp_gt_i64_e64 s36, s[8:9], 0
	v_cmp_gt_i32_e64 s1, s4, v2
	v_lshl_add_u64 v[16:17], v[2:3], 3, s[18:19]
	s_or_b32 s18, s3, s5
	v_cmp_le_i32_e64 s3, v20, v18
	v_cmp_gt_i32_e64 s4, s4, v18
	s_and_b32 s19, vcc_lo, s2
	v_cmp_le_i32_e32 vcc_lo, v22, v14
	v_cmp_le_i32_e64 s5, v22, v18
	v_lshl_or_b32 v5, v4, 8, v5
	v_add_nc_u32_e32 v7, 0x800, v0
	v_lshl_add_u32 v29, v19, 6, 0x800
	v_dual_ashrrev_i32 v19, 31, v18 :: v_dual_mov_b32 v21, 0
	s_and_b32 s28, s3, s4
	s_and_b32 s29, vcc_lo, s2
	s_and_b32 s34, s5, s4
	s_mov_b32 s2, s6
	s_mov_b32 s3, s6
	s_and_b32 s35, s35, s36
	s_mov_b32 s6, s7
	s_mov_b32 s4, s25
	;; [unrolled: 1-line block ×3, first 2 shown]
	s_branch .LBB226_6
.LBB226_5:                              ;   in Loop: Header=BB226_6 Depth=1
	s_wait_xcnt 0x0
	s_or_b32 exec_lo, exec_lo, s12
	s_add_co_i32 s10, s10, 0x10000
	s_delay_alu instid0(SALU_CYCLE_1)
	s_cmp_lt_u32 s10, s33
	s_cbranch_scc0 .LBB226_35
.LBB226_6:                              ; =>This Loop Header: Depth=1
                                        ;     Child Loop BB226_9 Depth 2
	v_dual_mov_b32 v38, v21 :: v_dual_mov_b32 v40, v21
	v_dual_mov_b32 v34, v21 :: v_dual_mov_b32 v36, v21
	;; [unrolled: 1-line block ×4, first 2 shown]
	s_and_not1_b32 vcc_lo, exec_lo, s35
	s_cbranch_vccnz .LBB226_15
; %bb.7:                                ;   in Loop: Header=BB226_6 Depth=1
	s_mul_u64 s[12:13], s[16:17], s[10:11]
	s_mul_u64 s[36:37], s[22:23], s[10:11]
	v_lshl_add_u64 v[22:23], s[12:13], 3, v[8:9]
	v_lshl_add_u64 v[24:25], s[36:37], 3, v[16:17]
	v_dual_mov_b32 v28, 0 :: v_dual_mov_b32 v26, 0
	v_dual_mov_b32 v32, 0 :: v_dual_mov_b32 v30, 0
	;; [unrolled: 1-line block ×4, first 2 shown]
	s_mov_b64 s[12:13], 0
	s_branch .LBB226_9
.LBB226_8:                              ;   in Loop: Header=BB226_9 Depth=2
	s_wait_xcnt 0x0
	s_or_b32 exec_lo, exec_lo, s36
	s_wait_loadcnt 0x0
	ds_store_b64 v7, v[2:3]
	s_wait_dscnt 0x0
	s_barrier_signal -1
	s_barrier_wait -1
	ds_load_b128 v[42:45], v29
	ds_load_b128 v[46:49], v29 offset:16
	ds_load_b128 v[50:53], v29 offset:32
	;; [unrolled: 1-line block ×3, first 2 shown]
	ds_load_2addr_b64 v[54:57], v27 offset1:16
	s_add_nc_u64 s[12:13], s[12:13], 8
	s_delay_alu instid0(SALU_CYCLE_1) | instskip(SKIP_3) | instid1(VALU_DEP_1)
	v_cmp_gt_i64_e64 s36, s[8:9], s[12:13]
	s_and_b32 vcc_lo, exec_lo, s36
	s_wait_dscnt 0x0
	v_dual_mul_f32 v20, v43, v55 :: v_dual_mul_f32 v31, v42, v55
	v_dual_mul_f32 v33, v42, v57 :: v_dual_fma_f32 v20, v42, v54, -v20
	s_delay_alu instid0(VALU_DEP_1) | instskip(NEXT) | instid1(VALU_DEP_1)
	v_dual_fmac_f32 v31, v43, v54 :: v_dual_fmac_f32 v33, v43, v56
	v_dual_add_f32 v20, v38, v20 :: v_dual_add_f32 v38, v40, v31
	v_mul_f32_e32 v31, v43, v57
	s_delay_alu instid0(VALU_DEP_1) | instskip(NEXT) | instid1(VALU_DEP_1)
	v_dual_add_f32 v40, v36, v33 :: v_dual_fma_f32 v31, v42, v56, -v31
	v_add_f32_e32 v39, v34, v31
	ds_load_b128 v[34:37], v29 offset:1024
	s_wait_dscnt 0x0
	v_dual_mul_f32 v31, v35, v55 :: v_dual_mul_f32 v33, v34, v55
	s_delay_alu instid0(VALU_DEP_1) | instskip(NEXT) | instid1(VALU_DEP_1)
	v_dual_fma_f32 v31, v34, v54, -v31 :: v_dual_fmac_f32 v33, v35, v54
	v_dual_add_f32 v41, v30, v31 :: v_dual_add_f32 v42, v32, v33
	v_dual_mul_f32 v30, v35, v57 :: v_dual_mul_f32 v31, v34, v57
	s_delay_alu instid0(VALU_DEP_1) | instskip(NEXT) | instid1(VALU_DEP_1)
	v_dual_fma_f32 v30, v34, v56, -v30 :: v_dual_fmac_f32 v31, v35, v56
	v_dual_add_f32 v26, v26, v30 :: v_dual_add_f32 v28, v28, v31
	ds_load_2addr_b64 v[30:33], v27 offset0:32 offset1:48
	s_wait_dscnt 0x0
	v_dual_mul_f32 v34, v45, v31 :: v_dual_mul_f32 v35, v44, v31
	s_delay_alu instid0(VALU_DEP_1) | instskip(NEXT) | instid1(VALU_DEP_1)
	v_dual_fma_f32 v34, v44, v30, -v34 :: v_dual_fmac_f32 v35, v45, v30
	v_dual_add_f32 v20, v20, v34 :: v_dual_add_f32 v34, v38, v35
	v_dual_mul_f32 v35, v45, v33 :: v_dual_mul_f32 v38, v44, v33
	s_delay_alu instid0(VALU_DEP_1) | instskip(NEXT) | instid1(VALU_DEP_1)
	v_dual_fma_f32 v35, v44, v32, -v35 :: v_dual_fmac_f32 v38, v45, v32
	v_dual_add_f32 v35, v39, v35 :: v_dual_add_f32 v38, v40, v38
	v_dual_mul_f32 v39, v37, v31 :: v_dual_mul_f32 v31, v36, v31
	s_delay_alu instid0(VALU_DEP_1) | instskip(NEXT) | instid1(VALU_DEP_2)
	v_fmac_f32_e32 v31, v37, v30
	v_dual_fma_f32 v39, v36, v30, -v39 :: v_dual_mul_f32 v30, v37, v33
	s_delay_alu instid0(VALU_DEP_2) | instskip(NEXT) | instid1(VALU_DEP_2)
	v_add_f32_e32 v40, v42, v31
	v_dual_add_f32 v39, v41, v39 :: v_dual_fma_f32 v30, v36, v32, -v30
	s_delay_alu instid0(VALU_DEP_1) | instskip(NEXT) | instid1(VALU_DEP_1)
	v_dual_mul_f32 v31, v36, v33 :: v_dual_add_f32 v26, v26, v30
	v_fmac_f32_e32 v31, v37, v32
	s_delay_alu instid0(VALU_DEP_1) | instskip(SKIP_3) | instid1(VALU_DEP_1)
	v_add_f32_e32 v28, v28, v31
	ds_load_2addr_b64 v[30:33], v27 offset0:64 offset1:80
	s_wait_dscnt 0x0
	v_mul_f32_e32 v36, v47, v31
	v_dual_fma_f32 v36, v46, v30, -v36 :: v_dual_mul_f32 v37, v46, v31
	s_delay_alu instid0(VALU_DEP_1) | instskip(SKIP_1) | instid1(VALU_DEP_2)
	v_dual_add_f32 v20, v20, v36 :: v_dual_fmac_f32 v37, v47, v30
	v_mul_f32_e32 v36, v46, v33
	v_add_f32_e32 v41, v34, v37
	v_mul_f32_e32 v34, v47, v33
	s_delay_alu instid0(VALU_DEP_1) | instskip(NEXT) | instid1(VALU_DEP_1)
	v_fma_f32 v34, v46, v32, -v34
	v_add_f32_e32 v42, v35, v34
	v_fmac_f32_e32 v36, v47, v32
	s_delay_alu instid0(VALU_DEP_1) | instskip(SKIP_3) | instid1(VALU_DEP_1)
	v_add_f32_e32 v38, v38, v36
	ds_load_b128 v[34:37], v29 offset:1040
	s_wait_dscnt 0x0
	v_dual_mul_f32 v43, v35, v31 :: v_dual_mul_f32 v31, v34, v31
	v_fma_f32 v43, v34, v30, -v43
	s_delay_alu instid0(VALU_DEP_2) | instskip(NEXT) | instid1(VALU_DEP_2)
	v_dual_fmac_f32 v31, v35, v30 :: v_dual_mul_f32 v30, v35, v33
	v_add_f32_e32 v39, v39, v43
	s_delay_alu instid0(VALU_DEP_2) | instskip(NEXT) | instid1(VALU_DEP_1)
	v_dual_add_f32 v40, v40, v31 :: v_dual_mul_f32 v31, v34, v33
	v_dual_fma_f32 v30, v34, v32, -v30 :: v_dual_fmac_f32 v31, v35, v32
	s_delay_alu instid0(VALU_DEP_1) | instskip(SKIP_3) | instid1(VALU_DEP_1)
	v_dual_add_f32 v26, v26, v30 :: v_dual_add_f32 v28, v28, v31
	ds_load_2addr_b64 v[30:33], v27 offset0:96 offset1:112
	s_wait_dscnt 0x0
	v_dual_mul_f32 v34, v49, v31 :: v_dual_mul_f32 v35, v48, v31
	v_dual_fma_f32 v34, v48, v30, -v34 :: v_dual_fmac_f32 v35, v49, v30
	s_delay_alu instid0(VALU_DEP_1) | instskip(SKIP_1) | instid1(VALU_DEP_1)
	v_dual_add_f32 v20, v20, v34 :: v_dual_add_f32 v34, v41, v35
	v_mul_f32_e32 v41, v48, v33
	v_fmac_f32_e32 v41, v49, v32
	s_delay_alu instid0(VALU_DEP_1) | instskip(SKIP_1) | instid1(VALU_DEP_2)
	v_dual_add_f32 v38, v38, v41 :: v_dual_mul_f32 v41, v37, v31
	v_dual_mul_f32 v35, v49, v33 :: v_dual_mul_f32 v31, v36, v31
	v_fma_f32 v41, v36, v30, -v41
	s_delay_alu instid0(VALU_DEP_2) | instskip(NEXT) | instid1(VALU_DEP_3)
	v_fma_f32 v35, v48, v32, -v35
	v_dual_fmac_f32 v31, v37, v30 :: v_dual_mul_f32 v30, v37, v33
	s_delay_alu instid0(VALU_DEP_2) | instskip(NEXT) | instid1(VALU_DEP_2)
	v_dual_add_f32 v39, v39, v41 :: v_dual_add_f32 v35, v42, v35
	v_add_f32_e32 v40, v40, v31
	s_delay_alu instid0(VALU_DEP_3) | instskip(NEXT) | instid1(VALU_DEP_1)
	v_dual_fma_f32 v30, v36, v32, -v30 :: v_dual_mul_f32 v31, v36, v33
	v_dual_fmac_f32 v31, v37, v32 :: v_dual_add_f32 v26, v26, v30
	s_delay_alu instid0(VALU_DEP_1) | instskip(SKIP_3) | instid1(VALU_DEP_1)
	v_add_f32_e32 v28, v28, v31
	ds_load_2addr_b64 v[30:33], v27 offset0:128 offset1:144
	s_wait_dscnt 0x0
	v_dual_mul_f32 v36, v51, v31 :: v_dual_mul_f32 v37, v50, v31
	v_dual_fma_f32 v36, v50, v30, -v36 :: v_dual_fmac_f32 v37, v51, v30
	s_delay_alu instid0(VALU_DEP_1) | instskip(SKIP_1) | instid1(VALU_DEP_1)
	v_dual_add_f32 v20, v20, v36 :: v_dual_add_f32 v41, v34, v37
	v_dual_mul_f32 v34, v51, v33 :: v_dual_mul_f32 v36, v50, v33
	v_dual_fma_f32 v34, v50, v32, -v34 :: v_dual_fmac_f32 v36, v51, v32
	s_delay_alu instid0(VALU_DEP_1) | instskip(SKIP_3) | instid1(VALU_DEP_1)
	v_dual_add_f32 v42, v35, v34 :: v_dual_add_f32 v38, v38, v36
	ds_load_b128 v[34:37], v29 offset:1056
	s_wait_dscnt 0x0
	v_dual_mul_f32 v43, v35, v31 :: v_dual_mul_f32 v31, v34, v31
	v_fmac_f32_e32 v31, v35, v30
	s_delay_alu instid0(VALU_DEP_2) | instskip(NEXT) | instid1(VALU_DEP_2)
	v_dual_fma_f32 v43, v34, v30, -v43 :: v_dual_mul_f32 v30, v35, v33
	v_dual_add_f32 v40, v40, v31 :: v_dual_mul_f32 v31, v34, v33
	s_delay_alu instid0(VALU_DEP_2) | instskip(NEXT) | instid1(VALU_DEP_1)
	v_dual_add_f32 v39, v39, v43 :: v_dual_fma_f32 v30, v34, v32, -v30
	v_dual_fmac_f32 v31, v35, v32 :: v_dual_add_f32 v26, v26, v30
	s_delay_alu instid0(VALU_DEP_1) | instskip(SKIP_3) | instid1(VALU_DEP_1)
	v_add_f32_e32 v28, v28, v31
	ds_load_2addr_b64 v[30:33], v27 offset0:160 offset1:176
	s_wait_dscnt 0x0
	v_dual_mul_f32 v34, v53, v31 :: v_dual_mul_f32 v35, v52, v31
	v_dual_fma_f32 v34, v52, v30, -v34 :: v_dual_fmac_f32 v35, v53, v30
	s_delay_alu instid0(VALU_DEP_1) | instskip(SKIP_1) | instid1(VALU_DEP_1)
	v_dual_add_f32 v20, v20, v34 :: v_dual_add_f32 v34, v41, v35
	v_mul_f32_e32 v41, v52, v33
	v_fmac_f32_e32 v41, v53, v32
	s_delay_alu instid0(VALU_DEP_1) | instskip(SKIP_1) | instid1(VALU_DEP_2)
	v_dual_add_f32 v38, v38, v41 :: v_dual_mul_f32 v41, v37, v31
	v_dual_mul_f32 v35, v53, v33 :: v_dual_mul_f32 v31, v36, v31
	v_fma_f32 v41, v36, v30, -v41
	s_delay_alu instid0(VALU_DEP_2) | instskip(NEXT) | instid1(VALU_DEP_3)
	v_fma_f32 v35, v52, v32, -v35
	v_dual_fmac_f32 v31, v37, v30 :: v_dual_mul_f32 v30, v37, v33
	s_delay_alu instid0(VALU_DEP_2) | instskip(NEXT) | instid1(VALU_DEP_2)
	v_dual_add_f32 v39, v39, v41 :: v_dual_add_f32 v35, v42, v35
	v_add_f32_e32 v44, v40, v31
	s_delay_alu instid0(VALU_DEP_3) | instskip(SKIP_2) | instid1(VALU_DEP_1)
	v_dual_fma_f32 v30, v36, v32, -v30 :: v_dual_mul_f32 v31, v36, v33
	ds_load_b128 v[40:43], v29 offset:1072
	v_dual_fmac_f32 v31, v37, v32 :: v_dual_add_f32 v26, v26, v30
	v_add_f32_e32 v28, v28, v31
	ds_load_2addr_b64 v[30:33], v27 offset0:192 offset1:208
	s_wait_dscnt 0x0
	v_dual_mul_f32 v36, v1, v31 :: v_dual_mul_f32 v37, v0, v31
	s_delay_alu instid0(VALU_DEP_1) | instskip(NEXT) | instid1(VALU_DEP_1)
	v_dual_fma_f32 v36, v0, v30, -v36 :: v_dual_fmac_f32 v37, v1, v30
	v_dual_add_f32 v20, v20, v36 :: v_dual_add_f32 v34, v34, v37
	v_mul_f32_e32 v36, v1, v33
	s_delay_alu instid0(VALU_DEP_1) | instskip(NEXT) | instid1(VALU_DEP_1)
	v_dual_fma_f32 v36, v0, v32, -v36 :: v_dual_mul_f32 v0, v0, v33
	v_fmac_f32_e32 v0, v1, v32
	s_delay_alu instid0(VALU_DEP_2) | instskip(NEXT) | instid1(VALU_DEP_1)
	v_dual_add_f32 v1, v35, v36 :: v_dual_mul_f32 v35, v41, v31
	v_dual_mul_f32 v31, v40, v31 :: v_dual_fma_f32 v35, v40, v30, -v35
	s_delay_alu instid0(VALU_DEP_1) | instskip(NEXT) | instid1(VALU_DEP_2)
	v_dual_add_f32 v0, v38, v0 :: v_dual_fmac_f32 v31, v41, v30
	v_dual_add_f32 v30, v39, v35 :: v_dual_mul_f32 v35, v41, v33
	v_mul_f32_e32 v33, v40, v33
	s_delay_alu instid0(VALU_DEP_3)
	v_add_f32_e32 v31, v44, v31
	ds_load_2addr_b64 v[44:47], v27 offset0:224 offset1:240
	s_wait_dscnt 0x0
	v_dual_fma_f32 v35, v40, v32, -v35 :: v_dual_fmac_f32 v33, v41, v32
	s_barrier_signal -1
	s_barrier_wait -1
	s_delay_alu instid0(VALU_DEP_1) | instskip(SKIP_1) | instid1(VALU_DEP_1)
	v_dual_add_f32 v26, v26, v35 :: v_dual_add_f32 v28, v28, v33
	v_dual_mul_f32 v32, v3, v45 :: v_dual_mul_f32 v33, v2, v45
	v_dual_fma_f32 v32, v2, v44, -v32 :: v_dual_fmac_f32 v33, v3, v44
	s_delay_alu instid0(VALU_DEP_1) | instskip(SKIP_1) | instid1(VALU_DEP_1)
	v_dual_add_f32 v38, v20, v32 :: v_dual_add_f32 v40, v34, v33
	v_mul_f32_e32 v20, v3, v47
	v_dual_fma_f32 v20, v2, v46, -v20 :: v_dual_mul_f32 v2, v2, v47
	s_delay_alu instid0(VALU_DEP_1) | instskip(NEXT) | instid1(VALU_DEP_1)
	v_dual_fmac_f32 v2, v3, v46 :: v_dual_add_f32 v34, v1, v20
	v_dual_mul_f32 v1, v42, v45 :: v_dual_add_f32 v36, v0, v2
	s_delay_alu instid0(VALU_DEP_1) | instskip(NEXT) | instid1(VALU_DEP_1)
	v_dual_mul_f32 v0, v43, v45 :: v_dual_fmac_f32 v1, v43, v44
	v_dual_fma_f32 v0, v42, v44, -v0 :: v_dual_add_f32 v32, v31, v1
	v_mul_f32_e32 v1, v42, v47
	s_delay_alu instid0(VALU_DEP_2) | instskip(NEXT) | instid1(VALU_DEP_1)
	v_dual_add_f32 v30, v30, v0 :: v_dual_mul_f32 v0, v43, v47
	v_dual_fmac_f32 v1, v43, v46 :: v_dual_fma_f32 v0, v42, v46, -v0
	s_delay_alu instid0(VALU_DEP_1)
	v_dual_add_f32 v28, v28, v1 :: v_dual_add_f32 v26, v26, v0
	s_cbranch_vccz .LBB226_15
.LBB226_9:                              ;   Parent Loop BB226_6 Depth=1
                                        ; =>  This Inner Loop Header: Depth=2
	v_dual_mov_b32 v0, 0 :: v_dual_mov_b32 v1, 0
	s_and_saveexec_b32 s36, s0
	s_cbranch_execz .LBB226_13
; %bb.10:                               ;   in Loop: Header=BB226_9 Depth=2
	v_dual_mov_b32 v1, 0 :: v_dual_add_nc_u32 v20, s12, v4
	v_mov_b32_e32 v0, 0
	s_mov_b32 s37, exec_lo
	s_delay_alu instid0(VALU_DEP_2)
	v_cmpx_gt_u64_e64 s[8:9], v[20:21]
	s_cbranch_execz .LBB226_12
; %bb.11:                               ;   in Loop: Header=BB226_9 Depth=2
	v_mul_u64_e32 v[0:1], s[14:15], v[20:21]
	s_delay_alu instid0(VALU_DEP_1)
	v_lshl_add_u64 v[0:1], v[0:1], 3, v[22:23]
	global_load_b64 v[0:1], v[0:1], off
.LBB226_12:                             ;   in Loop: Header=BB226_9 Depth=2
	s_wait_xcnt 0x0
	s_or_b32 exec_lo, exec_lo, s37
.LBB226_13:                             ;   in Loop: Header=BB226_9 Depth=2
	s_delay_alu instid0(SALU_CYCLE_1)
	s_or_b32 exec_lo, exec_lo, s36
	v_dual_add_nc_u32 v20, s12, v6 :: v_dual_mov_b32 v2, 0
	v_mov_b32_e32 v3, 0
	s_wait_loadcnt 0x0
	ds_store_b64 v5, v[0:1]
	v_cmp_gt_u64_e32 vcc_lo, s[8:9], v[20:21]
	s_and_b32 s37, vcc_lo, s1
	s_delay_alu instid0(SALU_CYCLE_1)
	s_and_saveexec_b32 s36, s37
	s_cbranch_execz .LBB226_8
; %bb.14:                               ;   in Loop: Header=BB226_9 Depth=2
	v_mul_u64_e32 v[0:1], s[20:21], v[20:21]
	s_delay_alu instid0(VALU_DEP_1)
	v_lshl_add_u64 v[0:1], v[0:1], 3, v[24:25]
	global_load_b64 v[2:3], v[0:1], off
	s_branch .LBB226_8
.LBB226_15:                             ;   in Loop: Header=BB226_6 Depth=1
	s_mul_u64 s[12:13], s[30:31], s[10:11]
	s_delay_alu instid0(SALU_CYCLE_1) | instskip(NEXT) | instid1(SALU_CYCLE_1)
	s_lshl_b64 s[12:13], s[12:13], 3
	s_add_nc_u64 s[12:13], s[26:27], s[12:13]
	s_delay_alu instid0(SALU_CYCLE_1)
	v_lshl_add_u64 v[0:1], v[10:11], 3, s[12:13]
	s_and_saveexec_b32 s36, s19
	s_cbranch_execz .LBB226_20
; %bb.16:                               ;   in Loop: Header=BB226_6 Depth=1
	v_mov_b64_e32 v[2:3], s[4:5]
	v_mov_b64_e32 v[22:23], s[24:25]
	s_and_b32 vcc_lo, exec_lo, s18
	s_mov_b32 s37, -1
	s_delay_alu instid0(VALU_DEP_2) | instskip(NEXT) | instid1(VALU_DEP_1)
	v_pk_mul_f32 v[2:3], v[40:41], v[2:3] op_sel_hi:[0,1]
	v_pk_fma_f32 v[24:25], v[38:39], v[22:23], v[2:3] op_sel_hi:[0,1,1]
	v_pk_fma_f32 v[2:3], v[38:39], v[22:23], v[2:3] neg_lo:[0,0,1] neg_hi:[0,0,1]
	v_lshl_add_u64 v[22:23], v[14:15], 3, v[0:1]
	s_delay_alu instid0(VALU_DEP_3)
	v_mov_b32_e32 v3, v25
	s_cbranch_vccz .LBB226_18
; %bb.17:                               ;   in Loop: Header=BB226_6 Depth=1
	global_load_b64 v[24:25], v[22:23], off
	v_mov_b64_e32 v[38:39], s[6:7]
	v_mov_b64_e32 v[40:41], s[2:3]
	s_mov_b32 s37, 0
	s_wait_loadcnt 0x0
	s_delay_alu instid0(VALU_DEP_2) | instskip(NEXT) | instid1(VALU_DEP_1)
	v_pk_mul_f32 v[38:39], v[24:25], v[38:39]
	v_pk_fma_f32 v[42:43], v[24:25], v[40:41], v[38:39] op_sel:[0,0,1] op_sel_hi:[1,1,0]
	v_pk_fma_f32 v[24:25], v[24:25], v[40:41], v[38:39] op_sel:[0,0,1] op_sel_hi:[1,1,0] neg_lo:[0,0,1] neg_hi:[0,0,1]
	s_delay_alu instid0(VALU_DEP_2) | instskip(NEXT) | instid1(VALU_DEP_1)
	v_mov_b32_e32 v25, v43
	v_pk_add_f32 v[24:25], v[2:3], v[24:25]
	global_store_b64 v[22:23], v[24:25], off
.LBB226_18:                             ;   in Loop: Header=BB226_6 Depth=1
	s_and_not1_b32 vcc_lo, exec_lo, s37
	s_cbranch_vccnz .LBB226_20
; %bb.19:                               ;   in Loop: Header=BB226_6 Depth=1
	global_store_b64 v[22:23], v[2:3], off
.LBB226_20:                             ;   in Loop: Header=BB226_6 Depth=1
	s_wait_xcnt 0x0
	s_or_b32 exec_lo, exec_lo, s36
	s_and_saveexec_b32 s36, s28
	s_cbranch_execz .LBB226_25
; %bb.21:                               ;   in Loop: Header=BB226_6 Depth=1
	v_mov_b64_e32 v[2:3], s[4:5]
	v_mov_b64_e32 v[22:23], s[24:25]
	v_lshl_add_u64 v[0:1], v[18:19], 3, v[0:1]
	s_and_not1_b32 vcc_lo, exec_lo, s18
	s_mov_b32 s37, -1
	s_delay_alu instid0(VALU_DEP_3) | instskip(NEXT) | instid1(VALU_DEP_1)
	v_pk_mul_f32 v[2:3], v[36:37], v[2:3] op_sel_hi:[0,1]
	v_pk_fma_f32 v[24:25], v[34:35], v[22:23], v[2:3] op_sel_hi:[0,1,1]
	v_pk_fma_f32 v[2:3], v[34:35], v[22:23], v[2:3] neg_lo:[0,0,1] neg_hi:[0,0,1]
	s_delay_alu instid0(VALU_DEP_2)
	v_mov_b32_e32 v3, v25
	s_cbranch_vccnz .LBB226_23
; %bb.22:                               ;   in Loop: Header=BB226_6 Depth=1
	global_load_b64 v[22:23], v[0:1], off
	v_mov_b64_e32 v[24:25], s[6:7]
	v_mov_b64_e32 v[34:35], s[2:3]
	s_mov_b32 s37, 0
	s_wait_loadcnt 0x0
	s_delay_alu instid0(VALU_DEP_2) | instskip(NEXT) | instid1(VALU_DEP_1)
	v_pk_mul_f32 v[24:25], v[22:23], v[24:25]
	v_pk_fma_f32 v[36:37], v[22:23], v[34:35], v[24:25] op_sel:[0,0,1] op_sel_hi:[1,1,0]
	v_pk_fma_f32 v[22:23], v[22:23], v[34:35], v[24:25] op_sel:[0,0,1] op_sel_hi:[1,1,0] neg_lo:[0,0,1] neg_hi:[0,0,1]
	s_delay_alu instid0(VALU_DEP_2) | instskip(NEXT) | instid1(VALU_DEP_1)
	v_mov_b32_e32 v23, v37
	v_pk_add_f32 v[22:23], v[2:3], v[22:23]
	global_store_b64 v[0:1], v[22:23], off
.LBB226_23:                             ;   in Loop: Header=BB226_6 Depth=1
	s_and_not1_b32 vcc_lo, exec_lo, s37
	s_cbranch_vccnz .LBB226_25
; %bb.24:                               ;   in Loop: Header=BB226_6 Depth=1
	global_store_b64 v[0:1], v[2:3], off
.LBB226_25:                             ;   in Loop: Header=BB226_6 Depth=1
	s_wait_xcnt 0x0
	s_or_b32 exec_lo, exec_lo, s36
	v_lshl_add_u64 v[0:1], v[12:13], 3, s[12:13]
	s_and_saveexec_b32 s12, s29
	s_cbranch_execz .LBB226_30
; %bb.26:                               ;   in Loop: Header=BB226_6 Depth=1
	v_mov_b64_e32 v[2:3], s[4:5]
	v_mov_b64_e32 v[22:23], s[24:25]
	s_and_not1_b32 vcc_lo, exec_lo, s18
	s_mov_b32 s13, -1
	s_delay_alu instid0(VALU_DEP_2) | instskip(NEXT) | instid1(VALU_DEP_1)
	v_pk_mul_f32 v[2:3], v[32:33], v[2:3] op_sel_hi:[0,1]
	v_pk_fma_f32 v[24:25], v[30:31], v[22:23], v[2:3] op_sel_hi:[0,1,1]
	v_pk_fma_f32 v[2:3], v[30:31], v[22:23], v[2:3] neg_lo:[0,0,1] neg_hi:[0,0,1]
	v_lshl_add_u64 v[22:23], v[14:15], 3, v[0:1]
	s_delay_alu instid0(VALU_DEP_3)
	v_mov_b32_e32 v3, v25
	s_cbranch_vccnz .LBB226_28
; %bb.27:                               ;   in Loop: Header=BB226_6 Depth=1
	global_load_b64 v[24:25], v[22:23], off
	v_mov_b64_e32 v[30:31], s[6:7]
	v_mov_b64_e32 v[32:33], s[2:3]
	s_mov_b32 s13, 0
	s_wait_loadcnt 0x0
	s_delay_alu instid0(VALU_DEP_2) | instskip(NEXT) | instid1(VALU_DEP_1)
	v_pk_mul_f32 v[30:31], v[24:25], v[30:31]
	v_pk_fma_f32 v[34:35], v[24:25], v[32:33], v[30:31] op_sel:[0,0,1] op_sel_hi:[1,1,0]
	v_pk_fma_f32 v[24:25], v[24:25], v[32:33], v[30:31] op_sel:[0,0,1] op_sel_hi:[1,1,0] neg_lo:[0,0,1] neg_hi:[0,0,1]
	s_delay_alu instid0(VALU_DEP_2) | instskip(NEXT) | instid1(VALU_DEP_1)
	v_mov_b32_e32 v25, v35
	v_pk_add_f32 v[24:25], v[2:3], v[24:25]
	global_store_b64 v[22:23], v[24:25], off
.LBB226_28:                             ;   in Loop: Header=BB226_6 Depth=1
	s_and_not1_b32 vcc_lo, exec_lo, s13
	s_cbranch_vccnz .LBB226_30
; %bb.29:                               ;   in Loop: Header=BB226_6 Depth=1
	global_store_b64 v[22:23], v[2:3], off
.LBB226_30:                             ;   in Loop: Header=BB226_6 Depth=1
	s_wait_xcnt 0x0
	s_or_b32 exec_lo, exec_lo, s12
	s_and_saveexec_b32 s12, s34
	s_cbranch_execz .LBB226_5
; %bb.31:                               ;   in Loop: Header=BB226_6 Depth=1
	v_mov_b64_e32 v[2:3], s[4:5]
	v_mov_b64_e32 v[22:23], s[24:25]
	v_lshl_add_u64 v[0:1], v[18:19], 3, v[0:1]
	s_and_not1_b32 vcc_lo, exec_lo, s18
	s_mov_b32 s13, -1
	s_delay_alu instid0(VALU_DEP_3) | instskip(NEXT) | instid1(VALU_DEP_1)
	v_pk_mul_f32 v[2:3], v[28:29], v[2:3] op_sel_hi:[0,1]
	v_pk_fma_f32 v[24:25], v[26:27], v[22:23], v[2:3] op_sel_hi:[0,1,1]
	v_pk_fma_f32 v[2:3], v[26:27], v[22:23], v[2:3] neg_lo:[0,0,1] neg_hi:[0,0,1]
	s_delay_alu instid0(VALU_DEP_2)
	v_mov_b32_e32 v3, v25
	s_cbranch_vccnz .LBB226_33
; %bb.32:                               ;   in Loop: Header=BB226_6 Depth=1
	global_load_b64 v[22:23], v[0:1], off
	v_mov_b64_e32 v[24:25], s[6:7]
	v_mov_b64_e32 v[30:31], s[2:3]
	s_mov_b32 s13, 0
	s_wait_loadcnt 0x0
	s_delay_alu instid0(VALU_DEP_2) | instskip(NEXT) | instid1(VALU_DEP_1)
	v_pk_mul_f32 v[24:25], v[22:23], v[24:25]
	v_pk_fma_f32 v[32:33], v[22:23], v[30:31], v[24:25] op_sel:[0,0,1] op_sel_hi:[1,1,0]
	v_pk_fma_f32 v[22:23], v[22:23], v[30:31], v[24:25] op_sel:[0,0,1] op_sel_hi:[1,1,0] neg_lo:[0,0,1] neg_hi:[0,0,1]
	s_delay_alu instid0(VALU_DEP_2) | instskip(NEXT) | instid1(VALU_DEP_1)
	v_mov_b32_e32 v23, v33
	v_pk_add_f32 v[22:23], v[2:3], v[22:23]
	global_store_b64 v[0:1], v[22:23], off
.LBB226_33:                             ;   in Loop: Header=BB226_6 Depth=1
	s_and_not1_b32 vcc_lo, exec_lo, s13
	s_cbranch_vccnz .LBB226_5
; %bb.34:                               ;   in Loop: Header=BB226_6 Depth=1
	global_store_b64 v[0:1], v[2:3], off
	s_branch .LBB226_5
.LBB226_35:
	s_endpgm
	.section	.rodata,"a",@progbits
	.p2align	6, 0x0
	.amdhsa_kernel _ZL29rocblas_internal_gemmt_kernelIlLi16ELi32ELi8ELc78ELc84ELc76ELb0ELb0E19rocblas_complex_numIfEPKS1_S3_PS1_EviT_T9_T10_S5_lS7_S5_lS6_T11_S5_li
		.amdhsa_group_segment_fixed_size 4096
		.amdhsa_private_segment_fixed_size 0
		.amdhsa_kernarg_size 108
		.amdhsa_user_sgpr_count 2
		.amdhsa_user_sgpr_dispatch_ptr 0
		.amdhsa_user_sgpr_queue_ptr 0
		.amdhsa_user_sgpr_kernarg_segment_ptr 1
		.amdhsa_user_sgpr_dispatch_id 0
		.amdhsa_user_sgpr_kernarg_preload_length 0
		.amdhsa_user_sgpr_kernarg_preload_offset 0
		.amdhsa_user_sgpr_private_segment_size 0
		.amdhsa_wavefront_size32 1
		.amdhsa_uses_dynamic_stack 0
		.amdhsa_enable_private_segment 0
		.amdhsa_system_sgpr_workgroup_id_x 1
		.amdhsa_system_sgpr_workgroup_id_y 1
		.amdhsa_system_sgpr_workgroup_id_z 1
		.amdhsa_system_sgpr_workgroup_info 0
		.amdhsa_system_vgpr_workitem_id 1
		.amdhsa_next_free_vgpr 58
		.amdhsa_next_free_sgpr 38
		.amdhsa_named_barrier_count 0
		.amdhsa_reserve_vcc 1
		.amdhsa_float_round_mode_32 0
		.amdhsa_float_round_mode_16_64 0
		.amdhsa_float_denorm_mode_32 3
		.amdhsa_float_denorm_mode_16_64 3
		.amdhsa_fp16_overflow 0
		.amdhsa_memory_ordered 1
		.amdhsa_forward_progress 1
		.amdhsa_inst_pref_size 25
		.amdhsa_round_robin_scheduling 0
		.amdhsa_exception_fp_ieee_invalid_op 0
		.amdhsa_exception_fp_denorm_src 0
		.amdhsa_exception_fp_ieee_div_zero 0
		.amdhsa_exception_fp_ieee_overflow 0
		.amdhsa_exception_fp_ieee_underflow 0
		.amdhsa_exception_fp_ieee_inexact 0
		.amdhsa_exception_int_div_zero 0
	.end_amdhsa_kernel
	.section	.text._ZL29rocblas_internal_gemmt_kernelIlLi16ELi32ELi8ELc78ELc84ELc76ELb0ELb0E19rocblas_complex_numIfEPKS1_S3_PS1_EviT_T9_T10_S5_lS7_S5_lS6_T11_S5_li,"axG",@progbits,_ZL29rocblas_internal_gemmt_kernelIlLi16ELi32ELi8ELc78ELc84ELc76ELb0ELb0E19rocblas_complex_numIfEPKS1_S3_PS1_EviT_T9_T10_S5_lS7_S5_lS6_T11_S5_li,comdat
.Lfunc_end226:
	.size	_ZL29rocblas_internal_gemmt_kernelIlLi16ELi32ELi8ELc78ELc84ELc76ELb0ELb0E19rocblas_complex_numIfEPKS1_S3_PS1_EviT_T9_T10_S5_lS7_S5_lS6_T11_S5_li, .Lfunc_end226-_ZL29rocblas_internal_gemmt_kernelIlLi16ELi32ELi8ELc78ELc84ELc76ELb0ELb0E19rocblas_complex_numIfEPKS1_S3_PS1_EviT_T9_T10_S5_lS7_S5_lS6_T11_S5_li
                                        ; -- End function
	.set _ZL29rocblas_internal_gemmt_kernelIlLi16ELi32ELi8ELc78ELc84ELc76ELb0ELb0E19rocblas_complex_numIfEPKS1_S3_PS1_EviT_T9_T10_S5_lS7_S5_lS6_T11_S5_li.num_vgpr, 58
	.set _ZL29rocblas_internal_gemmt_kernelIlLi16ELi32ELi8ELc78ELc84ELc76ELb0ELb0E19rocblas_complex_numIfEPKS1_S3_PS1_EviT_T9_T10_S5_lS7_S5_lS6_T11_S5_li.num_agpr, 0
	.set _ZL29rocblas_internal_gemmt_kernelIlLi16ELi32ELi8ELc78ELc84ELc76ELb0ELb0E19rocblas_complex_numIfEPKS1_S3_PS1_EviT_T9_T10_S5_lS7_S5_lS6_T11_S5_li.numbered_sgpr, 38
	.set _ZL29rocblas_internal_gemmt_kernelIlLi16ELi32ELi8ELc78ELc84ELc76ELb0ELb0E19rocblas_complex_numIfEPKS1_S3_PS1_EviT_T9_T10_S5_lS7_S5_lS6_T11_S5_li.num_named_barrier, 0
	.set _ZL29rocblas_internal_gemmt_kernelIlLi16ELi32ELi8ELc78ELc84ELc76ELb0ELb0E19rocblas_complex_numIfEPKS1_S3_PS1_EviT_T9_T10_S5_lS7_S5_lS6_T11_S5_li.private_seg_size, 0
	.set _ZL29rocblas_internal_gemmt_kernelIlLi16ELi32ELi8ELc78ELc84ELc76ELb0ELb0E19rocblas_complex_numIfEPKS1_S3_PS1_EviT_T9_T10_S5_lS7_S5_lS6_T11_S5_li.uses_vcc, 1
	.set _ZL29rocblas_internal_gemmt_kernelIlLi16ELi32ELi8ELc78ELc84ELc76ELb0ELb0E19rocblas_complex_numIfEPKS1_S3_PS1_EviT_T9_T10_S5_lS7_S5_lS6_T11_S5_li.uses_flat_scratch, 0
	.set _ZL29rocblas_internal_gemmt_kernelIlLi16ELi32ELi8ELc78ELc84ELc76ELb0ELb0E19rocblas_complex_numIfEPKS1_S3_PS1_EviT_T9_T10_S5_lS7_S5_lS6_T11_S5_li.has_dyn_sized_stack, 0
	.set _ZL29rocblas_internal_gemmt_kernelIlLi16ELi32ELi8ELc78ELc84ELc76ELb0ELb0E19rocblas_complex_numIfEPKS1_S3_PS1_EviT_T9_T10_S5_lS7_S5_lS6_T11_S5_li.has_recursion, 0
	.set _ZL29rocblas_internal_gemmt_kernelIlLi16ELi32ELi8ELc78ELc84ELc76ELb0ELb0E19rocblas_complex_numIfEPKS1_S3_PS1_EviT_T9_T10_S5_lS7_S5_lS6_T11_S5_li.has_indirect_call, 0
	.section	.AMDGPU.csdata,"",@progbits
; Kernel info:
; codeLenInByte = 3176
; TotalNumSgprs: 40
; NumVgprs: 58
; ScratchSize: 0
; MemoryBound: 0
; FloatMode: 240
; IeeeMode: 1
; LDSByteSize: 4096 bytes/workgroup (compile time only)
; SGPRBlocks: 0
; VGPRBlocks: 3
; NumSGPRsForWavesPerEU: 40
; NumVGPRsForWavesPerEU: 58
; NamedBarCnt: 0
; Occupancy: 16
; WaveLimiterHint : 0
; COMPUTE_PGM_RSRC2:SCRATCH_EN: 0
; COMPUTE_PGM_RSRC2:USER_SGPR: 2
; COMPUTE_PGM_RSRC2:TRAP_HANDLER: 0
; COMPUTE_PGM_RSRC2:TGID_X_EN: 1
; COMPUTE_PGM_RSRC2:TGID_Y_EN: 1
; COMPUTE_PGM_RSRC2:TGID_Z_EN: 1
; COMPUTE_PGM_RSRC2:TIDIG_COMP_CNT: 1
	.section	.text._ZL29rocblas_internal_gemmt_kernelIlLi16ELi32ELi8ELc78ELc67ELc76ELb0ELb1E19rocblas_complex_numIfEPKS1_S3_PS1_EviT_T9_T10_S5_lS7_S5_lS6_T11_S5_li,"axG",@progbits,_ZL29rocblas_internal_gemmt_kernelIlLi16ELi32ELi8ELc78ELc67ELc76ELb0ELb1E19rocblas_complex_numIfEPKS1_S3_PS1_EviT_T9_T10_S5_lS7_S5_lS6_T11_S5_li,comdat
	.globl	_ZL29rocblas_internal_gemmt_kernelIlLi16ELi32ELi8ELc78ELc67ELc76ELb0ELb1E19rocblas_complex_numIfEPKS1_S3_PS1_EviT_T9_T10_S5_lS7_S5_lS6_T11_S5_li ; -- Begin function _ZL29rocblas_internal_gemmt_kernelIlLi16ELi32ELi8ELc78ELc67ELc76ELb0ELb1E19rocblas_complex_numIfEPKS1_S3_PS1_EviT_T9_T10_S5_lS7_S5_lS6_T11_S5_li
	.p2align	8
	.type	_ZL29rocblas_internal_gemmt_kernelIlLi16ELi32ELi8ELc78ELc67ELc76ELb0ELb1E19rocblas_complex_numIfEPKS1_S3_PS1_EviT_T9_T10_S5_lS7_S5_lS6_T11_S5_li,@function
_ZL29rocblas_internal_gemmt_kernelIlLi16ELi32ELi8ELc78ELc67ELc76ELb0ELb1E19rocblas_complex_numIfEPKS1_S3_PS1_EviT_T9_T10_S5_lS7_S5_lS6_T11_S5_li: ; @_ZL29rocblas_internal_gemmt_kernelIlLi16ELi32ELi8ELc78ELc67ELc76ELb0ELb1E19rocblas_complex_numIfEPKS1_S3_PS1_EviT_T9_T10_S5_lS7_S5_lS6_T11_S5_li
; %bb.0:
	s_load_b256 s[24:31], s[0:1], 0x48
	s_wait_kmcnt 0x0
	s_load_b64 s[6:7], s[24:25], 0x0
	s_load_b512 s[8:23], s[0:1], 0x8
	s_wait_kmcnt 0x0
	s_cmp_neq_f32 s6, 1.0
	s_load_b64 s[24:25], s[10:11], 0x0
	s_cselect_b32 s3, -1, 0
	s_and_b32 s4, s7, 0x7fffffff
	s_delay_alu instid0(SALU_CYCLE_1) | instskip(SKIP_3) | instid1(SALU_CYCLE_1)
	s_cmp_eq_u32 s4, 0
	s_cselect_b32 s2, -1, 0
	s_cmp_lg_u32 s4, 0
	s_cselect_b32 s4, -1, 0
	s_or_b32 s3, s3, s4
	s_delay_alu instid0(SALU_CYCLE_1)
	s_and_b32 vcc_lo, exec_lo, s3
	s_cbranch_vccnz .LBB227_2
; %bb.1:
	s_cmp_lg_u64 s[8:9], 0
	s_cselect_b32 s3, -1, 0
	s_wait_kmcnt 0x0
	s_cmp_neq_f32 s24, 0
	s_cselect_b32 s4, -1, 0
	s_cmp_neq_f32 s25, 0
	s_cselect_b32 s5, -1, 0
	s_delay_alu instid0(SALU_CYCLE_1) | instskip(NEXT) | instid1(SALU_CYCLE_1)
	s_or_b32 s4, s4, s5
	s_and_b32 s3, s3, s4
.LBB227_2:
	s_delay_alu instid0(SALU_CYCLE_1)
	s_and_not1_b32 vcc_lo, exec_lo, s3
	s_cbranch_vccnz .LBB227_37
; %bb.3:
	s_load_b32 s33, s[0:1], 0x68
	s_bfe_u32 s3, ttmp6, 0x40014
	s_lshr_b32 s4, ttmp7, 16
	s_add_co_i32 s3, s3, 1
	s_wait_xcnt 0x0
	s_bfe_u32 s10, ttmp6, 0x40008
	s_mul_i32 s5, s4, s3
	s_getreg_b32 s3, hwreg(HW_REG_IB_STS2, 6, 4)
	s_add_co_i32 s10, s10, s5
	s_cmp_eq_u32 s3, 0
	s_mov_b32 s11, 0
	s_cselect_b32 s10, s4, s10
	s_wait_kmcnt 0x0
	s_cmp_ge_u32 s10, s33
	s_cbranch_scc1 .LBB227_37
; %bb.4:
	s_bfe_u32 s4, ttmp6, 0x4000c
	s_bfe_u32 s34, ttmp6, 0x40010
	s_add_co_i32 s4, s4, 1
	s_and_b32 s35, ttmp7, 0xffff
	s_add_co_i32 s34, s34, 1
	v_and_b32_e32 v15, 0x3ff, v0
	v_bfe_u32 v19, v0, 10, 10
	s_and_b32 s5, ttmp6, 15
	s_mul_i32 s4, ttmp9, s4
	s_mul_i32 s34, s35, s34
	s_bfe_u32 s36, ttmp6, 0x40004
	s_add_co_i32 s5, s5, s4
	s_add_co_i32 s36, s36, s34
	s_cmp_eq_u32 s3, 0
	v_lshl_add_u32 v1, v19, 4, v15
	s_load_b32 s4, s[0:1], 0x0
	s_wait_xcnt 0x0
	s_cselect_b32 s0, ttmp9, s5
	s_cselect_b32 s1, s35, s36
	s_lshl_b32 s3, s0, 5
	s_lshl_b32 s0, s1, 5
	v_dual_lshrrev_b32 v3, 3, v1 :: v_dual_bitop2_b32 v5, 31, v1 bitop3:0x40
	v_dual_add_nc_u32 v20, s0, v19 :: v_dual_lshrrev_b32 v4, 5, v1
	v_dual_add_nc_u32 v14, s3, v15 :: v_dual_bitop2_b32 v6, 7, v0 bitop3:0x40
	s_delay_alu instid0(VALU_DEP_3) | instskip(NEXT) | instid1(VALU_DEP_3)
	v_dual_add_nc_u32 v2, s0, v3 :: v_dual_bitop2_b32 v0, s3, v5 bitop3:0x54
	v_dual_lshlrev_b32 v5, 3, v5 :: v_dual_add_nc_u32 v22, 16, v20
	v_ashrrev_i32_e32 v21, 31, v20
	s_cmp_neq_f32 s24, 0
	s_delay_alu instid0(VALU_DEP_3) | instskip(NEXT) | instid1(VALU_DEP_3)
	v_dual_lshlrev_b32 v7, 3, v6 :: v_dual_ashrrev_i32 v1, 31, v0
	v_ashrrev_i32_e32 v23, 31, v22
	s_delay_alu instid0(VALU_DEP_3)
	v_mul_u64_e32 v[10:11], s[28:29], v[20:21]
	s_cselect_b32 s1, -1, 0
	s_cmp_neq_f32 s25, 0
	v_lshl_or_b32 v3, v3, 6, v7
	v_mul_u64_e32 v[12:13], s[28:29], v[22:23]
	v_add_nc_u32_e32 v18, 16, v14
	s_cselect_b32 s5, -1, 0
	v_cmp_gt_i64_e64 s35, s[8:9], 0
	s_or_b32 s34, s1, s5
	s_cmp_neq_f32 s6, 0
	v_add_nc_u32_e32 v7, 0x800, v3
	v_dual_ashrrev_i32 v3, 31, v2 :: v_dual_lshlrev_b32 v27, 3, v15
	s_cselect_b32 s3, -1, 0
	s_xor_b32 s5, s2, -1
	v_cmp_le_i32_e64 s1, v20, v14
	s_wait_kmcnt 0x0
	v_cmp_gt_i32_e64 s2, s4, v14
	v_cmp_gt_i32_e64 s0, s4, v0
	v_cmp_gt_i32_e32 vcc_lo, s4, v2
	v_lshl_add_u64 v[16:17], v[2:3], 3, s[18:19]
	s_or_b32 s18, s3, s5
	s_and_b32 s19, s1, s2
	v_cmp_le_i32_e64 s1, v22, v14
	v_ashrrev_i32_e32 v15, 31, v14
	v_cmp_le_i32_e64 s3, v20, v18
	v_cmp_gt_i32_e64 s4, s4, v18
	v_cmp_le_i32_e64 s5, v22, v18
	v_lshl_or_b32 v5, v4, 8, v5
	v_lshl_add_u64 v[8:9], v[0:1], 3, s[12:13]
	v_lshl_add_u32 v29, v19, 6, 0x800
	v_dual_ashrrev_i32 v19, 31, v18 :: v_dual_mov_b32 v21, 0
	s_and_b32 s28, s3, s4
	s_and_b32 s1, s1, s2
	;; [unrolled: 1-line block ×3, first 2 shown]
	s_mov_b32 s2, s6
	s_mov_b32 s3, s6
	;; [unrolled: 1-line block ×3, first 2 shown]
	s_and_b32 s34, s34, s35
	s_mov_b32 s4, s25
	s_mov_b32 s5, s24
	s_xor_b32 s35, vcc_lo, -1
	s_branch .LBB227_6
.LBB227_5:                              ;   in Loop: Header=BB227_6 Depth=1
	s_wait_xcnt 0x0
	s_or_b32 exec_lo, exec_lo, s12
	s_add_co_i32 s10, s10, 0x10000
	s_delay_alu instid0(SALU_CYCLE_1)
	s_cmp_lt_u32 s10, s33
	s_cbranch_scc0 .LBB227_37
.LBB227_6:                              ; =>This Loop Header: Depth=1
                                        ;     Child Loop BB227_9 Depth 2
	v_dual_mov_b32 v38, v21 :: v_dual_mov_b32 v40, v21
	v_dual_mov_b32 v34, v21 :: v_dual_mov_b32 v36, v21
	;; [unrolled: 1-line block ×4, first 2 shown]
	s_and_not1_b32 vcc_lo, exec_lo, s34
	s_cbranch_vccnz .LBB227_17
; %bb.7:                                ;   in Loop: Header=BB227_6 Depth=1
	s_mul_u64 s[12:13], s[16:17], s[10:11]
	s_mul_u64 s[36:37], s[22:23], s[10:11]
	v_lshl_add_u64 v[22:23], s[12:13], 3, v[8:9]
	v_lshl_add_u64 v[24:25], s[36:37], 3, v[16:17]
	v_dual_mov_b32 v28, 0 :: v_dual_mov_b32 v26, 0
	v_dual_mov_b32 v32, 0 :: v_dual_mov_b32 v30, 0
	;; [unrolled: 1-line block ×4, first 2 shown]
	s_mov_b64 s[12:13], 0
	s_branch .LBB227_9
.LBB227_8:                              ;   in Loop: Header=BB227_9 Depth=2
	s_or_b32 exec_lo, exec_lo, s36
	ds_store_b32 v7, v0 offset:4
	s_wait_dscnt 0x0
	s_barrier_signal -1
	s_barrier_wait -1
	ds_load_b128 v[42:45], v29
	ds_load_b128 v[46:49], v29 offset:16
	ds_load_b128 v[50:53], v29 offset:32
	;; [unrolled: 1-line block ×3, first 2 shown]
	ds_load_2addr_b64 v[54:57], v27 offset1:16
	s_add_nc_u64 s[12:13], s[12:13], 8
	s_delay_alu instid0(SALU_CYCLE_1) | instskip(SKIP_3) | instid1(VALU_DEP_1)
	v_cmp_gt_i64_e64 s36, s[8:9], s[12:13]
	s_and_b32 vcc_lo, exec_lo, s36
	s_wait_dscnt 0x0
	v_dual_mul_f32 v20, v43, v55 :: v_dual_mul_f32 v31, v42, v55
	v_dual_mul_f32 v33, v42, v57 :: v_dual_fma_f32 v20, v42, v54, -v20
	s_delay_alu instid0(VALU_DEP_1) | instskip(NEXT) | instid1(VALU_DEP_1)
	v_dual_fmac_f32 v31, v43, v54 :: v_dual_fmac_f32 v33, v43, v56
	v_dual_add_f32 v20, v38, v20 :: v_dual_add_f32 v38, v40, v31
	v_mul_f32_e32 v31, v43, v57
	s_delay_alu instid0(VALU_DEP_1) | instskip(NEXT) | instid1(VALU_DEP_1)
	v_dual_add_f32 v40, v36, v33 :: v_dual_fma_f32 v31, v42, v56, -v31
	v_add_f32_e32 v39, v34, v31
	ds_load_b128 v[34:37], v29 offset:1024
	s_wait_dscnt 0x0
	v_dual_mul_f32 v31, v35, v55 :: v_dual_mul_f32 v33, v34, v55
	s_delay_alu instid0(VALU_DEP_1) | instskip(NEXT) | instid1(VALU_DEP_1)
	v_dual_fma_f32 v31, v34, v54, -v31 :: v_dual_fmac_f32 v33, v35, v54
	v_dual_add_f32 v41, v30, v31 :: v_dual_add_f32 v42, v32, v33
	v_dual_mul_f32 v30, v35, v57 :: v_dual_mul_f32 v31, v34, v57
	s_delay_alu instid0(VALU_DEP_1) | instskip(NEXT) | instid1(VALU_DEP_1)
	v_dual_fma_f32 v30, v34, v56, -v30 :: v_dual_fmac_f32 v31, v35, v56
	v_dual_add_f32 v26, v26, v30 :: v_dual_add_f32 v28, v28, v31
	ds_load_2addr_b64 v[30:33], v27 offset0:32 offset1:48
	s_wait_dscnt 0x0
	v_dual_mul_f32 v34, v45, v31 :: v_dual_mul_f32 v35, v44, v31
	s_delay_alu instid0(VALU_DEP_1) | instskip(NEXT) | instid1(VALU_DEP_1)
	v_dual_fma_f32 v34, v44, v30, -v34 :: v_dual_fmac_f32 v35, v45, v30
	v_dual_add_f32 v20, v20, v34 :: v_dual_add_f32 v34, v38, v35
	v_dual_mul_f32 v35, v45, v33 :: v_dual_mul_f32 v38, v44, v33
	s_delay_alu instid0(VALU_DEP_1) | instskip(NEXT) | instid1(VALU_DEP_1)
	v_dual_fma_f32 v35, v44, v32, -v35 :: v_dual_fmac_f32 v38, v45, v32
	v_dual_add_f32 v35, v39, v35 :: v_dual_add_f32 v38, v40, v38
	v_dual_mul_f32 v39, v37, v31 :: v_dual_mul_f32 v31, v36, v31
	s_delay_alu instid0(VALU_DEP_1) | instskip(NEXT) | instid1(VALU_DEP_2)
	v_fmac_f32_e32 v31, v37, v30
	v_dual_fma_f32 v39, v36, v30, -v39 :: v_dual_mul_f32 v30, v37, v33
	s_delay_alu instid0(VALU_DEP_2) | instskip(NEXT) | instid1(VALU_DEP_2)
	v_add_f32_e32 v40, v42, v31
	v_dual_add_f32 v39, v41, v39 :: v_dual_fma_f32 v30, v36, v32, -v30
	s_delay_alu instid0(VALU_DEP_1) | instskip(NEXT) | instid1(VALU_DEP_1)
	v_dual_mul_f32 v31, v36, v33 :: v_dual_add_f32 v26, v26, v30
	v_fmac_f32_e32 v31, v37, v32
	s_delay_alu instid0(VALU_DEP_1) | instskip(SKIP_3) | instid1(VALU_DEP_1)
	v_add_f32_e32 v28, v28, v31
	ds_load_2addr_b64 v[30:33], v27 offset0:64 offset1:80
	s_wait_dscnt 0x0
	v_mul_f32_e32 v36, v47, v31
	v_dual_fma_f32 v36, v46, v30, -v36 :: v_dual_mul_f32 v37, v46, v31
	s_delay_alu instid0(VALU_DEP_1) | instskip(SKIP_1) | instid1(VALU_DEP_2)
	v_dual_add_f32 v20, v20, v36 :: v_dual_fmac_f32 v37, v47, v30
	v_mul_f32_e32 v36, v46, v33
	v_add_f32_e32 v41, v34, v37
	v_mul_f32_e32 v34, v47, v33
	s_delay_alu instid0(VALU_DEP_1) | instskip(NEXT) | instid1(VALU_DEP_1)
	v_fma_f32 v34, v46, v32, -v34
	v_add_f32_e32 v42, v35, v34
	v_fmac_f32_e32 v36, v47, v32
	s_delay_alu instid0(VALU_DEP_1) | instskip(SKIP_3) | instid1(VALU_DEP_1)
	v_add_f32_e32 v38, v38, v36
	ds_load_b128 v[34:37], v29 offset:1040
	s_wait_dscnt 0x0
	v_dual_mul_f32 v43, v35, v31 :: v_dual_mul_f32 v31, v34, v31
	v_fma_f32 v43, v34, v30, -v43
	s_delay_alu instid0(VALU_DEP_2) | instskip(NEXT) | instid1(VALU_DEP_2)
	v_dual_fmac_f32 v31, v35, v30 :: v_dual_mul_f32 v30, v35, v33
	v_add_f32_e32 v39, v39, v43
	s_delay_alu instid0(VALU_DEP_2) | instskip(NEXT) | instid1(VALU_DEP_1)
	v_dual_add_f32 v40, v40, v31 :: v_dual_mul_f32 v31, v34, v33
	v_dual_fma_f32 v30, v34, v32, -v30 :: v_dual_fmac_f32 v31, v35, v32
	s_delay_alu instid0(VALU_DEP_1) | instskip(SKIP_3) | instid1(VALU_DEP_1)
	v_dual_add_f32 v26, v26, v30 :: v_dual_add_f32 v28, v28, v31
	ds_load_2addr_b64 v[30:33], v27 offset0:96 offset1:112
	s_wait_dscnt 0x0
	v_dual_mul_f32 v34, v49, v31 :: v_dual_mul_f32 v35, v48, v31
	v_dual_fma_f32 v34, v48, v30, -v34 :: v_dual_fmac_f32 v35, v49, v30
	s_delay_alu instid0(VALU_DEP_1) | instskip(SKIP_1) | instid1(VALU_DEP_1)
	v_dual_add_f32 v20, v20, v34 :: v_dual_add_f32 v34, v41, v35
	v_mul_f32_e32 v41, v48, v33
	v_fmac_f32_e32 v41, v49, v32
	s_delay_alu instid0(VALU_DEP_1) | instskip(SKIP_1) | instid1(VALU_DEP_2)
	v_dual_add_f32 v38, v38, v41 :: v_dual_mul_f32 v41, v37, v31
	v_dual_mul_f32 v35, v49, v33 :: v_dual_mul_f32 v31, v36, v31
	v_fma_f32 v41, v36, v30, -v41
	s_delay_alu instid0(VALU_DEP_2) | instskip(NEXT) | instid1(VALU_DEP_3)
	v_fma_f32 v35, v48, v32, -v35
	v_dual_fmac_f32 v31, v37, v30 :: v_dual_mul_f32 v30, v37, v33
	s_delay_alu instid0(VALU_DEP_2) | instskip(NEXT) | instid1(VALU_DEP_2)
	v_dual_add_f32 v39, v39, v41 :: v_dual_add_f32 v35, v42, v35
	v_add_f32_e32 v40, v40, v31
	s_delay_alu instid0(VALU_DEP_3) | instskip(NEXT) | instid1(VALU_DEP_1)
	v_dual_fma_f32 v30, v36, v32, -v30 :: v_dual_mul_f32 v31, v36, v33
	v_dual_fmac_f32 v31, v37, v32 :: v_dual_add_f32 v26, v26, v30
	s_delay_alu instid0(VALU_DEP_1) | instskip(SKIP_3) | instid1(VALU_DEP_1)
	v_add_f32_e32 v28, v28, v31
	ds_load_2addr_b64 v[30:33], v27 offset0:128 offset1:144
	s_wait_dscnt 0x0
	v_dual_mul_f32 v36, v51, v31 :: v_dual_mul_f32 v37, v50, v31
	v_dual_fma_f32 v36, v50, v30, -v36 :: v_dual_fmac_f32 v37, v51, v30
	s_delay_alu instid0(VALU_DEP_1) | instskip(SKIP_1) | instid1(VALU_DEP_1)
	v_dual_add_f32 v20, v20, v36 :: v_dual_add_f32 v41, v34, v37
	v_dual_mul_f32 v34, v51, v33 :: v_dual_mul_f32 v36, v50, v33
	v_dual_fma_f32 v34, v50, v32, -v34 :: v_dual_fmac_f32 v36, v51, v32
	s_delay_alu instid0(VALU_DEP_1) | instskip(SKIP_3) | instid1(VALU_DEP_1)
	v_dual_add_f32 v42, v35, v34 :: v_dual_add_f32 v38, v38, v36
	ds_load_b128 v[34:37], v29 offset:1056
	s_wait_dscnt 0x0
	v_dual_mul_f32 v43, v35, v31 :: v_dual_mul_f32 v31, v34, v31
	v_fmac_f32_e32 v31, v35, v30
	s_delay_alu instid0(VALU_DEP_2) | instskip(NEXT) | instid1(VALU_DEP_2)
	v_dual_fma_f32 v43, v34, v30, -v43 :: v_dual_mul_f32 v30, v35, v33
	v_dual_add_f32 v40, v40, v31 :: v_dual_mul_f32 v31, v34, v33
	s_delay_alu instid0(VALU_DEP_2) | instskip(NEXT) | instid1(VALU_DEP_1)
	v_dual_add_f32 v39, v39, v43 :: v_dual_fma_f32 v30, v34, v32, -v30
	v_dual_fmac_f32 v31, v35, v32 :: v_dual_add_f32 v26, v26, v30
	s_delay_alu instid0(VALU_DEP_1) | instskip(SKIP_3) | instid1(VALU_DEP_1)
	v_add_f32_e32 v28, v28, v31
	ds_load_2addr_b64 v[30:33], v27 offset0:160 offset1:176
	s_wait_dscnt 0x0
	v_dual_mul_f32 v34, v53, v31 :: v_dual_mul_f32 v35, v52, v31
	v_dual_fma_f32 v34, v52, v30, -v34 :: v_dual_fmac_f32 v35, v53, v30
	s_delay_alu instid0(VALU_DEP_1) | instskip(SKIP_1) | instid1(VALU_DEP_1)
	v_dual_add_f32 v20, v20, v34 :: v_dual_add_f32 v34, v41, v35
	v_mul_f32_e32 v41, v52, v33
	v_fmac_f32_e32 v41, v53, v32
	s_delay_alu instid0(VALU_DEP_1) | instskip(SKIP_1) | instid1(VALU_DEP_2)
	v_dual_add_f32 v38, v38, v41 :: v_dual_mul_f32 v41, v37, v31
	v_dual_mul_f32 v35, v53, v33 :: v_dual_mul_f32 v31, v36, v31
	v_fma_f32 v41, v36, v30, -v41
	s_delay_alu instid0(VALU_DEP_2) | instskip(NEXT) | instid1(VALU_DEP_3)
	v_fma_f32 v35, v52, v32, -v35
	v_dual_fmac_f32 v31, v37, v30 :: v_dual_mul_f32 v30, v37, v33
	s_delay_alu instid0(VALU_DEP_2) | instskip(NEXT) | instid1(VALU_DEP_2)
	v_dual_add_f32 v39, v39, v41 :: v_dual_add_f32 v35, v42, v35
	v_add_f32_e32 v44, v40, v31
	s_delay_alu instid0(VALU_DEP_3) | instskip(SKIP_2) | instid1(VALU_DEP_1)
	v_dual_fma_f32 v30, v36, v32, -v30 :: v_dual_mul_f32 v31, v36, v33
	ds_load_b128 v[40:43], v29 offset:1072
	v_dual_fmac_f32 v31, v37, v32 :: v_dual_add_f32 v26, v26, v30
	v_add_f32_e32 v28, v28, v31
	ds_load_2addr_b64 v[30:33], v27 offset0:192 offset1:208
	s_wait_dscnt 0x0
	v_dual_mul_f32 v36, v1, v31 :: v_dual_mul_f32 v37, v0, v31
	s_delay_alu instid0(VALU_DEP_1) | instskip(NEXT) | instid1(VALU_DEP_1)
	v_dual_fma_f32 v36, v0, v30, -v36 :: v_dual_fmac_f32 v37, v1, v30
	v_dual_add_f32 v20, v20, v36 :: v_dual_add_f32 v34, v34, v37
	v_mul_f32_e32 v36, v1, v33
	s_delay_alu instid0(VALU_DEP_1) | instskip(NEXT) | instid1(VALU_DEP_1)
	v_dual_fma_f32 v36, v0, v32, -v36 :: v_dual_mul_f32 v0, v0, v33
	v_fmac_f32_e32 v0, v1, v32
	s_delay_alu instid0(VALU_DEP_2) | instskip(NEXT) | instid1(VALU_DEP_1)
	v_dual_add_f32 v1, v35, v36 :: v_dual_mul_f32 v35, v41, v31
	v_dual_mul_f32 v31, v40, v31 :: v_dual_fma_f32 v35, v40, v30, -v35
	s_delay_alu instid0(VALU_DEP_1) | instskip(NEXT) | instid1(VALU_DEP_2)
	v_dual_add_f32 v0, v38, v0 :: v_dual_fmac_f32 v31, v41, v30
	v_dual_add_f32 v30, v39, v35 :: v_dual_mul_f32 v35, v41, v33
	v_mul_f32_e32 v33, v40, v33
	s_delay_alu instid0(VALU_DEP_3)
	v_add_f32_e32 v31, v44, v31
	ds_load_2addr_b64 v[44:47], v27 offset0:224 offset1:240
	s_wait_dscnt 0x0
	v_dual_fma_f32 v35, v40, v32, -v35 :: v_dual_fmac_f32 v33, v41, v32
	s_barrier_signal -1
	s_barrier_wait -1
	s_delay_alu instid0(VALU_DEP_1) | instskip(SKIP_1) | instid1(VALU_DEP_1)
	v_dual_add_f32 v26, v26, v35 :: v_dual_add_f32 v28, v28, v33
	v_dual_mul_f32 v32, v3, v45 :: v_dual_mul_f32 v33, v2, v45
	v_dual_fma_f32 v32, v2, v44, -v32 :: v_dual_fmac_f32 v33, v3, v44
	s_delay_alu instid0(VALU_DEP_1) | instskip(SKIP_1) | instid1(VALU_DEP_1)
	v_dual_add_f32 v38, v20, v32 :: v_dual_add_f32 v40, v34, v33
	v_mul_f32_e32 v20, v3, v47
	v_dual_fma_f32 v20, v2, v46, -v20 :: v_dual_mul_f32 v2, v2, v47
	s_delay_alu instid0(VALU_DEP_1) | instskip(NEXT) | instid1(VALU_DEP_1)
	v_dual_fmac_f32 v2, v3, v46 :: v_dual_add_f32 v34, v1, v20
	v_dual_mul_f32 v1, v42, v45 :: v_dual_add_f32 v36, v0, v2
	s_delay_alu instid0(VALU_DEP_1) | instskip(NEXT) | instid1(VALU_DEP_1)
	v_dual_mul_f32 v0, v43, v45 :: v_dual_fmac_f32 v1, v43, v44
	v_dual_fma_f32 v0, v42, v44, -v0 :: v_dual_add_f32 v32, v31, v1
	v_mul_f32_e32 v1, v42, v47
	s_delay_alu instid0(VALU_DEP_2) | instskip(NEXT) | instid1(VALU_DEP_1)
	v_dual_add_f32 v30, v30, v0 :: v_dual_mul_f32 v0, v43, v47
	v_dual_fmac_f32 v1, v43, v46 :: v_dual_fma_f32 v0, v42, v46, -v0
	s_delay_alu instid0(VALU_DEP_1)
	v_dual_add_f32 v28, v28, v1 :: v_dual_add_f32 v26, v26, v0
	s_cbranch_vccz .LBB227_17
.LBB227_9:                              ;   Parent Loop BB227_6 Depth=1
                                        ; =>  This Inner Loop Header: Depth=2
	v_dual_mov_b32 v0, 0 :: v_dual_mov_b32 v1, 0
	s_and_saveexec_b32 s36, s0
	s_cbranch_execz .LBB227_13
; %bb.10:                               ;   in Loop: Header=BB227_9 Depth=2
	v_dual_mov_b32 v1, 0 :: v_dual_add_nc_u32 v20, s12, v4
	v_mov_b32_e32 v0, 0
	s_mov_b32 s37, exec_lo
	s_delay_alu instid0(VALU_DEP_2)
	v_cmpx_gt_u64_e64 s[8:9], v[20:21]
	s_cbranch_execz .LBB227_12
; %bb.11:                               ;   in Loop: Header=BB227_9 Depth=2
	v_mul_u64_e32 v[0:1], s[14:15], v[20:21]
	s_delay_alu instid0(VALU_DEP_1)
	v_lshl_add_u64 v[0:1], v[0:1], 3, v[22:23]
	global_load_b64 v[0:1], v[0:1], off
.LBB227_12:                             ;   in Loop: Header=BB227_9 Depth=2
	s_wait_xcnt 0x0
	s_or_b32 exec_lo, exec_lo, s37
.LBB227_13:                             ;   in Loop: Header=BB227_9 Depth=2
	s_delay_alu instid0(SALU_CYCLE_1)
	s_or_b32 exec_lo, exec_lo, s36
	v_add_nc_u32_e32 v20, s12, v6
	s_wait_loadcnt 0x0
	ds_store_b64 v5, v[0:1]
	v_cmp_le_u64_e32 vcc_lo, s[8:9], v[20:21]
	s_or_b32 s36, vcc_lo, s35
	s_delay_alu instid0(SALU_CYCLE_1) | instskip(NEXT) | instid1(SALU_CYCLE_1)
	s_and_saveexec_b32 s37, s36
	s_xor_b32 s36, exec_lo, s37
; %bb.14:                               ;   in Loop: Header=BB227_9 Depth=2
	ds_store_b32 v7, v21
; %bb.15:                               ;   in Loop: Header=BB227_9 Depth=2
	s_or_saveexec_b32 s36, s36
	v_mov_b32_e32 v0, 0
	s_xor_b32 exec_lo, exec_lo, s36
	s_cbranch_execz .LBB227_8
; %bb.16:                               ;   in Loop: Header=BB227_9 Depth=2
	v_mul_u64_e32 v[0:1], s[20:21], v[20:21]
	s_delay_alu instid0(VALU_DEP_1)
	v_lshl_add_u64 v[0:1], v[0:1], 3, v[24:25]
	global_load_b64 v[2:3], v[0:1], off
	s_wait_loadcnt 0x0
	s_wait_xcnt 0x0
	v_xor_b32_e32 v0, 0x80000000, v3
	ds_store_b32 v7, v2
	s_branch .LBB227_8
.LBB227_17:                             ;   in Loop: Header=BB227_6 Depth=1
	s_mul_u64 s[12:13], s[30:31], s[10:11]
	s_delay_alu instid0(SALU_CYCLE_1) | instskip(NEXT) | instid1(SALU_CYCLE_1)
	s_lshl_b64 s[12:13], s[12:13], 3
	s_add_nc_u64 s[12:13], s[26:27], s[12:13]
	s_delay_alu instid0(SALU_CYCLE_1)
	v_lshl_add_u64 v[0:1], v[10:11], 3, s[12:13]
	s_and_saveexec_b32 s36, s19
	s_cbranch_execz .LBB227_22
; %bb.18:                               ;   in Loop: Header=BB227_6 Depth=1
	v_mov_b64_e32 v[2:3], s[4:5]
	v_mov_b64_e32 v[22:23], s[24:25]
	s_and_b32 vcc_lo, exec_lo, s18
	s_mov_b32 s37, -1
	s_delay_alu instid0(VALU_DEP_2) | instskip(NEXT) | instid1(VALU_DEP_1)
	v_pk_mul_f32 v[2:3], v[40:41], v[2:3] op_sel_hi:[0,1]
	v_pk_fma_f32 v[24:25], v[38:39], v[22:23], v[2:3] op_sel_hi:[0,1,1]
	v_pk_fma_f32 v[2:3], v[38:39], v[22:23], v[2:3] neg_lo:[0,0,1] neg_hi:[0,0,1]
	v_lshl_add_u64 v[22:23], v[14:15], 3, v[0:1]
	s_delay_alu instid0(VALU_DEP_3)
	v_mov_b32_e32 v3, v25
	s_cbranch_vccz .LBB227_20
; %bb.19:                               ;   in Loop: Header=BB227_6 Depth=1
	global_load_b64 v[24:25], v[22:23], off
	v_mov_b64_e32 v[38:39], s[6:7]
	v_mov_b64_e32 v[40:41], s[2:3]
	s_mov_b32 s37, 0
	s_wait_loadcnt 0x0
	s_delay_alu instid0(VALU_DEP_2) | instskip(NEXT) | instid1(VALU_DEP_1)
	v_pk_mul_f32 v[38:39], v[24:25], v[38:39]
	v_pk_fma_f32 v[42:43], v[24:25], v[40:41], v[38:39] op_sel:[0,0,1] op_sel_hi:[1,1,0]
	v_pk_fma_f32 v[24:25], v[24:25], v[40:41], v[38:39] op_sel:[0,0,1] op_sel_hi:[1,1,0] neg_lo:[0,0,1] neg_hi:[0,0,1]
	s_delay_alu instid0(VALU_DEP_2) | instskip(NEXT) | instid1(VALU_DEP_1)
	v_mov_b32_e32 v25, v43
	v_pk_add_f32 v[24:25], v[2:3], v[24:25]
	global_store_b64 v[22:23], v[24:25], off
.LBB227_20:                             ;   in Loop: Header=BB227_6 Depth=1
	s_and_not1_b32 vcc_lo, exec_lo, s37
	s_cbranch_vccnz .LBB227_22
; %bb.21:                               ;   in Loop: Header=BB227_6 Depth=1
	global_store_b64 v[22:23], v[2:3], off
.LBB227_22:                             ;   in Loop: Header=BB227_6 Depth=1
	s_wait_xcnt 0x0
	s_or_b32 exec_lo, exec_lo, s36
	s_and_saveexec_b32 s36, s28
	s_cbranch_execz .LBB227_27
; %bb.23:                               ;   in Loop: Header=BB227_6 Depth=1
	v_mov_b64_e32 v[2:3], s[4:5]
	v_mov_b64_e32 v[22:23], s[24:25]
	v_lshl_add_u64 v[0:1], v[18:19], 3, v[0:1]
	s_and_not1_b32 vcc_lo, exec_lo, s18
	s_mov_b32 s37, -1
	s_delay_alu instid0(VALU_DEP_3) | instskip(NEXT) | instid1(VALU_DEP_1)
	v_pk_mul_f32 v[2:3], v[36:37], v[2:3] op_sel_hi:[0,1]
	v_pk_fma_f32 v[24:25], v[34:35], v[22:23], v[2:3] op_sel_hi:[0,1,1]
	v_pk_fma_f32 v[2:3], v[34:35], v[22:23], v[2:3] neg_lo:[0,0,1] neg_hi:[0,0,1]
	s_delay_alu instid0(VALU_DEP_2)
	v_mov_b32_e32 v3, v25
	s_cbranch_vccnz .LBB227_25
; %bb.24:                               ;   in Loop: Header=BB227_6 Depth=1
	global_load_b64 v[22:23], v[0:1], off
	v_mov_b64_e32 v[24:25], s[6:7]
	v_mov_b64_e32 v[34:35], s[2:3]
	s_mov_b32 s37, 0
	s_wait_loadcnt 0x0
	s_delay_alu instid0(VALU_DEP_2) | instskip(NEXT) | instid1(VALU_DEP_1)
	v_pk_mul_f32 v[24:25], v[22:23], v[24:25]
	v_pk_fma_f32 v[36:37], v[22:23], v[34:35], v[24:25] op_sel:[0,0,1] op_sel_hi:[1,1,0]
	v_pk_fma_f32 v[22:23], v[22:23], v[34:35], v[24:25] op_sel:[0,0,1] op_sel_hi:[1,1,0] neg_lo:[0,0,1] neg_hi:[0,0,1]
	s_delay_alu instid0(VALU_DEP_2) | instskip(NEXT) | instid1(VALU_DEP_1)
	v_mov_b32_e32 v23, v37
	v_pk_add_f32 v[22:23], v[2:3], v[22:23]
	global_store_b64 v[0:1], v[22:23], off
.LBB227_25:                             ;   in Loop: Header=BB227_6 Depth=1
	s_and_not1_b32 vcc_lo, exec_lo, s37
	s_cbranch_vccnz .LBB227_27
; %bb.26:                               ;   in Loop: Header=BB227_6 Depth=1
	global_store_b64 v[0:1], v[2:3], off
.LBB227_27:                             ;   in Loop: Header=BB227_6 Depth=1
	s_wait_xcnt 0x0
	s_or_b32 exec_lo, exec_lo, s36
	v_lshl_add_u64 v[0:1], v[12:13], 3, s[12:13]
	s_and_saveexec_b32 s12, s1
	s_cbranch_execz .LBB227_32
; %bb.28:                               ;   in Loop: Header=BB227_6 Depth=1
	v_mov_b64_e32 v[2:3], s[4:5]
	v_mov_b64_e32 v[22:23], s[24:25]
	s_and_not1_b32 vcc_lo, exec_lo, s18
	s_mov_b32 s13, -1
	s_delay_alu instid0(VALU_DEP_2) | instskip(NEXT) | instid1(VALU_DEP_1)
	v_pk_mul_f32 v[2:3], v[32:33], v[2:3] op_sel_hi:[0,1]
	v_pk_fma_f32 v[24:25], v[30:31], v[22:23], v[2:3] op_sel_hi:[0,1,1]
	v_pk_fma_f32 v[2:3], v[30:31], v[22:23], v[2:3] neg_lo:[0,0,1] neg_hi:[0,0,1]
	v_lshl_add_u64 v[22:23], v[14:15], 3, v[0:1]
	s_delay_alu instid0(VALU_DEP_3)
	v_mov_b32_e32 v3, v25
	s_cbranch_vccnz .LBB227_30
; %bb.29:                               ;   in Loop: Header=BB227_6 Depth=1
	global_load_b64 v[24:25], v[22:23], off
	v_mov_b64_e32 v[30:31], s[6:7]
	v_mov_b64_e32 v[32:33], s[2:3]
	s_mov_b32 s13, 0
	s_wait_loadcnt 0x0
	s_delay_alu instid0(VALU_DEP_2) | instskip(NEXT) | instid1(VALU_DEP_1)
	v_pk_mul_f32 v[30:31], v[24:25], v[30:31]
	v_pk_fma_f32 v[34:35], v[24:25], v[32:33], v[30:31] op_sel:[0,0,1] op_sel_hi:[1,1,0]
	v_pk_fma_f32 v[24:25], v[24:25], v[32:33], v[30:31] op_sel:[0,0,1] op_sel_hi:[1,1,0] neg_lo:[0,0,1] neg_hi:[0,0,1]
	s_delay_alu instid0(VALU_DEP_2) | instskip(NEXT) | instid1(VALU_DEP_1)
	v_mov_b32_e32 v25, v35
	v_pk_add_f32 v[24:25], v[2:3], v[24:25]
	global_store_b64 v[22:23], v[24:25], off
.LBB227_30:                             ;   in Loop: Header=BB227_6 Depth=1
	s_and_not1_b32 vcc_lo, exec_lo, s13
	s_cbranch_vccnz .LBB227_32
; %bb.31:                               ;   in Loop: Header=BB227_6 Depth=1
	global_store_b64 v[22:23], v[2:3], off
.LBB227_32:                             ;   in Loop: Header=BB227_6 Depth=1
	s_wait_xcnt 0x0
	s_or_b32 exec_lo, exec_lo, s12
	s_and_saveexec_b32 s12, s29
	s_cbranch_execz .LBB227_5
; %bb.33:                               ;   in Loop: Header=BB227_6 Depth=1
	v_mov_b64_e32 v[2:3], s[4:5]
	v_mov_b64_e32 v[22:23], s[24:25]
	v_lshl_add_u64 v[0:1], v[18:19], 3, v[0:1]
	s_and_not1_b32 vcc_lo, exec_lo, s18
	s_mov_b32 s13, -1
	s_delay_alu instid0(VALU_DEP_3) | instskip(NEXT) | instid1(VALU_DEP_1)
	v_pk_mul_f32 v[2:3], v[28:29], v[2:3] op_sel_hi:[0,1]
	v_pk_fma_f32 v[24:25], v[26:27], v[22:23], v[2:3] op_sel_hi:[0,1,1]
	v_pk_fma_f32 v[2:3], v[26:27], v[22:23], v[2:3] neg_lo:[0,0,1] neg_hi:[0,0,1]
	s_delay_alu instid0(VALU_DEP_2)
	v_mov_b32_e32 v3, v25
	s_cbranch_vccnz .LBB227_35
; %bb.34:                               ;   in Loop: Header=BB227_6 Depth=1
	global_load_b64 v[22:23], v[0:1], off
	v_mov_b64_e32 v[24:25], s[6:7]
	v_mov_b64_e32 v[30:31], s[2:3]
	s_mov_b32 s13, 0
	s_wait_loadcnt 0x0
	s_delay_alu instid0(VALU_DEP_2) | instskip(NEXT) | instid1(VALU_DEP_1)
	v_pk_mul_f32 v[24:25], v[22:23], v[24:25]
	v_pk_fma_f32 v[32:33], v[22:23], v[30:31], v[24:25] op_sel:[0,0,1] op_sel_hi:[1,1,0]
	v_pk_fma_f32 v[22:23], v[22:23], v[30:31], v[24:25] op_sel:[0,0,1] op_sel_hi:[1,1,0] neg_lo:[0,0,1] neg_hi:[0,0,1]
	s_delay_alu instid0(VALU_DEP_2) | instskip(NEXT) | instid1(VALU_DEP_1)
	v_mov_b32_e32 v23, v33
	v_pk_add_f32 v[22:23], v[2:3], v[22:23]
	global_store_b64 v[0:1], v[22:23], off
.LBB227_35:                             ;   in Loop: Header=BB227_6 Depth=1
	s_and_not1_b32 vcc_lo, exec_lo, s13
	s_cbranch_vccnz .LBB227_5
; %bb.36:                               ;   in Loop: Header=BB227_6 Depth=1
	global_store_b64 v[0:1], v[2:3], off
	s_branch .LBB227_5
.LBB227_37:
	s_endpgm
	.section	.rodata,"a",@progbits
	.p2align	6, 0x0
	.amdhsa_kernel _ZL29rocblas_internal_gemmt_kernelIlLi16ELi32ELi8ELc78ELc67ELc76ELb0ELb1E19rocblas_complex_numIfEPKS1_S3_PS1_EviT_T9_T10_S5_lS7_S5_lS6_T11_S5_li
		.amdhsa_group_segment_fixed_size 4096
		.amdhsa_private_segment_fixed_size 0
		.amdhsa_kernarg_size 108
		.amdhsa_user_sgpr_count 2
		.amdhsa_user_sgpr_dispatch_ptr 0
		.amdhsa_user_sgpr_queue_ptr 0
		.amdhsa_user_sgpr_kernarg_segment_ptr 1
		.amdhsa_user_sgpr_dispatch_id 0
		.amdhsa_user_sgpr_kernarg_preload_length 0
		.amdhsa_user_sgpr_kernarg_preload_offset 0
		.amdhsa_user_sgpr_private_segment_size 0
		.amdhsa_wavefront_size32 1
		.amdhsa_uses_dynamic_stack 0
		.amdhsa_enable_private_segment 0
		.amdhsa_system_sgpr_workgroup_id_x 1
		.amdhsa_system_sgpr_workgroup_id_y 1
		.amdhsa_system_sgpr_workgroup_id_z 1
		.amdhsa_system_sgpr_workgroup_info 0
		.amdhsa_system_vgpr_workitem_id 1
		.amdhsa_next_free_vgpr 58
		.amdhsa_next_free_sgpr 38
		.amdhsa_named_barrier_count 0
		.amdhsa_reserve_vcc 1
		.amdhsa_float_round_mode_32 0
		.amdhsa_float_round_mode_16_64 0
		.amdhsa_float_denorm_mode_32 3
		.amdhsa_float_denorm_mode_16_64 3
		.amdhsa_fp16_overflow 0
		.amdhsa_memory_ordered 1
		.amdhsa_forward_progress 1
		.amdhsa_inst_pref_size 26
		.amdhsa_round_robin_scheduling 0
		.amdhsa_exception_fp_ieee_invalid_op 0
		.amdhsa_exception_fp_denorm_src 0
		.amdhsa_exception_fp_ieee_div_zero 0
		.amdhsa_exception_fp_ieee_overflow 0
		.amdhsa_exception_fp_ieee_underflow 0
		.amdhsa_exception_fp_ieee_inexact 0
		.amdhsa_exception_int_div_zero 0
	.end_amdhsa_kernel
	.section	.text._ZL29rocblas_internal_gemmt_kernelIlLi16ELi32ELi8ELc78ELc67ELc76ELb0ELb1E19rocblas_complex_numIfEPKS1_S3_PS1_EviT_T9_T10_S5_lS7_S5_lS6_T11_S5_li,"axG",@progbits,_ZL29rocblas_internal_gemmt_kernelIlLi16ELi32ELi8ELc78ELc67ELc76ELb0ELb1E19rocblas_complex_numIfEPKS1_S3_PS1_EviT_T9_T10_S5_lS7_S5_lS6_T11_S5_li,comdat
.Lfunc_end227:
	.size	_ZL29rocblas_internal_gemmt_kernelIlLi16ELi32ELi8ELc78ELc67ELc76ELb0ELb1E19rocblas_complex_numIfEPKS1_S3_PS1_EviT_T9_T10_S5_lS7_S5_lS6_T11_S5_li, .Lfunc_end227-_ZL29rocblas_internal_gemmt_kernelIlLi16ELi32ELi8ELc78ELc67ELc76ELb0ELb1E19rocblas_complex_numIfEPKS1_S3_PS1_EviT_T9_T10_S5_lS7_S5_lS6_T11_S5_li
                                        ; -- End function
	.set _ZL29rocblas_internal_gemmt_kernelIlLi16ELi32ELi8ELc78ELc67ELc76ELb0ELb1E19rocblas_complex_numIfEPKS1_S3_PS1_EviT_T9_T10_S5_lS7_S5_lS6_T11_S5_li.num_vgpr, 58
	.set _ZL29rocblas_internal_gemmt_kernelIlLi16ELi32ELi8ELc78ELc67ELc76ELb0ELb1E19rocblas_complex_numIfEPKS1_S3_PS1_EviT_T9_T10_S5_lS7_S5_lS6_T11_S5_li.num_agpr, 0
	.set _ZL29rocblas_internal_gemmt_kernelIlLi16ELi32ELi8ELc78ELc67ELc76ELb0ELb1E19rocblas_complex_numIfEPKS1_S3_PS1_EviT_T9_T10_S5_lS7_S5_lS6_T11_S5_li.numbered_sgpr, 38
	.set _ZL29rocblas_internal_gemmt_kernelIlLi16ELi32ELi8ELc78ELc67ELc76ELb0ELb1E19rocblas_complex_numIfEPKS1_S3_PS1_EviT_T9_T10_S5_lS7_S5_lS6_T11_S5_li.num_named_barrier, 0
	.set _ZL29rocblas_internal_gemmt_kernelIlLi16ELi32ELi8ELc78ELc67ELc76ELb0ELb1E19rocblas_complex_numIfEPKS1_S3_PS1_EviT_T9_T10_S5_lS7_S5_lS6_T11_S5_li.private_seg_size, 0
	.set _ZL29rocblas_internal_gemmt_kernelIlLi16ELi32ELi8ELc78ELc67ELc76ELb0ELb1E19rocblas_complex_numIfEPKS1_S3_PS1_EviT_T9_T10_S5_lS7_S5_lS6_T11_S5_li.uses_vcc, 1
	.set _ZL29rocblas_internal_gemmt_kernelIlLi16ELi32ELi8ELc78ELc67ELc76ELb0ELb1E19rocblas_complex_numIfEPKS1_S3_PS1_EviT_T9_T10_S5_lS7_S5_lS6_T11_S5_li.uses_flat_scratch, 0
	.set _ZL29rocblas_internal_gemmt_kernelIlLi16ELi32ELi8ELc78ELc67ELc76ELb0ELb1E19rocblas_complex_numIfEPKS1_S3_PS1_EviT_T9_T10_S5_lS7_S5_lS6_T11_S5_li.has_dyn_sized_stack, 0
	.set _ZL29rocblas_internal_gemmt_kernelIlLi16ELi32ELi8ELc78ELc67ELc76ELb0ELb1E19rocblas_complex_numIfEPKS1_S3_PS1_EviT_T9_T10_S5_lS7_S5_lS6_T11_S5_li.has_recursion, 0
	.set _ZL29rocblas_internal_gemmt_kernelIlLi16ELi32ELi8ELc78ELc67ELc76ELb0ELb1E19rocblas_complex_numIfEPKS1_S3_PS1_EviT_T9_T10_S5_lS7_S5_lS6_T11_S5_li.has_indirect_call, 0
	.section	.AMDGPU.csdata,"",@progbits
; Kernel info:
; codeLenInByte = 3208
; TotalNumSgprs: 40
; NumVgprs: 58
; ScratchSize: 0
; MemoryBound: 0
; FloatMode: 240
; IeeeMode: 1
; LDSByteSize: 4096 bytes/workgroup (compile time only)
; SGPRBlocks: 0
; VGPRBlocks: 3
; NumSGPRsForWavesPerEU: 40
; NumVGPRsForWavesPerEU: 58
; NamedBarCnt: 0
; Occupancy: 16
; WaveLimiterHint : 0
; COMPUTE_PGM_RSRC2:SCRATCH_EN: 0
; COMPUTE_PGM_RSRC2:USER_SGPR: 2
; COMPUTE_PGM_RSRC2:TRAP_HANDLER: 0
; COMPUTE_PGM_RSRC2:TGID_X_EN: 1
; COMPUTE_PGM_RSRC2:TGID_Y_EN: 1
; COMPUTE_PGM_RSRC2:TGID_Z_EN: 1
; COMPUTE_PGM_RSRC2:TIDIG_COMP_CNT: 1
	.section	.text._ZL29rocblas_internal_gemmt_kernelIlLi16ELi32ELi8ELc84ELc78ELc76ELb0ELb0E19rocblas_complex_numIfEPKS1_S3_PS1_EviT_T9_T10_S5_lS7_S5_lS6_T11_S5_li,"axG",@progbits,_ZL29rocblas_internal_gemmt_kernelIlLi16ELi32ELi8ELc84ELc78ELc76ELb0ELb0E19rocblas_complex_numIfEPKS1_S3_PS1_EviT_T9_T10_S5_lS7_S5_lS6_T11_S5_li,comdat
	.globl	_ZL29rocblas_internal_gemmt_kernelIlLi16ELi32ELi8ELc84ELc78ELc76ELb0ELb0E19rocblas_complex_numIfEPKS1_S3_PS1_EviT_T9_T10_S5_lS7_S5_lS6_T11_S5_li ; -- Begin function _ZL29rocblas_internal_gemmt_kernelIlLi16ELi32ELi8ELc84ELc78ELc76ELb0ELb0E19rocblas_complex_numIfEPKS1_S3_PS1_EviT_T9_T10_S5_lS7_S5_lS6_T11_S5_li
	.p2align	8
	.type	_ZL29rocblas_internal_gemmt_kernelIlLi16ELi32ELi8ELc84ELc78ELc76ELb0ELb0E19rocblas_complex_numIfEPKS1_S3_PS1_EviT_T9_T10_S5_lS7_S5_lS6_T11_S5_li,@function
_ZL29rocblas_internal_gemmt_kernelIlLi16ELi32ELi8ELc84ELc78ELc76ELb0ELb0E19rocblas_complex_numIfEPKS1_S3_PS1_EviT_T9_T10_S5_lS7_S5_lS6_T11_S5_li: ; @_ZL29rocblas_internal_gemmt_kernelIlLi16ELi32ELi8ELc84ELc78ELc76ELb0ELb0E19rocblas_complex_numIfEPKS1_S3_PS1_EviT_T9_T10_S5_lS7_S5_lS6_T11_S5_li
; %bb.0:
	s_load_b256 s[24:31], s[0:1], 0x48
	s_wait_kmcnt 0x0
	s_load_b64 s[6:7], s[24:25], 0x0
	s_load_b512 s[8:23], s[0:1], 0x8
	s_wait_kmcnt 0x0
	s_cmp_neq_f32 s6, 1.0
	s_load_b64 s[24:25], s[10:11], 0x0
	s_cselect_b32 s3, -1, 0
	s_and_b32 s4, s7, 0x7fffffff
	s_delay_alu instid0(SALU_CYCLE_1) | instskip(SKIP_3) | instid1(SALU_CYCLE_1)
	s_cmp_eq_u32 s4, 0
	s_cselect_b32 s2, -1, 0
	s_cmp_lg_u32 s4, 0
	s_cselect_b32 s4, -1, 0
	s_or_b32 s3, s3, s4
	s_delay_alu instid0(SALU_CYCLE_1)
	s_and_b32 vcc_lo, exec_lo, s3
	s_cbranch_vccnz .LBB228_2
; %bb.1:
	s_cmp_lg_u64 s[8:9], 0
	s_cselect_b32 s3, -1, 0
	s_wait_kmcnt 0x0
	s_cmp_neq_f32 s24, 0
	s_cselect_b32 s4, -1, 0
	s_cmp_neq_f32 s25, 0
	s_cselect_b32 s5, -1, 0
	s_delay_alu instid0(SALU_CYCLE_1) | instskip(NEXT) | instid1(SALU_CYCLE_1)
	s_or_b32 s4, s4, s5
	s_and_b32 s3, s3, s4
.LBB228_2:
	s_delay_alu instid0(SALU_CYCLE_1)
	s_and_not1_b32 vcc_lo, exec_lo, s3
	s_cbranch_vccnz .LBB228_35
; %bb.3:
	s_load_b32 s33, s[0:1], 0x68
	s_bfe_u32 s3, ttmp6, 0x40014
	s_lshr_b32 s4, ttmp7, 16
	s_add_co_i32 s3, s3, 1
	s_wait_xcnt 0x0
	s_bfe_u32 s10, ttmp6, 0x40008
	s_mul_i32 s5, s4, s3
	s_getreg_b32 s3, hwreg(HW_REG_IB_STS2, 6, 4)
	s_add_co_i32 s10, s10, s5
	s_cmp_eq_u32 s3, 0
	s_mov_b32 s11, 0
	s_cselect_b32 s10, s4, s10
	s_wait_kmcnt 0x0
	s_cmp_ge_u32 s10, s33
	s_cbranch_scc1 .LBB228_35
; %bb.4:
	v_and_b32_e32 v7, 0x3ff, v0
	v_bfe_u32 v9, v0, 10, 10
	s_bfe_u32 s5, ttmp6, 0x4000c
	s_bfe_u32 s35, ttmp6, 0x40010
	s_and_b32 s34, ttmp7, 0xffff
	s_add_co_i32 s5, s5, 1
	s_add_co_i32 s35, s35, 1
	v_lshl_add_u32 v6, v9, 4, v7
	s_and_b32 s4, ttmp6, 15
	s_mul_i32 s5, ttmp9, s5
	s_mul_i32 s35, s34, s35
	s_bfe_u32 s36, ttmp6, 0x40004
	s_add_co_i32 s4, s4, s5
	s_add_co_i32 s36, s36, s35
	s_cmp_eq_u32 s3, 0
	v_dual_lshrrev_b32 v10, 3, v6 :: v_dual_bitop2_b32 v11, 31, v6 bitop3:0x40
	s_cselect_b32 s3, ttmp9, s4
	s_cselect_b32 s4, s34, s36
	s_lshl_b32 s3, s3, 5
	s_lshl_b32 s4, s4, 5
	s_delay_alu instid0(SALU_CYCLE_1) | instskip(SKIP_2) | instid1(VALU_DEP_3)
	v_dual_add_nc_u32 v16, s4, v10 :: v_dual_bitop2_b32 v2, s3, v11 bitop3:0x54
	v_dual_add_nc_u32 v20, s4, v9 :: v_dual_add_nc_u32 v8, s3, v7
	v_dual_lshlrev_b32 v5, 3, v7 :: v_dual_bitop2_b32 v4, 7, v0 bitop3:0x40
	v_dual_ashrrev_i32 v3, 31, v2 :: v_dual_ashrrev_i32 v17, 31, v16
	s_delay_alu instid0(VALU_DEP_3) | instskip(SKIP_1) | instid1(VALU_DEP_3)
	v_dual_lshlrev_b32 v7, 3, v11 :: v_dual_add_nc_u32 v22, 16, v20
	v_ashrrev_i32_e32 v21, 31, v20
	v_mul_u64_e32 v[0:1], s[14:15], v[2:3]
	s_delay_alu instid0(VALU_DEP_4)
	v_mul_u64_e32 v[18:19], s[20:21], v[16:17]
	s_load_b32 s5, s[0:1], 0x0
	v_ashrrev_i32_e32 v23, 31, v22
	v_mul_u64_e32 v[12:13], s[28:29], v[20:21]
	s_cmp_neq_f32 s24, 0
	v_dual_lshlrev_b32 v3, 3, v4 :: v_dual_lshrrev_b32 v6, 5, v6
	s_delay_alu instid0(VALU_DEP_3)
	v_mul_u64_e32 v[14:15], s[28:29], v[22:23]
	s_wait_xcnt 0x0
	s_cselect_b32 s1, -1, 0
	s_cmp_neq_f32 s25, 0
	v_lshl_or_b32 v3, v10, 6, v3
	v_cmp_le_i32_e32 vcc_lo, v20, v8
	v_add_nc_u32_e32 v10, 16, v8
	s_cselect_b32 s3, -1, 0
	v_cmp_gt_i64_e64 s21, s[8:9], 0
	s_or_b32 s28, s1, s3
	s_cmp_neq_f32 s6, 0
	v_lshl_add_u32 v29, v9, 6, 0x800
	v_ashrrev_i32_e32 v9, 31, v8
	v_lshl_or_b32 v7, v6, 8, v7
	s_cselect_b32 s3, -1, 0
	s_xor_b32 s4, s2, -1
	s_wait_kmcnt 0x0
	v_cmp_gt_i32_e64 s2, s5, v8
	v_cmp_gt_i32_e64 s0, s5, v2
	;; [unrolled: 1-line block ×3, first 2 shown]
	s_or_b32 s14, s3, s4
	v_cmp_le_i32_e64 s3, v20, v10
	v_cmp_gt_i32_e64 s4, s5, v10
	s_and_b32 s15, vcc_lo, s2
	v_cmp_le_i32_e32 vcc_lo, v22, v8
	v_cmp_le_i32_e64 s5, v22, v10
	v_add_nc_u32_e32 v27, 0x800, v3
	v_lshl_add_u64 v[16:17], v[0:1], 3, s[12:13]
	v_lshl_add_u64 v[18:19], v[18:19], 3, s[18:19]
	v_dual_ashrrev_i32 v11, 31, v10 :: v_dual_mov_b32 v21, 0
	s_and_b32 s18, s3, s4
	s_and_b32 s19, vcc_lo, s2
	s_and_b32 s20, s5, s4
	s_mov_b32 s2, s6
	s_mov_b32 s3, s6
	s_and_b32 s21, s28, s21
	s_mov_b32 s6, s7
	s_mov_b32 s4, s25
	;; [unrolled: 1-line block ×3, first 2 shown]
	s_branch .LBB228_6
.LBB228_5:                              ;   in Loop: Header=BB228_6 Depth=1
	s_wait_xcnt 0x0
	s_or_b32 exec_lo, exec_lo, s12
	s_add_co_i32 s10, s10, 0x10000
	s_delay_alu instid0(SALU_CYCLE_1)
	s_cmp_lt_u32 s10, s33
	s_cbranch_scc0 .LBB228_35
.LBB228_6:                              ; =>This Loop Header: Depth=1
                                        ;     Child Loop BB228_9 Depth 2
	v_dual_mov_b32 v38, v21 :: v_dual_mov_b32 v40, v21
	v_dual_mov_b32 v34, v21 :: v_dual_mov_b32 v36, v21
	;; [unrolled: 1-line block ×4, first 2 shown]
	s_and_not1_b32 vcc_lo, exec_lo, s21
	s_cbranch_vccnz .LBB228_15
; %bb.7:                                ;   in Loop: Header=BB228_6 Depth=1
	s_mul_u64 s[12:13], s[16:17], s[10:11]
	s_mul_u64 s[28:29], s[22:23], s[10:11]
	v_lshl_add_u64 v[22:23], s[12:13], 3, v[16:17]
	v_lshl_add_u64 v[24:25], s[28:29], 3, v[18:19]
	v_dual_mov_b32 v28, 0 :: v_dual_mov_b32 v26, 0
	v_dual_mov_b32 v32, 0 :: v_dual_mov_b32 v30, 0
	;; [unrolled: 1-line block ×4, first 2 shown]
	s_mov_b64 s[12:13], 0
	s_branch .LBB228_9
.LBB228_8:                              ;   in Loop: Header=BB228_9 Depth=2
	s_wait_xcnt 0x0
	s_or_b32 exec_lo, exec_lo, s28
	s_wait_loadcnt 0x0
	ds_store_b64 v27, v[2:3]
	s_wait_dscnt 0x0
	s_barrier_signal -1
	s_barrier_wait -1
	ds_load_b128 v[42:45], v29
	ds_load_b128 v[46:49], v29 offset:16
	ds_load_b128 v[50:53], v29 offset:32
	;; [unrolled: 1-line block ×3, first 2 shown]
	ds_load_2addr_b64 v[54:57], v5 offset1:16
	s_add_nc_u64 s[12:13], s[12:13], 8
	s_delay_alu instid0(SALU_CYCLE_1) | instskip(SKIP_3) | instid1(VALU_DEP_1)
	v_cmp_gt_i64_e64 s28, s[8:9], s[12:13]
	s_and_b32 vcc_lo, exec_lo, s28
	s_wait_dscnt 0x0
	v_dual_mul_f32 v20, v43, v55 :: v_dual_mul_f32 v31, v42, v55
	v_dual_mul_f32 v33, v42, v57 :: v_dual_fma_f32 v20, v42, v54, -v20
	s_delay_alu instid0(VALU_DEP_1) | instskip(NEXT) | instid1(VALU_DEP_1)
	v_dual_fmac_f32 v31, v43, v54 :: v_dual_fmac_f32 v33, v43, v56
	v_dual_add_f32 v20, v38, v20 :: v_dual_add_f32 v38, v40, v31
	v_mul_f32_e32 v31, v43, v57
	s_delay_alu instid0(VALU_DEP_1) | instskip(NEXT) | instid1(VALU_DEP_1)
	v_dual_add_f32 v40, v36, v33 :: v_dual_fma_f32 v31, v42, v56, -v31
	v_add_f32_e32 v39, v34, v31
	ds_load_b128 v[34:37], v29 offset:1024
	s_wait_dscnt 0x0
	v_dual_mul_f32 v31, v35, v55 :: v_dual_mul_f32 v33, v34, v55
	s_delay_alu instid0(VALU_DEP_1) | instskip(NEXT) | instid1(VALU_DEP_1)
	v_dual_fma_f32 v31, v34, v54, -v31 :: v_dual_fmac_f32 v33, v35, v54
	v_dual_add_f32 v41, v30, v31 :: v_dual_add_f32 v42, v32, v33
	v_dual_mul_f32 v30, v35, v57 :: v_dual_mul_f32 v31, v34, v57
	s_delay_alu instid0(VALU_DEP_1) | instskip(NEXT) | instid1(VALU_DEP_1)
	v_dual_fma_f32 v30, v34, v56, -v30 :: v_dual_fmac_f32 v31, v35, v56
	v_dual_add_f32 v26, v26, v30 :: v_dual_add_f32 v28, v28, v31
	ds_load_2addr_b64 v[30:33], v5 offset0:32 offset1:48
	s_wait_dscnt 0x0
	v_dual_mul_f32 v34, v45, v31 :: v_dual_mul_f32 v35, v44, v31
	s_delay_alu instid0(VALU_DEP_1) | instskip(NEXT) | instid1(VALU_DEP_1)
	v_dual_fma_f32 v34, v44, v30, -v34 :: v_dual_fmac_f32 v35, v45, v30
	v_dual_add_f32 v20, v20, v34 :: v_dual_add_f32 v34, v38, v35
	v_dual_mul_f32 v35, v45, v33 :: v_dual_mul_f32 v38, v44, v33
	s_delay_alu instid0(VALU_DEP_1) | instskip(NEXT) | instid1(VALU_DEP_1)
	v_dual_fma_f32 v35, v44, v32, -v35 :: v_dual_fmac_f32 v38, v45, v32
	v_dual_add_f32 v35, v39, v35 :: v_dual_add_f32 v38, v40, v38
	v_dual_mul_f32 v39, v37, v31 :: v_dual_mul_f32 v31, v36, v31
	s_delay_alu instid0(VALU_DEP_1) | instskip(NEXT) | instid1(VALU_DEP_2)
	v_fmac_f32_e32 v31, v37, v30
	v_dual_fma_f32 v39, v36, v30, -v39 :: v_dual_mul_f32 v30, v37, v33
	s_delay_alu instid0(VALU_DEP_2) | instskip(NEXT) | instid1(VALU_DEP_2)
	v_add_f32_e32 v40, v42, v31
	v_dual_add_f32 v39, v41, v39 :: v_dual_fma_f32 v30, v36, v32, -v30
	s_delay_alu instid0(VALU_DEP_1) | instskip(NEXT) | instid1(VALU_DEP_1)
	v_dual_mul_f32 v31, v36, v33 :: v_dual_add_f32 v26, v26, v30
	v_fmac_f32_e32 v31, v37, v32
	s_delay_alu instid0(VALU_DEP_1) | instskip(SKIP_3) | instid1(VALU_DEP_1)
	v_add_f32_e32 v28, v28, v31
	ds_load_2addr_b64 v[30:33], v5 offset0:64 offset1:80
	s_wait_dscnt 0x0
	v_mul_f32_e32 v36, v47, v31
	v_dual_fma_f32 v36, v46, v30, -v36 :: v_dual_mul_f32 v37, v46, v31
	s_delay_alu instid0(VALU_DEP_1) | instskip(SKIP_1) | instid1(VALU_DEP_2)
	v_dual_add_f32 v20, v20, v36 :: v_dual_fmac_f32 v37, v47, v30
	v_mul_f32_e32 v36, v46, v33
	v_add_f32_e32 v41, v34, v37
	v_mul_f32_e32 v34, v47, v33
	s_delay_alu instid0(VALU_DEP_1) | instskip(NEXT) | instid1(VALU_DEP_1)
	v_fma_f32 v34, v46, v32, -v34
	v_add_f32_e32 v42, v35, v34
	v_fmac_f32_e32 v36, v47, v32
	s_delay_alu instid0(VALU_DEP_1) | instskip(SKIP_3) | instid1(VALU_DEP_1)
	v_add_f32_e32 v38, v38, v36
	ds_load_b128 v[34:37], v29 offset:1040
	s_wait_dscnt 0x0
	v_dual_mul_f32 v43, v35, v31 :: v_dual_mul_f32 v31, v34, v31
	v_fma_f32 v43, v34, v30, -v43
	s_delay_alu instid0(VALU_DEP_2) | instskip(NEXT) | instid1(VALU_DEP_2)
	v_dual_fmac_f32 v31, v35, v30 :: v_dual_mul_f32 v30, v35, v33
	v_add_f32_e32 v39, v39, v43
	s_delay_alu instid0(VALU_DEP_2) | instskip(NEXT) | instid1(VALU_DEP_1)
	v_dual_add_f32 v40, v40, v31 :: v_dual_mul_f32 v31, v34, v33
	v_dual_fma_f32 v30, v34, v32, -v30 :: v_dual_fmac_f32 v31, v35, v32
	s_delay_alu instid0(VALU_DEP_1) | instskip(SKIP_3) | instid1(VALU_DEP_1)
	v_dual_add_f32 v26, v26, v30 :: v_dual_add_f32 v28, v28, v31
	ds_load_2addr_b64 v[30:33], v5 offset0:96 offset1:112
	s_wait_dscnt 0x0
	v_dual_mul_f32 v34, v49, v31 :: v_dual_mul_f32 v35, v48, v31
	v_dual_fma_f32 v34, v48, v30, -v34 :: v_dual_fmac_f32 v35, v49, v30
	s_delay_alu instid0(VALU_DEP_1) | instskip(SKIP_1) | instid1(VALU_DEP_1)
	v_dual_add_f32 v20, v20, v34 :: v_dual_add_f32 v34, v41, v35
	v_mul_f32_e32 v41, v48, v33
	v_fmac_f32_e32 v41, v49, v32
	s_delay_alu instid0(VALU_DEP_1) | instskip(SKIP_1) | instid1(VALU_DEP_2)
	v_dual_add_f32 v38, v38, v41 :: v_dual_mul_f32 v41, v37, v31
	v_dual_mul_f32 v35, v49, v33 :: v_dual_mul_f32 v31, v36, v31
	v_fma_f32 v41, v36, v30, -v41
	s_delay_alu instid0(VALU_DEP_2) | instskip(NEXT) | instid1(VALU_DEP_3)
	v_fma_f32 v35, v48, v32, -v35
	v_dual_fmac_f32 v31, v37, v30 :: v_dual_mul_f32 v30, v37, v33
	s_delay_alu instid0(VALU_DEP_2) | instskip(NEXT) | instid1(VALU_DEP_2)
	v_dual_add_f32 v39, v39, v41 :: v_dual_add_f32 v35, v42, v35
	v_add_f32_e32 v40, v40, v31
	s_delay_alu instid0(VALU_DEP_3) | instskip(NEXT) | instid1(VALU_DEP_1)
	v_dual_fma_f32 v30, v36, v32, -v30 :: v_dual_mul_f32 v31, v36, v33
	v_dual_fmac_f32 v31, v37, v32 :: v_dual_add_f32 v26, v26, v30
	s_delay_alu instid0(VALU_DEP_1) | instskip(SKIP_3) | instid1(VALU_DEP_1)
	v_add_f32_e32 v28, v28, v31
	ds_load_2addr_b64 v[30:33], v5 offset0:128 offset1:144
	s_wait_dscnt 0x0
	v_dual_mul_f32 v36, v51, v31 :: v_dual_mul_f32 v37, v50, v31
	v_dual_fma_f32 v36, v50, v30, -v36 :: v_dual_fmac_f32 v37, v51, v30
	s_delay_alu instid0(VALU_DEP_1) | instskip(SKIP_1) | instid1(VALU_DEP_1)
	v_dual_add_f32 v20, v20, v36 :: v_dual_add_f32 v41, v34, v37
	v_dual_mul_f32 v34, v51, v33 :: v_dual_mul_f32 v36, v50, v33
	v_dual_fma_f32 v34, v50, v32, -v34 :: v_dual_fmac_f32 v36, v51, v32
	s_delay_alu instid0(VALU_DEP_1) | instskip(SKIP_3) | instid1(VALU_DEP_1)
	v_dual_add_f32 v42, v35, v34 :: v_dual_add_f32 v38, v38, v36
	ds_load_b128 v[34:37], v29 offset:1056
	s_wait_dscnt 0x0
	v_dual_mul_f32 v43, v35, v31 :: v_dual_mul_f32 v31, v34, v31
	v_fmac_f32_e32 v31, v35, v30
	s_delay_alu instid0(VALU_DEP_2) | instskip(NEXT) | instid1(VALU_DEP_2)
	v_dual_fma_f32 v43, v34, v30, -v43 :: v_dual_mul_f32 v30, v35, v33
	v_dual_add_f32 v40, v40, v31 :: v_dual_mul_f32 v31, v34, v33
	s_delay_alu instid0(VALU_DEP_2) | instskip(NEXT) | instid1(VALU_DEP_1)
	v_dual_add_f32 v39, v39, v43 :: v_dual_fma_f32 v30, v34, v32, -v30
	v_dual_fmac_f32 v31, v35, v32 :: v_dual_add_f32 v26, v26, v30
	s_delay_alu instid0(VALU_DEP_1) | instskip(SKIP_3) | instid1(VALU_DEP_1)
	v_add_f32_e32 v28, v28, v31
	ds_load_2addr_b64 v[30:33], v5 offset0:160 offset1:176
	s_wait_dscnt 0x0
	v_dual_mul_f32 v34, v53, v31 :: v_dual_mul_f32 v35, v52, v31
	v_dual_fma_f32 v34, v52, v30, -v34 :: v_dual_fmac_f32 v35, v53, v30
	s_delay_alu instid0(VALU_DEP_1) | instskip(SKIP_1) | instid1(VALU_DEP_1)
	v_dual_add_f32 v20, v20, v34 :: v_dual_add_f32 v34, v41, v35
	v_mul_f32_e32 v41, v52, v33
	v_fmac_f32_e32 v41, v53, v32
	s_delay_alu instid0(VALU_DEP_1) | instskip(SKIP_1) | instid1(VALU_DEP_2)
	v_dual_add_f32 v38, v38, v41 :: v_dual_mul_f32 v41, v37, v31
	v_dual_mul_f32 v35, v53, v33 :: v_dual_mul_f32 v31, v36, v31
	v_fma_f32 v41, v36, v30, -v41
	s_delay_alu instid0(VALU_DEP_2) | instskip(NEXT) | instid1(VALU_DEP_3)
	v_fma_f32 v35, v52, v32, -v35
	v_dual_fmac_f32 v31, v37, v30 :: v_dual_mul_f32 v30, v37, v33
	s_delay_alu instid0(VALU_DEP_2) | instskip(NEXT) | instid1(VALU_DEP_2)
	v_dual_add_f32 v39, v39, v41 :: v_dual_add_f32 v35, v42, v35
	v_add_f32_e32 v44, v40, v31
	s_delay_alu instid0(VALU_DEP_3) | instskip(SKIP_2) | instid1(VALU_DEP_1)
	v_dual_fma_f32 v30, v36, v32, -v30 :: v_dual_mul_f32 v31, v36, v33
	ds_load_b128 v[40:43], v29 offset:1072
	v_dual_fmac_f32 v31, v37, v32 :: v_dual_add_f32 v26, v26, v30
	v_add_f32_e32 v28, v28, v31
	ds_load_2addr_b64 v[30:33], v5 offset0:192 offset1:208
	s_wait_dscnt 0x0
	v_dual_mul_f32 v36, v1, v31 :: v_dual_mul_f32 v37, v0, v31
	s_delay_alu instid0(VALU_DEP_1) | instskip(NEXT) | instid1(VALU_DEP_1)
	v_dual_fma_f32 v36, v0, v30, -v36 :: v_dual_fmac_f32 v37, v1, v30
	v_dual_add_f32 v20, v20, v36 :: v_dual_add_f32 v34, v34, v37
	v_mul_f32_e32 v36, v1, v33
	s_delay_alu instid0(VALU_DEP_1) | instskip(NEXT) | instid1(VALU_DEP_1)
	v_dual_fma_f32 v36, v0, v32, -v36 :: v_dual_mul_f32 v0, v0, v33
	v_fmac_f32_e32 v0, v1, v32
	s_delay_alu instid0(VALU_DEP_2) | instskip(NEXT) | instid1(VALU_DEP_1)
	v_dual_add_f32 v1, v35, v36 :: v_dual_mul_f32 v35, v41, v31
	v_dual_mul_f32 v31, v40, v31 :: v_dual_fma_f32 v35, v40, v30, -v35
	s_delay_alu instid0(VALU_DEP_1) | instskip(NEXT) | instid1(VALU_DEP_2)
	v_dual_add_f32 v0, v38, v0 :: v_dual_fmac_f32 v31, v41, v30
	v_dual_add_f32 v30, v39, v35 :: v_dual_mul_f32 v35, v41, v33
	v_mul_f32_e32 v33, v40, v33
	s_delay_alu instid0(VALU_DEP_3)
	v_add_f32_e32 v31, v44, v31
	ds_load_2addr_b64 v[44:47], v5 offset0:224 offset1:240
	s_wait_dscnt 0x0
	v_dual_fma_f32 v35, v40, v32, -v35 :: v_dual_fmac_f32 v33, v41, v32
	s_barrier_signal -1
	s_barrier_wait -1
	s_delay_alu instid0(VALU_DEP_1) | instskip(SKIP_1) | instid1(VALU_DEP_1)
	v_dual_add_f32 v26, v26, v35 :: v_dual_add_f32 v28, v28, v33
	v_dual_mul_f32 v32, v3, v45 :: v_dual_mul_f32 v33, v2, v45
	v_dual_fma_f32 v32, v2, v44, -v32 :: v_dual_fmac_f32 v33, v3, v44
	s_delay_alu instid0(VALU_DEP_1) | instskip(SKIP_1) | instid1(VALU_DEP_1)
	v_dual_add_f32 v38, v20, v32 :: v_dual_add_f32 v40, v34, v33
	v_mul_f32_e32 v20, v3, v47
	v_dual_fma_f32 v20, v2, v46, -v20 :: v_dual_mul_f32 v2, v2, v47
	s_delay_alu instid0(VALU_DEP_1) | instskip(NEXT) | instid1(VALU_DEP_1)
	v_dual_fmac_f32 v2, v3, v46 :: v_dual_add_f32 v34, v1, v20
	v_dual_mul_f32 v1, v42, v45 :: v_dual_add_f32 v36, v0, v2
	s_delay_alu instid0(VALU_DEP_1) | instskip(NEXT) | instid1(VALU_DEP_1)
	v_dual_mul_f32 v0, v43, v45 :: v_dual_fmac_f32 v1, v43, v44
	v_dual_fma_f32 v0, v42, v44, -v0 :: v_dual_add_f32 v32, v31, v1
	v_mul_f32_e32 v1, v42, v47
	s_delay_alu instid0(VALU_DEP_2) | instskip(NEXT) | instid1(VALU_DEP_1)
	v_dual_add_f32 v30, v30, v0 :: v_dual_mul_f32 v0, v43, v47
	v_dual_fmac_f32 v1, v43, v46 :: v_dual_fma_f32 v0, v42, v46, -v0
	s_delay_alu instid0(VALU_DEP_1)
	v_dual_add_f32 v28, v28, v1 :: v_dual_add_f32 v26, v26, v0
	s_cbranch_vccz .LBB228_15
.LBB228_9:                              ;   Parent Loop BB228_6 Depth=1
                                        ; =>  This Inner Loop Header: Depth=2
	v_dual_mov_b32 v0, 0 :: v_dual_mov_b32 v1, 0
	s_and_saveexec_b32 s28, s0
	s_cbranch_execz .LBB228_13
; %bb.10:                               ;   in Loop: Header=BB228_9 Depth=2
	v_dual_mov_b32 v1, 0 :: v_dual_add_nc_u32 v20, s12, v6
	v_mov_b32_e32 v0, 0
	s_mov_b32 s29, exec_lo
	s_delay_alu instid0(VALU_DEP_2)
	v_cmpx_gt_u64_e64 s[8:9], v[20:21]
	s_cbranch_execz .LBB228_12
; %bb.11:                               ;   in Loop: Header=BB228_9 Depth=2
	v_lshl_add_u64 v[0:1], v[20:21], 3, v[22:23]
	global_load_b64 v[0:1], v[0:1], off
.LBB228_12:                             ;   in Loop: Header=BB228_9 Depth=2
	s_wait_xcnt 0x0
	s_or_b32 exec_lo, exec_lo, s29
.LBB228_13:                             ;   in Loop: Header=BB228_9 Depth=2
	s_delay_alu instid0(SALU_CYCLE_1)
	s_or_b32 exec_lo, exec_lo, s28
	v_dual_add_nc_u32 v20, s12, v4 :: v_dual_mov_b32 v2, 0
	v_mov_b32_e32 v3, 0
	s_wait_loadcnt 0x0
	ds_store_b64 v7, v[0:1]
	v_cmp_gt_u64_e32 vcc_lo, s[8:9], v[20:21]
	s_and_b32 s29, vcc_lo, s1
	s_delay_alu instid0(SALU_CYCLE_1)
	s_and_saveexec_b32 s28, s29
	s_cbranch_execz .LBB228_8
; %bb.14:                               ;   in Loop: Header=BB228_9 Depth=2
	v_lshl_add_u64 v[0:1], v[20:21], 3, v[24:25]
	global_load_b64 v[2:3], v[0:1], off
	s_branch .LBB228_8
.LBB228_15:                             ;   in Loop: Header=BB228_6 Depth=1
	s_mul_u64 s[12:13], s[30:31], s[10:11]
	s_delay_alu instid0(SALU_CYCLE_1) | instskip(NEXT) | instid1(SALU_CYCLE_1)
	s_lshl_b64 s[12:13], s[12:13], 3
	s_add_nc_u64 s[12:13], s[26:27], s[12:13]
	s_delay_alu instid0(SALU_CYCLE_1)
	v_lshl_add_u64 v[0:1], v[12:13], 3, s[12:13]
	s_and_saveexec_b32 s28, s15
	s_cbranch_execz .LBB228_20
; %bb.16:                               ;   in Loop: Header=BB228_6 Depth=1
	v_mov_b64_e32 v[2:3], s[4:5]
	v_mov_b64_e32 v[22:23], s[24:25]
	s_and_b32 vcc_lo, exec_lo, s14
	s_mov_b32 s29, -1
	s_delay_alu instid0(VALU_DEP_2) | instskip(NEXT) | instid1(VALU_DEP_1)
	v_pk_mul_f32 v[2:3], v[40:41], v[2:3] op_sel_hi:[0,1]
	v_pk_fma_f32 v[24:25], v[38:39], v[22:23], v[2:3] op_sel_hi:[0,1,1]
	v_pk_fma_f32 v[2:3], v[38:39], v[22:23], v[2:3] neg_lo:[0,0,1] neg_hi:[0,0,1]
	v_lshl_add_u64 v[22:23], v[8:9], 3, v[0:1]
	s_delay_alu instid0(VALU_DEP_3)
	v_mov_b32_e32 v3, v25
	s_cbranch_vccz .LBB228_18
; %bb.17:                               ;   in Loop: Header=BB228_6 Depth=1
	global_load_b64 v[24:25], v[22:23], off
	v_mov_b64_e32 v[38:39], s[6:7]
	v_mov_b64_e32 v[40:41], s[2:3]
	s_mov_b32 s29, 0
	s_wait_loadcnt 0x0
	s_delay_alu instid0(VALU_DEP_2) | instskip(NEXT) | instid1(VALU_DEP_1)
	v_pk_mul_f32 v[38:39], v[24:25], v[38:39]
	v_pk_fma_f32 v[42:43], v[24:25], v[40:41], v[38:39] op_sel:[0,0,1] op_sel_hi:[1,1,0]
	v_pk_fma_f32 v[24:25], v[24:25], v[40:41], v[38:39] op_sel:[0,0,1] op_sel_hi:[1,1,0] neg_lo:[0,0,1] neg_hi:[0,0,1]
	s_delay_alu instid0(VALU_DEP_2) | instskip(NEXT) | instid1(VALU_DEP_1)
	v_mov_b32_e32 v25, v43
	v_pk_add_f32 v[24:25], v[2:3], v[24:25]
	global_store_b64 v[22:23], v[24:25], off
.LBB228_18:                             ;   in Loop: Header=BB228_6 Depth=1
	s_and_not1_b32 vcc_lo, exec_lo, s29
	s_cbranch_vccnz .LBB228_20
; %bb.19:                               ;   in Loop: Header=BB228_6 Depth=1
	global_store_b64 v[22:23], v[2:3], off
.LBB228_20:                             ;   in Loop: Header=BB228_6 Depth=1
	s_wait_xcnt 0x0
	s_or_b32 exec_lo, exec_lo, s28
	s_and_saveexec_b32 s28, s18
	s_cbranch_execz .LBB228_25
; %bb.21:                               ;   in Loop: Header=BB228_6 Depth=1
	v_mov_b64_e32 v[2:3], s[4:5]
	v_mov_b64_e32 v[22:23], s[24:25]
	v_lshl_add_u64 v[0:1], v[10:11], 3, v[0:1]
	s_and_not1_b32 vcc_lo, exec_lo, s14
	s_mov_b32 s29, -1
	s_delay_alu instid0(VALU_DEP_3) | instskip(NEXT) | instid1(VALU_DEP_1)
	v_pk_mul_f32 v[2:3], v[36:37], v[2:3] op_sel_hi:[0,1]
	v_pk_fma_f32 v[24:25], v[34:35], v[22:23], v[2:3] op_sel_hi:[0,1,1]
	v_pk_fma_f32 v[2:3], v[34:35], v[22:23], v[2:3] neg_lo:[0,0,1] neg_hi:[0,0,1]
	s_delay_alu instid0(VALU_DEP_2)
	v_mov_b32_e32 v3, v25
	s_cbranch_vccnz .LBB228_23
; %bb.22:                               ;   in Loop: Header=BB228_6 Depth=1
	global_load_b64 v[22:23], v[0:1], off
	v_mov_b64_e32 v[24:25], s[6:7]
	v_mov_b64_e32 v[34:35], s[2:3]
	s_mov_b32 s29, 0
	s_wait_loadcnt 0x0
	s_delay_alu instid0(VALU_DEP_2) | instskip(NEXT) | instid1(VALU_DEP_1)
	v_pk_mul_f32 v[24:25], v[22:23], v[24:25]
	v_pk_fma_f32 v[36:37], v[22:23], v[34:35], v[24:25] op_sel:[0,0,1] op_sel_hi:[1,1,0]
	v_pk_fma_f32 v[22:23], v[22:23], v[34:35], v[24:25] op_sel:[0,0,1] op_sel_hi:[1,1,0] neg_lo:[0,0,1] neg_hi:[0,0,1]
	s_delay_alu instid0(VALU_DEP_2) | instskip(NEXT) | instid1(VALU_DEP_1)
	v_mov_b32_e32 v23, v37
	v_pk_add_f32 v[22:23], v[2:3], v[22:23]
	global_store_b64 v[0:1], v[22:23], off
.LBB228_23:                             ;   in Loop: Header=BB228_6 Depth=1
	s_and_not1_b32 vcc_lo, exec_lo, s29
	s_cbranch_vccnz .LBB228_25
; %bb.24:                               ;   in Loop: Header=BB228_6 Depth=1
	global_store_b64 v[0:1], v[2:3], off
.LBB228_25:                             ;   in Loop: Header=BB228_6 Depth=1
	s_wait_xcnt 0x0
	s_or_b32 exec_lo, exec_lo, s28
	v_lshl_add_u64 v[0:1], v[14:15], 3, s[12:13]
	s_and_saveexec_b32 s12, s19
	s_cbranch_execz .LBB228_30
; %bb.26:                               ;   in Loop: Header=BB228_6 Depth=1
	v_mov_b64_e32 v[2:3], s[4:5]
	v_mov_b64_e32 v[22:23], s[24:25]
	s_and_not1_b32 vcc_lo, exec_lo, s14
	s_mov_b32 s13, -1
	s_delay_alu instid0(VALU_DEP_2) | instskip(NEXT) | instid1(VALU_DEP_1)
	v_pk_mul_f32 v[2:3], v[32:33], v[2:3] op_sel_hi:[0,1]
	v_pk_fma_f32 v[24:25], v[30:31], v[22:23], v[2:3] op_sel_hi:[0,1,1]
	v_pk_fma_f32 v[2:3], v[30:31], v[22:23], v[2:3] neg_lo:[0,0,1] neg_hi:[0,0,1]
	v_lshl_add_u64 v[22:23], v[8:9], 3, v[0:1]
	s_delay_alu instid0(VALU_DEP_3)
	v_mov_b32_e32 v3, v25
	s_cbranch_vccnz .LBB228_28
; %bb.27:                               ;   in Loop: Header=BB228_6 Depth=1
	global_load_b64 v[24:25], v[22:23], off
	v_mov_b64_e32 v[30:31], s[6:7]
	v_mov_b64_e32 v[32:33], s[2:3]
	s_mov_b32 s13, 0
	s_wait_loadcnt 0x0
	s_delay_alu instid0(VALU_DEP_2) | instskip(NEXT) | instid1(VALU_DEP_1)
	v_pk_mul_f32 v[30:31], v[24:25], v[30:31]
	v_pk_fma_f32 v[34:35], v[24:25], v[32:33], v[30:31] op_sel:[0,0,1] op_sel_hi:[1,1,0]
	v_pk_fma_f32 v[24:25], v[24:25], v[32:33], v[30:31] op_sel:[0,0,1] op_sel_hi:[1,1,0] neg_lo:[0,0,1] neg_hi:[0,0,1]
	s_delay_alu instid0(VALU_DEP_2) | instskip(NEXT) | instid1(VALU_DEP_1)
	v_mov_b32_e32 v25, v35
	v_pk_add_f32 v[24:25], v[2:3], v[24:25]
	global_store_b64 v[22:23], v[24:25], off
.LBB228_28:                             ;   in Loop: Header=BB228_6 Depth=1
	s_and_not1_b32 vcc_lo, exec_lo, s13
	s_cbranch_vccnz .LBB228_30
; %bb.29:                               ;   in Loop: Header=BB228_6 Depth=1
	global_store_b64 v[22:23], v[2:3], off
.LBB228_30:                             ;   in Loop: Header=BB228_6 Depth=1
	s_wait_xcnt 0x0
	s_or_b32 exec_lo, exec_lo, s12
	s_and_saveexec_b32 s12, s20
	s_cbranch_execz .LBB228_5
; %bb.31:                               ;   in Loop: Header=BB228_6 Depth=1
	v_mov_b64_e32 v[2:3], s[4:5]
	v_mov_b64_e32 v[22:23], s[24:25]
	v_lshl_add_u64 v[0:1], v[10:11], 3, v[0:1]
	s_and_not1_b32 vcc_lo, exec_lo, s14
	s_mov_b32 s13, -1
	s_delay_alu instid0(VALU_DEP_3) | instskip(NEXT) | instid1(VALU_DEP_1)
	v_pk_mul_f32 v[2:3], v[28:29], v[2:3] op_sel_hi:[0,1]
	v_pk_fma_f32 v[24:25], v[26:27], v[22:23], v[2:3] op_sel_hi:[0,1,1]
	v_pk_fma_f32 v[2:3], v[26:27], v[22:23], v[2:3] neg_lo:[0,0,1] neg_hi:[0,0,1]
	s_delay_alu instid0(VALU_DEP_2)
	v_mov_b32_e32 v3, v25
	s_cbranch_vccnz .LBB228_33
; %bb.32:                               ;   in Loop: Header=BB228_6 Depth=1
	global_load_b64 v[22:23], v[0:1], off
	v_mov_b64_e32 v[24:25], s[6:7]
	v_mov_b64_e32 v[30:31], s[2:3]
	s_mov_b32 s13, 0
	s_wait_loadcnt 0x0
	s_delay_alu instid0(VALU_DEP_2) | instskip(NEXT) | instid1(VALU_DEP_1)
	v_pk_mul_f32 v[24:25], v[22:23], v[24:25]
	v_pk_fma_f32 v[32:33], v[22:23], v[30:31], v[24:25] op_sel:[0,0,1] op_sel_hi:[1,1,0]
	v_pk_fma_f32 v[22:23], v[22:23], v[30:31], v[24:25] op_sel:[0,0,1] op_sel_hi:[1,1,0] neg_lo:[0,0,1] neg_hi:[0,0,1]
	s_delay_alu instid0(VALU_DEP_2) | instskip(NEXT) | instid1(VALU_DEP_1)
	v_mov_b32_e32 v23, v33
	v_pk_add_f32 v[22:23], v[2:3], v[22:23]
	global_store_b64 v[0:1], v[22:23], off
.LBB228_33:                             ;   in Loop: Header=BB228_6 Depth=1
	s_and_not1_b32 vcc_lo, exec_lo, s13
	s_cbranch_vccnz .LBB228_5
; %bb.34:                               ;   in Loop: Header=BB228_6 Depth=1
	global_store_b64 v[0:1], v[2:3], off
	s_branch .LBB228_5
.LBB228_35:
	s_endpgm
	.section	.rodata,"a",@progbits
	.p2align	6, 0x0
	.amdhsa_kernel _ZL29rocblas_internal_gemmt_kernelIlLi16ELi32ELi8ELc84ELc78ELc76ELb0ELb0E19rocblas_complex_numIfEPKS1_S3_PS1_EviT_T9_T10_S5_lS7_S5_lS6_T11_S5_li
		.amdhsa_group_segment_fixed_size 4096
		.amdhsa_private_segment_fixed_size 0
		.amdhsa_kernarg_size 108
		.amdhsa_user_sgpr_count 2
		.amdhsa_user_sgpr_dispatch_ptr 0
		.amdhsa_user_sgpr_queue_ptr 0
		.amdhsa_user_sgpr_kernarg_segment_ptr 1
		.amdhsa_user_sgpr_dispatch_id 0
		.amdhsa_user_sgpr_kernarg_preload_length 0
		.amdhsa_user_sgpr_kernarg_preload_offset 0
		.amdhsa_user_sgpr_private_segment_size 0
		.amdhsa_wavefront_size32 1
		.amdhsa_uses_dynamic_stack 0
		.amdhsa_enable_private_segment 0
		.amdhsa_system_sgpr_workgroup_id_x 1
		.amdhsa_system_sgpr_workgroup_id_y 1
		.amdhsa_system_sgpr_workgroup_id_z 1
		.amdhsa_system_sgpr_workgroup_info 0
		.amdhsa_system_vgpr_workitem_id 1
		.amdhsa_next_free_vgpr 58
		.amdhsa_next_free_sgpr 37
		.amdhsa_named_barrier_count 0
		.amdhsa_reserve_vcc 1
		.amdhsa_float_round_mode_32 0
		.amdhsa_float_round_mode_16_64 0
		.amdhsa_float_denorm_mode_32 3
		.amdhsa_float_denorm_mode_16_64 3
		.amdhsa_fp16_overflow 0
		.amdhsa_memory_ordered 1
		.amdhsa_forward_progress 1
		.amdhsa_inst_pref_size 25
		.amdhsa_round_robin_scheduling 0
		.amdhsa_exception_fp_ieee_invalid_op 0
		.amdhsa_exception_fp_denorm_src 0
		.amdhsa_exception_fp_ieee_div_zero 0
		.amdhsa_exception_fp_ieee_overflow 0
		.amdhsa_exception_fp_ieee_underflow 0
		.amdhsa_exception_fp_ieee_inexact 0
		.amdhsa_exception_int_div_zero 0
	.end_amdhsa_kernel
	.section	.text._ZL29rocblas_internal_gemmt_kernelIlLi16ELi32ELi8ELc84ELc78ELc76ELb0ELb0E19rocblas_complex_numIfEPKS1_S3_PS1_EviT_T9_T10_S5_lS7_S5_lS6_T11_S5_li,"axG",@progbits,_ZL29rocblas_internal_gemmt_kernelIlLi16ELi32ELi8ELc84ELc78ELc76ELb0ELb0E19rocblas_complex_numIfEPKS1_S3_PS1_EviT_T9_T10_S5_lS7_S5_lS6_T11_S5_li,comdat
.Lfunc_end228:
	.size	_ZL29rocblas_internal_gemmt_kernelIlLi16ELi32ELi8ELc84ELc78ELc76ELb0ELb0E19rocblas_complex_numIfEPKS1_S3_PS1_EviT_T9_T10_S5_lS7_S5_lS6_T11_S5_li, .Lfunc_end228-_ZL29rocblas_internal_gemmt_kernelIlLi16ELi32ELi8ELc84ELc78ELc76ELb0ELb0E19rocblas_complex_numIfEPKS1_S3_PS1_EviT_T9_T10_S5_lS7_S5_lS6_T11_S5_li
                                        ; -- End function
	.set _ZL29rocblas_internal_gemmt_kernelIlLi16ELi32ELi8ELc84ELc78ELc76ELb0ELb0E19rocblas_complex_numIfEPKS1_S3_PS1_EviT_T9_T10_S5_lS7_S5_lS6_T11_S5_li.num_vgpr, 58
	.set _ZL29rocblas_internal_gemmt_kernelIlLi16ELi32ELi8ELc84ELc78ELc76ELb0ELb0E19rocblas_complex_numIfEPKS1_S3_PS1_EviT_T9_T10_S5_lS7_S5_lS6_T11_S5_li.num_agpr, 0
	.set _ZL29rocblas_internal_gemmt_kernelIlLi16ELi32ELi8ELc84ELc78ELc76ELb0ELb0E19rocblas_complex_numIfEPKS1_S3_PS1_EviT_T9_T10_S5_lS7_S5_lS6_T11_S5_li.numbered_sgpr, 37
	.set _ZL29rocblas_internal_gemmt_kernelIlLi16ELi32ELi8ELc84ELc78ELc76ELb0ELb0E19rocblas_complex_numIfEPKS1_S3_PS1_EviT_T9_T10_S5_lS7_S5_lS6_T11_S5_li.num_named_barrier, 0
	.set _ZL29rocblas_internal_gemmt_kernelIlLi16ELi32ELi8ELc84ELc78ELc76ELb0ELb0E19rocblas_complex_numIfEPKS1_S3_PS1_EviT_T9_T10_S5_lS7_S5_lS6_T11_S5_li.private_seg_size, 0
	.set _ZL29rocblas_internal_gemmt_kernelIlLi16ELi32ELi8ELc84ELc78ELc76ELb0ELb0E19rocblas_complex_numIfEPKS1_S3_PS1_EviT_T9_T10_S5_lS7_S5_lS6_T11_S5_li.uses_vcc, 1
	.set _ZL29rocblas_internal_gemmt_kernelIlLi16ELi32ELi8ELc84ELc78ELc76ELb0ELb0E19rocblas_complex_numIfEPKS1_S3_PS1_EviT_T9_T10_S5_lS7_S5_lS6_T11_S5_li.uses_flat_scratch, 0
	.set _ZL29rocblas_internal_gemmt_kernelIlLi16ELi32ELi8ELc84ELc78ELc76ELb0ELb0E19rocblas_complex_numIfEPKS1_S3_PS1_EviT_T9_T10_S5_lS7_S5_lS6_T11_S5_li.has_dyn_sized_stack, 0
	.set _ZL29rocblas_internal_gemmt_kernelIlLi16ELi32ELi8ELc84ELc78ELc76ELb0ELb0E19rocblas_complex_numIfEPKS1_S3_PS1_EviT_T9_T10_S5_lS7_S5_lS6_T11_S5_li.has_recursion, 0
	.set _ZL29rocblas_internal_gemmt_kernelIlLi16ELi32ELi8ELc84ELc78ELc76ELb0ELb0E19rocblas_complex_numIfEPKS1_S3_PS1_EviT_T9_T10_S5_lS7_S5_lS6_T11_S5_li.has_indirect_call, 0
	.section	.AMDGPU.csdata,"",@progbits
; Kernel info:
; codeLenInByte = 3168
; TotalNumSgprs: 39
; NumVgprs: 58
; ScratchSize: 0
; MemoryBound: 0
; FloatMode: 240
; IeeeMode: 1
; LDSByteSize: 4096 bytes/workgroup (compile time only)
; SGPRBlocks: 0
; VGPRBlocks: 3
; NumSGPRsForWavesPerEU: 39
; NumVGPRsForWavesPerEU: 58
; NamedBarCnt: 0
; Occupancy: 16
; WaveLimiterHint : 0
; COMPUTE_PGM_RSRC2:SCRATCH_EN: 0
; COMPUTE_PGM_RSRC2:USER_SGPR: 2
; COMPUTE_PGM_RSRC2:TRAP_HANDLER: 0
; COMPUTE_PGM_RSRC2:TGID_X_EN: 1
; COMPUTE_PGM_RSRC2:TGID_Y_EN: 1
; COMPUTE_PGM_RSRC2:TGID_Z_EN: 1
; COMPUTE_PGM_RSRC2:TIDIG_COMP_CNT: 1
	.section	.text._ZL29rocblas_internal_gemmt_kernelIlLi16ELi32ELi8ELc84ELc84ELc76ELb0ELb0E19rocblas_complex_numIfEPKS1_S3_PS1_EviT_T9_T10_S5_lS7_S5_lS6_T11_S5_li,"axG",@progbits,_ZL29rocblas_internal_gemmt_kernelIlLi16ELi32ELi8ELc84ELc84ELc76ELb0ELb0E19rocblas_complex_numIfEPKS1_S3_PS1_EviT_T9_T10_S5_lS7_S5_lS6_T11_S5_li,comdat
	.globl	_ZL29rocblas_internal_gemmt_kernelIlLi16ELi32ELi8ELc84ELc84ELc76ELb0ELb0E19rocblas_complex_numIfEPKS1_S3_PS1_EviT_T9_T10_S5_lS7_S5_lS6_T11_S5_li ; -- Begin function _ZL29rocblas_internal_gemmt_kernelIlLi16ELi32ELi8ELc84ELc84ELc76ELb0ELb0E19rocblas_complex_numIfEPKS1_S3_PS1_EviT_T9_T10_S5_lS7_S5_lS6_T11_S5_li
	.p2align	8
	.type	_ZL29rocblas_internal_gemmt_kernelIlLi16ELi32ELi8ELc84ELc84ELc76ELb0ELb0E19rocblas_complex_numIfEPKS1_S3_PS1_EviT_T9_T10_S5_lS7_S5_lS6_T11_S5_li,@function
_ZL29rocblas_internal_gemmt_kernelIlLi16ELi32ELi8ELc84ELc84ELc76ELb0ELb0E19rocblas_complex_numIfEPKS1_S3_PS1_EviT_T9_T10_S5_lS7_S5_lS6_T11_S5_li: ; @_ZL29rocblas_internal_gemmt_kernelIlLi16ELi32ELi8ELc84ELc84ELc76ELb0ELb0E19rocblas_complex_numIfEPKS1_S3_PS1_EviT_T9_T10_S5_lS7_S5_lS6_T11_S5_li
; %bb.0:
	s_load_b256 s[24:31], s[0:1], 0x48
	s_wait_kmcnt 0x0
	s_load_b64 s[6:7], s[24:25], 0x0
	s_load_b512 s[8:23], s[0:1], 0x8
	s_wait_kmcnt 0x0
	s_cmp_neq_f32 s6, 1.0
	s_load_b64 s[24:25], s[10:11], 0x0
	s_cselect_b32 s2, -1, 0
	s_and_b32 s4, s7, 0x7fffffff
	s_delay_alu instid0(SALU_CYCLE_1) | instskip(SKIP_3) | instid1(SALU_CYCLE_1)
	s_cmp_eq_u32 s4, 0
	s_cselect_b32 s3, -1, 0
	s_cmp_lg_u32 s4, 0
	s_cselect_b32 s4, -1, 0
	s_or_b32 s2, s2, s4
	s_delay_alu instid0(SALU_CYCLE_1)
	s_and_b32 vcc_lo, exec_lo, s2
	s_cbranch_vccnz .LBB229_2
; %bb.1:
	s_cmp_lg_u64 s[8:9], 0
	s_cselect_b32 s2, -1, 0
	s_wait_kmcnt 0x0
	s_cmp_neq_f32 s24, 0
	s_cselect_b32 s4, -1, 0
	s_cmp_neq_f32 s25, 0
	s_cselect_b32 s5, -1, 0
	s_delay_alu instid0(SALU_CYCLE_1) | instskip(NEXT) | instid1(SALU_CYCLE_1)
	s_or_b32 s4, s4, s5
	s_and_b32 s2, s2, s4
.LBB229_2:
	s_delay_alu instid0(SALU_CYCLE_1)
	s_and_not1_b32 vcc_lo, exec_lo, s2
	s_cbranch_vccnz .LBB229_35
; %bb.3:
	s_load_b32 s33, s[0:1], 0x68
	s_bfe_u32 s2, ttmp6, 0x40014
	s_lshr_b32 s4, ttmp7, 16
	s_add_co_i32 s2, s2, 1
	s_wait_xcnt 0x0
	s_bfe_u32 s10, ttmp6, 0x40008
	s_mul_i32 s5, s4, s2
	s_getreg_b32 s2, hwreg(HW_REG_IB_STS2, 6, 4)
	s_add_co_i32 s10, s10, s5
	s_cmp_eq_u32 s2, 0
	s_mov_b32 s11, 0
	s_cselect_b32 s10, s4, s10
	s_wait_kmcnt 0x0
	s_cmp_ge_u32 s10, s33
	s_cbranch_scc1 .LBB229_35
; %bb.4:
	v_and_b32_e32 v7, 0x3ff, v0
	v_bfe_u32 v9, v0, 10, 10
	s_bfe_u32 s4, ttmp6, 0x4000c
	s_bfe_u32 s34, ttmp6, 0x40010
	s_add_co_i32 s4, s4, 1
	s_and_b32 s35, ttmp7, 0xffff
	s_add_co_i32 s34, s34, 1
	v_lshl_add_u32 v8, v9, 4, v7
	s_and_b32 s5, ttmp6, 15
	s_mul_i32 s4, ttmp9, s4
	s_mul_i32 s34, s35, s34
	s_bfe_u32 s36, ttmp6, 0x40004
	s_add_co_i32 s5, s5, s4
	s_add_co_i32 s36, s36, s34
	s_cmp_eq_u32 s2, 0
	v_and_b32_e32 v10, 31, v8
	s_cselect_b32 s2, ttmp9, s5
	s_cselect_b32 s4, s35, s36
	s_lshl_b32 s2, s2, 5
	v_dual_lshlrev_b32 v5, 3, v7 :: v_dual_bitop2_b32 v4, 7, v0 bitop3:0x40
	v_or_b32_e32 v2, s2, v10
	s_load_b32 s5, s[0:1], 0x0
	s_wait_xcnt 0x0
	s_lshl_b32 s0, s4, 5
	v_lshlrev_b32_e32 v11, 3, v4
	v_dual_lshrrev_b32 v6, 5, v8 :: v_dual_ashrrev_i32 v3, 31, v2
	v_add_nc_u32_e32 v20, s0, v9
	s_cmp_neq_f32 s24, 0
	v_cmp_gt_i64_e64 s34, s[8:9], 0
	v_lshl_add_u32 v29, v9, 6, 0x800
	v_mul_u64_e32 v[0:1], s[14:15], v[2:3]
	v_dual_lshrrev_b32 v3, 3, v8 :: v_dual_add_nc_u32 v8, s2, v7
	v_dual_add_nc_u32 v22, 16, v20 :: v_dual_ashrrev_i32 v21, 31, v20
	s_delay_alu instid0(VALU_DEP_2) | instskip(NEXT) | instid1(VALU_DEP_2)
	v_dual_lshlrev_b32 v7, 3, v10 :: v_dual_add_nc_u32 v16, s0, v3
	v_dual_add_nc_u32 v10, 16, v8 :: v_dual_ashrrev_i32 v23, 31, v22
	s_delay_alu instid0(VALU_DEP_3)
	v_mul_u64_e32 v[12:13], s[28:29], v[20:21]
	s_cselect_b32 s2, -1, 0
	s_cmp_neq_f32 s25, 0
	v_cmp_le_i32_e32 vcc_lo, v20, v8
	v_mul_u64_e32 v[14:15], s[28:29], v[22:23]
	v_lshl_or_b32 v3, v3, 6, v11
	s_cselect_b32 s4, -1, 0
	v_dual_ashrrev_i32 v17, 31, v16 :: v_dual_ashrrev_i32 v11, 31, v10
	s_or_b32 s29, s2, s4
	s_cmp_neq_f32 s6, 0
	s_wait_kmcnt 0x0
	v_cmp_gt_i32_e64 s2, s5, v8
	v_cmp_gt_i32_e64 s0, s5, v2
	;; [unrolled: 1-line block ×3, first 2 shown]
	s_cselect_b32 s4, -1, 0
	s_xor_b32 s3, s3, -1
	s_and_b32 s15, vcc_lo, s2
	s_or_b32 s14, s4, s3
	v_cmp_le_i32_e64 s3, v20, v10
	v_cmp_gt_i32_e64 s4, s5, v10
	v_cmp_le_i32_e32 vcc_lo, v22, v8
	v_cmp_le_i32_e64 s5, v22, v10
	v_lshl_or_b32 v7, v6, 8, v7
	v_add_nc_u32_e32 v27, 0x800, v3
	v_lshl_add_u64 v[16:17], v[16:17], 3, s[18:19]
	v_lshl_add_u64 v[18:19], v[0:1], 3, s[12:13]
	v_dual_ashrrev_i32 v9, 31, v8 :: v_dual_mov_b32 v21, 0
	s_and_b32 s18, s3, s4
	s_and_b32 s19, vcc_lo, s2
	s_and_b32 s28, s5, s4
	s_mov_b32 s2, s6
	s_mov_b32 s3, s6
	s_and_b32 s29, s29, s34
	s_mov_b32 s6, s7
	s_mov_b32 s4, s25
	;; [unrolled: 1-line block ×3, first 2 shown]
	s_branch .LBB229_6
.LBB229_5:                              ;   in Loop: Header=BB229_6 Depth=1
	s_wait_xcnt 0x0
	s_or_b32 exec_lo, exec_lo, s12
	s_add_co_i32 s10, s10, 0x10000
	s_delay_alu instid0(SALU_CYCLE_1)
	s_cmp_lt_u32 s10, s33
	s_cbranch_scc0 .LBB229_35
.LBB229_6:                              ; =>This Loop Header: Depth=1
                                        ;     Child Loop BB229_9 Depth 2
	v_dual_mov_b32 v38, v21 :: v_dual_mov_b32 v40, v21
	v_dual_mov_b32 v34, v21 :: v_dual_mov_b32 v36, v21
	v_dual_mov_b32 v30, v21 :: v_dual_mov_b32 v32, v21
	v_dual_mov_b32 v26, v21 :: v_dual_mov_b32 v28, v21
	s_and_not1_b32 vcc_lo, exec_lo, s29
	s_cbranch_vccnz .LBB229_15
; %bb.7:                                ;   in Loop: Header=BB229_6 Depth=1
	s_mul_u64 s[12:13], s[16:17], s[10:11]
	s_mul_u64 s[34:35], s[22:23], s[10:11]
	v_lshl_add_u64 v[22:23], s[12:13], 3, v[18:19]
	v_lshl_add_u64 v[24:25], s[34:35], 3, v[16:17]
	v_dual_mov_b32 v28, 0 :: v_dual_mov_b32 v26, 0
	v_dual_mov_b32 v32, 0 :: v_dual_mov_b32 v30, 0
	;; [unrolled: 1-line block ×4, first 2 shown]
	s_mov_b64 s[12:13], 0
	s_branch .LBB229_9
.LBB229_8:                              ;   in Loop: Header=BB229_9 Depth=2
	s_wait_xcnt 0x0
	s_or_b32 exec_lo, exec_lo, s34
	s_wait_loadcnt 0x0
	ds_store_b64 v27, v[2:3]
	s_wait_dscnt 0x0
	s_barrier_signal -1
	s_barrier_wait -1
	ds_load_b128 v[42:45], v29
	ds_load_b128 v[46:49], v29 offset:16
	ds_load_b128 v[50:53], v29 offset:32
	;; [unrolled: 1-line block ×3, first 2 shown]
	ds_load_2addr_b64 v[54:57], v5 offset1:16
	s_add_nc_u64 s[12:13], s[12:13], 8
	s_delay_alu instid0(SALU_CYCLE_1) | instskip(SKIP_3) | instid1(VALU_DEP_1)
	v_cmp_gt_i64_e64 s34, s[8:9], s[12:13]
	s_and_b32 vcc_lo, exec_lo, s34
	s_wait_dscnt 0x0
	v_dual_mul_f32 v20, v43, v55 :: v_dual_mul_f32 v31, v42, v55
	v_dual_mul_f32 v33, v42, v57 :: v_dual_fma_f32 v20, v42, v54, -v20
	s_delay_alu instid0(VALU_DEP_1) | instskip(NEXT) | instid1(VALU_DEP_1)
	v_dual_fmac_f32 v31, v43, v54 :: v_dual_fmac_f32 v33, v43, v56
	v_dual_add_f32 v20, v38, v20 :: v_dual_add_f32 v38, v40, v31
	v_mul_f32_e32 v31, v43, v57
	s_delay_alu instid0(VALU_DEP_1) | instskip(NEXT) | instid1(VALU_DEP_1)
	v_dual_add_f32 v40, v36, v33 :: v_dual_fma_f32 v31, v42, v56, -v31
	v_add_f32_e32 v39, v34, v31
	ds_load_b128 v[34:37], v29 offset:1024
	s_wait_dscnt 0x0
	v_dual_mul_f32 v31, v35, v55 :: v_dual_mul_f32 v33, v34, v55
	s_delay_alu instid0(VALU_DEP_1) | instskip(NEXT) | instid1(VALU_DEP_1)
	v_dual_fma_f32 v31, v34, v54, -v31 :: v_dual_fmac_f32 v33, v35, v54
	v_dual_add_f32 v41, v30, v31 :: v_dual_add_f32 v42, v32, v33
	v_dual_mul_f32 v30, v35, v57 :: v_dual_mul_f32 v31, v34, v57
	s_delay_alu instid0(VALU_DEP_1) | instskip(NEXT) | instid1(VALU_DEP_1)
	v_dual_fma_f32 v30, v34, v56, -v30 :: v_dual_fmac_f32 v31, v35, v56
	v_dual_add_f32 v26, v26, v30 :: v_dual_add_f32 v28, v28, v31
	ds_load_2addr_b64 v[30:33], v5 offset0:32 offset1:48
	s_wait_dscnt 0x0
	v_dual_mul_f32 v34, v45, v31 :: v_dual_mul_f32 v35, v44, v31
	s_delay_alu instid0(VALU_DEP_1) | instskip(NEXT) | instid1(VALU_DEP_1)
	v_dual_fma_f32 v34, v44, v30, -v34 :: v_dual_fmac_f32 v35, v45, v30
	v_dual_add_f32 v20, v20, v34 :: v_dual_add_f32 v34, v38, v35
	v_dual_mul_f32 v35, v45, v33 :: v_dual_mul_f32 v38, v44, v33
	s_delay_alu instid0(VALU_DEP_1) | instskip(NEXT) | instid1(VALU_DEP_1)
	v_dual_fma_f32 v35, v44, v32, -v35 :: v_dual_fmac_f32 v38, v45, v32
	v_dual_add_f32 v35, v39, v35 :: v_dual_add_f32 v38, v40, v38
	v_dual_mul_f32 v39, v37, v31 :: v_dual_mul_f32 v31, v36, v31
	s_delay_alu instid0(VALU_DEP_1) | instskip(NEXT) | instid1(VALU_DEP_2)
	v_fmac_f32_e32 v31, v37, v30
	v_dual_fma_f32 v39, v36, v30, -v39 :: v_dual_mul_f32 v30, v37, v33
	s_delay_alu instid0(VALU_DEP_2) | instskip(NEXT) | instid1(VALU_DEP_2)
	v_add_f32_e32 v40, v42, v31
	v_dual_add_f32 v39, v41, v39 :: v_dual_fma_f32 v30, v36, v32, -v30
	s_delay_alu instid0(VALU_DEP_1) | instskip(NEXT) | instid1(VALU_DEP_1)
	v_dual_mul_f32 v31, v36, v33 :: v_dual_add_f32 v26, v26, v30
	v_fmac_f32_e32 v31, v37, v32
	s_delay_alu instid0(VALU_DEP_1) | instskip(SKIP_3) | instid1(VALU_DEP_1)
	v_add_f32_e32 v28, v28, v31
	ds_load_2addr_b64 v[30:33], v5 offset0:64 offset1:80
	s_wait_dscnt 0x0
	v_mul_f32_e32 v36, v47, v31
	v_dual_fma_f32 v36, v46, v30, -v36 :: v_dual_mul_f32 v37, v46, v31
	s_delay_alu instid0(VALU_DEP_1) | instskip(SKIP_1) | instid1(VALU_DEP_2)
	v_dual_add_f32 v20, v20, v36 :: v_dual_fmac_f32 v37, v47, v30
	v_mul_f32_e32 v36, v46, v33
	v_add_f32_e32 v41, v34, v37
	v_mul_f32_e32 v34, v47, v33
	s_delay_alu instid0(VALU_DEP_1) | instskip(NEXT) | instid1(VALU_DEP_1)
	v_fma_f32 v34, v46, v32, -v34
	v_add_f32_e32 v42, v35, v34
	v_fmac_f32_e32 v36, v47, v32
	s_delay_alu instid0(VALU_DEP_1) | instskip(SKIP_3) | instid1(VALU_DEP_1)
	v_add_f32_e32 v38, v38, v36
	ds_load_b128 v[34:37], v29 offset:1040
	s_wait_dscnt 0x0
	v_dual_mul_f32 v43, v35, v31 :: v_dual_mul_f32 v31, v34, v31
	v_fma_f32 v43, v34, v30, -v43
	s_delay_alu instid0(VALU_DEP_2) | instskip(NEXT) | instid1(VALU_DEP_2)
	v_dual_fmac_f32 v31, v35, v30 :: v_dual_mul_f32 v30, v35, v33
	v_add_f32_e32 v39, v39, v43
	s_delay_alu instid0(VALU_DEP_2) | instskip(NEXT) | instid1(VALU_DEP_1)
	v_dual_add_f32 v40, v40, v31 :: v_dual_mul_f32 v31, v34, v33
	v_dual_fma_f32 v30, v34, v32, -v30 :: v_dual_fmac_f32 v31, v35, v32
	s_delay_alu instid0(VALU_DEP_1) | instskip(SKIP_3) | instid1(VALU_DEP_1)
	v_dual_add_f32 v26, v26, v30 :: v_dual_add_f32 v28, v28, v31
	ds_load_2addr_b64 v[30:33], v5 offset0:96 offset1:112
	s_wait_dscnt 0x0
	v_dual_mul_f32 v34, v49, v31 :: v_dual_mul_f32 v35, v48, v31
	v_dual_fma_f32 v34, v48, v30, -v34 :: v_dual_fmac_f32 v35, v49, v30
	s_delay_alu instid0(VALU_DEP_1) | instskip(SKIP_1) | instid1(VALU_DEP_1)
	v_dual_add_f32 v20, v20, v34 :: v_dual_add_f32 v34, v41, v35
	v_mul_f32_e32 v41, v48, v33
	v_fmac_f32_e32 v41, v49, v32
	s_delay_alu instid0(VALU_DEP_1) | instskip(SKIP_1) | instid1(VALU_DEP_2)
	v_dual_add_f32 v38, v38, v41 :: v_dual_mul_f32 v41, v37, v31
	v_dual_mul_f32 v35, v49, v33 :: v_dual_mul_f32 v31, v36, v31
	v_fma_f32 v41, v36, v30, -v41
	s_delay_alu instid0(VALU_DEP_2) | instskip(NEXT) | instid1(VALU_DEP_3)
	v_fma_f32 v35, v48, v32, -v35
	v_dual_fmac_f32 v31, v37, v30 :: v_dual_mul_f32 v30, v37, v33
	s_delay_alu instid0(VALU_DEP_2) | instskip(NEXT) | instid1(VALU_DEP_2)
	v_dual_add_f32 v39, v39, v41 :: v_dual_add_f32 v35, v42, v35
	v_add_f32_e32 v40, v40, v31
	s_delay_alu instid0(VALU_DEP_3) | instskip(NEXT) | instid1(VALU_DEP_1)
	v_dual_fma_f32 v30, v36, v32, -v30 :: v_dual_mul_f32 v31, v36, v33
	v_dual_fmac_f32 v31, v37, v32 :: v_dual_add_f32 v26, v26, v30
	s_delay_alu instid0(VALU_DEP_1) | instskip(SKIP_3) | instid1(VALU_DEP_1)
	v_add_f32_e32 v28, v28, v31
	ds_load_2addr_b64 v[30:33], v5 offset0:128 offset1:144
	s_wait_dscnt 0x0
	v_dual_mul_f32 v36, v51, v31 :: v_dual_mul_f32 v37, v50, v31
	v_dual_fma_f32 v36, v50, v30, -v36 :: v_dual_fmac_f32 v37, v51, v30
	s_delay_alu instid0(VALU_DEP_1) | instskip(SKIP_1) | instid1(VALU_DEP_1)
	v_dual_add_f32 v20, v20, v36 :: v_dual_add_f32 v41, v34, v37
	v_dual_mul_f32 v34, v51, v33 :: v_dual_mul_f32 v36, v50, v33
	v_dual_fma_f32 v34, v50, v32, -v34 :: v_dual_fmac_f32 v36, v51, v32
	s_delay_alu instid0(VALU_DEP_1) | instskip(SKIP_3) | instid1(VALU_DEP_1)
	v_dual_add_f32 v42, v35, v34 :: v_dual_add_f32 v38, v38, v36
	ds_load_b128 v[34:37], v29 offset:1056
	s_wait_dscnt 0x0
	v_dual_mul_f32 v43, v35, v31 :: v_dual_mul_f32 v31, v34, v31
	v_fmac_f32_e32 v31, v35, v30
	s_delay_alu instid0(VALU_DEP_2) | instskip(NEXT) | instid1(VALU_DEP_2)
	v_dual_fma_f32 v43, v34, v30, -v43 :: v_dual_mul_f32 v30, v35, v33
	v_dual_add_f32 v40, v40, v31 :: v_dual_mul_f32 v31, v34, v33
	s_delay_alu instid0(VALU_DEP_2) | instskip(NEXT) | instid1(VALU_DEP_1)
	v_dual_add_f32 v39, v39, v43 :: v_dual_fma_f32 v30, v34, v32, -v30
	v_dual_fmac_f32 v31, v35, v32 :: v_dual_add_f32 v26, v26, v30
	s_delay_alu instid0(VALU_DEP_1) | instskip(SKIP_3) | instid1(VALU_DEP_1)
	v_add_f32_e32 v28, v28, v31
	ds_load_2addr_b64 v[30:33], v5 offset0:160 offset1:176
	s_wait_dscnt 0x0
	v_dual_mul_f32 v34, v53, v31 :: v_dual_mul_f32 v35, v52, v31
	v_dual_fma_f32 v34, v52, v30, -v34 :: v_dual_fmac_f32 v35, v53, v30
	s_delay_alu instid0(VALU_DEP_1) | instskip(SKIP_1) | instid1(VALU_DEP_1)
	v_dual_add_f32 v20, v20, v34 :: v_dual_add_f32 v34, v41, v35
	v_mul_f32_e32 v41, v52, v33
	v_fmac_f32_e32 v41, v53, v32
	s_delay_alu instid0(VALU_DEP_1) | instskip(SKIP_1) | instid1(VALU_DEP_2)
	v_dual_add_f32 v38, v38, v41 :: v_dual_mul_f32 v41, v37, v31
	v_dual_mul_f32 v35, v53, v33 :: v_dual_mul_f32 v31, v36, v31
	v_fma_f32 v41, v36, v30, -v41
	s_delay_alu instid0(VALU_DEP_2) | instskip(NEXT) | instid1(VALU_DEP_3)
	v_fma_f32 v35, v52, v32, -v35
	v_dual_fmac_f32 v31, v37, v30 :: v_dual_mul_f32 v30, v37, v33
	s_delay_alu instid0(VALU_DEP_2) | instskip(NEXT) | instid1(VALU_DEP_2)
	v_dual_add_f32 v39, v39, v41 :: v_dual_add_f32 v35, v42, v35
	v_add_f32_e32 v44, v40, v31
	s_delay_alu instid0(VALU_DEP_3) | instskip(SKIP_2) | instid1(VALU_DEP_1)
	v_dual_fma_f32 v30, v36, v32, -v30 :: v_dual_mul_f32 v31, v36, v33
	ds_load_b128 v[40:43], v29 offset:1072
	v_dual_fmac_f32 v31, v37, v32 :: v_dual_add_f32 v26, v26, v30
	v_add_f32_e32 v28, v28, v31
	ds_load_2addr_b64 v[30:33], v5 offset0:192 offset1:208
	s_wait_dscnt 0x0
	v_dual_mul_f32 v36, v1, v31 :: v_dual_mul_f32 v37, v0, v31
	s_delay_alu instid0(VALU_DEP_1) | instskip(NEXT) | instid1(VALU_DEP_1)
	v_dual_fma_f32 v36, v0, v30, -v36 :: v_dual_fmac_f32 v37, v1, v30
	v_dual_add_f32 v20, v20, v36 :: v_dual_add_f32 v34, v34, v37
	v_mul_f32_e32 v36, v1, v33
	s_delay_alu instid0(VALU_DEP_1) | instskip(NEXT) | instid1(VALU_DEP_1)
	v_dual_fma_f32 v36, v0, v32, -v36 :: v_dual_mul_f32 v0, v0, v33
	v_fmac_f32_e32 v0, v1, v32
	s_delay_alu instid0(VALU_DEP_2) | instskip(NEXT) | instid1(VALU_DEP_1)
	v_dual_add_f32 v1, v35, v36 :: v_dual_mul_f32 v35, v41, v31
	v_dual_mul_f32 v31, v40, v31 :: v_dual_fma_f32 v35, v40, v30, -v35
	s_delay_alu instid0(VALU_DEP_1) | instskip(NEXT) | instid1(VALU_DEP_2)
	v_dual_add_f32 v0, v38, v0 :: v_dual_fmac_f32 v31, v41, v30
	v_dual_add_f32 v30, v39, v35 :: v_dual_mul_f32 v35, v41, v33
	v_mul_f32_e32 v33, v40, v33
	s_delay_alu instid0(VALU_DEP_3)
	v_add_f32_e32 v31, v44, v31
	ds_load_2addr_b64 v[44:47], v5 offset0:224 offset1:240
	s_wait_dscnt 0x0
	v_dual_fma_f32 v35, v40, v32, -v35 :: v_dual_fmac_f32 v33, v41, v32
	s_barrier_signal -1
	s_barrier_wait -1
	s_delay_alu instid0(VALU_DEP_1) | instskip(SKIP_1) | instid1(VALU_DEP_1)
	v_dual_add_f32 v26, v26, v35 :: v_dual_add_f32 v28, v28, v33
	v_dual_mul_f32 v32, v3, v45 :: v_dual_mul_f32 v33, v2, v45
	v_dual_fma_f32 v32, v2, v44, -v32 :: v_dual_fmac_f32 v33, v3, v44
	s_delay_alu instid0(VALU_DEP_1) | instskip(SKIP_1) | instid1(VALU_DEP_1)
	v_dual_add_f32 v38, v20, v32 :: v_dual_add_f32 v40, v34, v33
	v_mul_f32_e32 v20, v3, v47
	v_dual_fma_f32 v20, v2, v46, -v20 :: v_dual_mul_f32 v2, v2, v47
	s_delay_alu instid0(VALU_DEP_1) | instskip(NEXT) | instid1(VALU_DEP_1)
	v_dual_fmac_f32 v2, v3, v46 :: v_dual_add_f32 v34, v1, v20
	v_dual_mul_f32 v1, v42, v45 :: v_dual_add_f32 v36, v0, v2
	s_delay_alu instid0(VALU_DEP_1) | instskip(NEXT) | instid1(VALU_DEP_1)
	v_dual_mul_f32 v0, v43, v45 :: v_dual_fmac_f32 v1, v43, v44
	v_dual_fma_f32 v0, v42, v44, -v0 :: v_dual_add_f32 v32, v31, v1
	v_mul_f32_e32 v1, v42, v47
	s_delay_alu instid0(VALU_DEP_2) | instskip(NEXT) | instid1(VALU_DEP_1)
	v_dual_add_f32 v30, v30, v0 :: v_dual_mul_f32 v0, v43, v47
	v_dual_fmac_f32 v1, v43, v46 :: v_dual_fma_f32 v0, v42, v46, -v0
	s_delay_alu instid0(VALU_DEP_1)
	v_dual_add_f32 v28, v28, v1 :: v_dual_add_f32 v26, v26, v0
	s_cbranch_vccz .LBB229_15
.LBB229_9:                              ;   Parent Loop BB229_6 Depth=1
                                        ; =>  This Inner Loop Header: Depth=2
	v_dual_mov_b32 v0, 0 :: v_dual_mov_b32 v1, 0
	s_and_saveexec_b32 s34, s0
	s_cbranch_execz .LBB229_13
; %bb.10:                               ;   in Loop: Header=BB229_9 Depth=2
	v_dual_mov_b32 v1, 0 :: v_dual_add_nc_u32 v20, s12, v6
	v_mov_b32_e32 v0, 0
	s_mov_b32 s35, exec_lo
	s_delay_alu instid0(VALU_DEP_2)
	v_cmpx_gt_u64_e64 s[8:9], v[20:21]
	s_cbranch_execz .LBB229_12
; %bb.11:                               ;   in Loop: Header=BB229_9 Depth=2
	v_lshl_add_u64 v[0:1], v[20:21], 3, v[22:23]
	global_load_b64 v[0:1], v[0:1], off
.LBB229_12:                             ;   in Loop: Header=BB229_9 Depth=2
	s_wait_xcnt 0x0
	s_or_b32 exec_lo, exec_lo, s35
.LBB229_13:                             ;   in Loop: Header=BB229_9 Depth=2
	s_delay_alu instid0(SALU_CYCLE_1)
	s_or_b32 exec_lo, exec_lo, s34
	v_dual_add_nc_u32 v20, s12, v4 :: v_dual_mov_b32 v2, 0
	v_mov_b32_e32 v3, 0
	s_wait_loadcnt 0x0
	ds_store_b64 v7, v[0:1]
	v_cmp_gt_u64_e32 vcc_lo, s[8:9], v[20:21]
	s_and_b32 s35, vcc_lo, s1
	s_delay_alu instid0(SALU_CYCLE_1)
	s_and_saveexec_b32 s34, s35
	s_cbranch_execz .LBB229_8
; %bb.14:                               ;   in Loop: Header=BB229_9 Depth=2
	v_mul_u64_e32 v[0:1], s[20:21], v[20:21]
	s_delay_alu instid0(VALU_DEP_1)
	v_lshl_add_u64 v[0:1], v[0:1], 3, v[24:25]
	global_load_b64 v[2:3], v[0:1], off
	s_branch .LBB229_8
.LBB229_15:                             ;   in Loop: Header=BB229_6 Depth=1
	s_mul_u64 s[12:13], s[30:31], s[10:11]
	s_delay_alu instid0(SALU_CYCLE_1) | instskip(NEXT) | instid1(SALU_CYCLE_1)
	s_lshl_b64 s[12:13], s[12:13], 3
	s_add_nc_u64 s[12:13], s[26:27], s[12:13]
	s_delay_alu instid0(SALU_CYCLE_1)
	v_lshl_add_u64 v[0:1], v[12:13], 3, s[12:13]
	s_and_saveexec_b32 s34, s15
	s_cbranch_execz .LBB229_20
; %bb.16:                               ;   in Loop: Header=BB229_6 Depth=1
	v_mov_b64_e32 v[2:3], s[4:5]
	v_mov_b64_e32 v[22:23], s[24:25]
	s_and_b32 vcc_lo, exec_lo, s14
	s_mov_b32 s35, -1
	s_delay_alu instid0(VALU_DEP_2) | instskip(NEXT) | instid1(VALU_DEP_1)
	v_pk_mul_f32 v[2:3], v[40:41], v[2:3] op_sel_hi:[0,1]
	v_pk_fma_f32 v[24:25], v[38:39], v[22:23], v[2:3] op_sel_hi:[0,1,1]
	v_pk_fma_f32 v[2:3], v[38:39], v[22:23], v[2:3] neg_lo:[0,0,1] neg_hi:[0,0,1]
	v_lshl_add_u64 v[22:23], v[8:9], 3, v[0:1]
	s_delay_alu instid0(VALU_DEP_3)
	v_mov_b32_e32 v3, v25
	s_cbranch_vccz .LBB229_18
; %bb.17:                               ;   in Loop: Header=BB229_6 Depth=1
	global_load_b64 v[24:25], v[22:23], off
	v_mov_b64_e32 v[38:39], s[6:7]
	v_mov_b64_e32 v[40:41], s[2:3]
	s_mov_b32 s35, 0
	s_wait_loadcnt 0x0
	s_delay_alu instid0(VALU_DEP_2) | instskip(NEXT) | instid1(VALU_DEP_1)
	v_pk_mul_f32 v[38:39], v[24:25], v[38:39]
	v_pk_fma_f32 v[42:43], v[24:25], v[40:41], v[38:39] op_sel:[0,0,1] op_sel_hi:[1,1,0]
	v_pk_fma_f32 v[24:25], v[24:25], v[40:41], v[38:39] op_sel:[0,0,1] op_sel_hi:[1,1,0] neg_lo:[0,0,1] neg_hi:[0,0,1]
	s_delay_alu instid0(VALU_DEP_2) | instskip(NEXT) | instid1(VALU_DEP_1)
	v_mov_b32_e32 v25, v43
	v_pk_add_f32 v[24:25], v[2:3], v[24:25]
	global_store_b64 v[22:23], v[24:25], off
.LBB229_18:                             ;   in Loop: Header=BB229_6 Depth=1
	s_and_not1_b32 vcc_lo, exec_lo, s35
	s_cbranch_vccnz .LBB229_20
; %bb.19:                               ;   in Loop: Header=BB229_6 Depth=1
	global_store_b64 v[22:23], v[2:3], off
.LBB229_20:                             ;   in Loop: Header=BB229_6 Depth=1
	s_wait_xcnt 0x0
	s_or_b32 exec_lo, exec_lo, s34
	s_and_saveexec_b32 s34, s18
	s_cbranch_execz .LBB229_25
; %bb.21:                               ;   in Loop: Header=BB229_6 Depth=1
	v_mov_b64_e32 v[2:3], s[4:5]
	v_mov_b64_e32 v[22:23], s[24:25]
	v_lshl_add_u64 v[0:1], v[10:11], 3, v[0:1]
	s_and_not1_b32 vcc_lo, exec_lo, s14
	s_mov_b32 s35, -1
	s_delay_alu instid0(VALU_DEP_3) | instskip(NEXT) | instid1(VALU_DEP_1)
	v_pk_mul_f32 v[2:3], v[36:37], v[2:3] op_sel_hi:[0,1]
	v_pk_fma_f32 v[24:25], v[34:35], v[22:23], v[2:3] op_sel_hi:[0,1,1]
	v_pk_fma_f32 v[2:3], v[34:35], v[22:23], v[2:3] neg_lo:[0,0,1] neg_hi:[0,0,1]
	s_delay_alu instid0(VALU_DEP_2)
	v_mov_b32_e32 v3, v25
	s_cbranch_vccnz .LBB229_23
; %bb.22:                               ;   in Loop: Header=BB229_6 Depth=1
	global_load_b64 v[22:23], v[0:1], off
	v_mov_b64_e32 v[24:25], s[6:7]
	v_mov_b64_e32 v[34:35], s[2:3]
	s_mov_b32 s35, 0
	s_wait_loadcnt 0x0
	s_delay_alu instid0(VALU_DEP_2) | instskip(NEXT) | instid1(VALU_DEP_1)
	v_pk_mul_f32 v[24:25], v[22:23], v[24:25]
	v_pk_fma_f32 v[36:37], v[22:23], v[34:35], v[24:25] op_sel:[0,0,1] op_sel_hi:[1,1,0]
	v_pk_fma_f32 v[22:23], v[22:23], v[34:35], v[24:25] op_sel:[0,0,1] op_sel_hi:[1,1,0] neg_lo:[0,0,1] neg_hi:[0,0,1]
	s_delay_alu instid0(VALU_DEP_2) | instskip(NEXT) | instid1(VALU_DEP_1)
	v_mov_b32_e32 v23, v37
	v_pk_add_f32 v[22:23], v[2:3], v[22:23]
	global_store_b64 v[0:1], v[22:23], off
.LBB229_23:                             ;   in Loop: Header=BB229_6 Depth=1
	s_and_not1_b32 vcc_lo, exec_lo, s35
	s_cbranch_vccnz .LBB229_25
; %bb.24:                               ;   in Loop: Header=BB229_6 Depth=1
	global_store_b64 v[0:1], v[2:3], off
.LBB229_25:                             ;   in Loop: Header=BB229_6 Depth=1
	s_wait_xcnt 0x0
	s_or_b32 exec_lo, exec_lo, s34
	v_lshl_add_u64 v[0:1], v[14:15], 3, s[12:13]
	s_and_saveexec_b32 s12, s19
	s_cbranch_execz .LBB229_30
; %bb.26:                               ;   in Loop: Header=BB229_6 Depth=1
	v_mov_b64_e32 v[2:3], s[4:5]
	v_mov_b64_e32 v[22:23], s[24:25]
	s_and_not1_b32 vcc_lo, exec_lo, s14
	s_mov_b32 s13, -1
	s_delay_alu instid0(VALU_DEP_2) | instskip(NEXT) | instid1(VALU_DEP_1)
	v_pk_mul_f32 v[2:3], v[32:33], v[2:3] op_sel_hi:[0,1]
	v_pk_fma_f32 v[24:25], v[30:31], v[22:23], v[2:3] op_sel_hi:[0,1,1]
	v_pk_fma_f32 v[2:3], v[30:31], v[22:23], v[2:3] neg_lo:[0,0,1] neg_hi:[0,0,1]
	v_lshl_add_u64 v[22:23], v[8:9], 3, v[0:1]
	s_delay_alu instid0(VALU_DEP_3)
	v_mov_b32_e32 v3, v25
	s_cbranch_vccnz .LBB229_28
; %bb.27:                               ;   in Loop: Header=BB229_6 Depth=1
	global_load_b64 v[24:25], v[22:23], off
	v_mov_b64_e32 v[30:31], s[6:7]
	v_mov_b64_e32 v[32:33], s[2:3]
	s_mov_b32 s13, 0
	s_wait_loadcnt 0x0
	s_delay_alu instid0(VALU_DEP_2) | instskip(NEXT) | instid1(VALU_DEP_1)
	v_pk_mul_f32 v[30:31], v[24:25], v[30:31]
	v_pk_fma_f32 v[34:35], v[24:25], v[32:33], v[30:31] op_sel:[0,0,1] op_sel_hi:[1,1,0]
	v_pk_fma_f32 v[24:25], v[24:25], v[32:33], v[30:31] op_sel:[0,0,1] op_sel_hi:[1,1,0] neg_lo:[0,0,1] neg_hi:[0,0,1]
	s_delay_alu instid0(VALU_DEP_2) | instskip(NEXT) | instid1(VALU_DEP_1)
	v_mov_b32_e32 v25, v35
	v_pk_add_f32 v[24:25], v[2:3], v[24:25]
	global_store_b64 v[22:23], v[24:25], off
.LBB229_28:                             ;   in Loop: Header=BB229_6 Depth=1
	s_and_not1_b32 vcc_lo, exec_lo, s13
	s_cbranch_vccnz .LBB229_30
; %bb.29:                               ;   in Loop: Header=BB229_6 Depth=1
	global_store_b64 v[22:23], v[2:3], off
.LBB229_30:                             ;   in Loop: Header=BB229_6 Depth=1
	s_wait_xcnt 0x0
	s_or_b32 exec_lo, exec_lo, s12
	s_and_saveexec_b32 s12, s28
	s_cbranch_execz .LBB229_5
; %bb.31:                               ;   in Loop: Header=BB229_6 Depth=1
	v_mov_b64_e32 v[2:3], s[4:5]
	v_mov_b64_e32 v[22:23], s[24:25]
	v_lshl_add_u64 v[0:1], v[10:11], 3, v[0:1]
	s_and_not1_b32 vcc_lo, exec_lo, s14
	s_mov_b32 s13, -1
	s_delay_alu instid0(VALU_DEP_3) | instskip(NEXT) | instid1(VALU_DEP_1)
	v_pk_mul_f32 v[2:3], v[28:29], v[2:3] op_sel_hi:[0,1]
	v_pk_fma_f32 v[24:25], v[26:27], v[22:23], v[2:3] op_sel_hi:[0,1,1]
	v_pk_fma_f32 v[2:3], v[26:27], v[22:23], v[2:3] neg_lo:[0,0,1] neg_hi:[0,0,1]
	s_delay_alu instid0(VALU_DEP_2)
	v_mov_b32_e32 v3, v25
	s_cbranch_vccnz .LBB229_33
; %bb.32:                               ;   in Loop: Header=BB229_6 Depth=1
	global_load_b64 v[22:23], v[0:1], off
	v_mov_b64_e32 v[24:25], s[6:7]
	v_mov_b64_e32 v[30:31], s[2:3]
	s_mov_b32 s13, 0
	s_wait_loadcnt 0x0
	s_delay_alu instid0(VALU_DEP_2) | instskip(NEXT) | instid1(VALU_DEP_1)
	v_pk_mul_f32 v[24:25], v[22:23], v[24:25]
	v_pk_fma_f32 v[32:33], v[22:23], v[30:31], v[24:25] op_sel:[0,0,1] op_sel_hi:[1,1,0]
	v_pk_fma_f32 v[22:23], v[22:23], v[30:31], v[24:25] op_sel:[0,0,1] op_sel_hi:[1,1,0] neg_lo:[0,0,1] neg_hi:[0,0,1]
	s_delay_alu instid0(VALU_DEP_2) | instskip(NEXT) | instid1(VALU_DEP_1)
	v_mov_b32_e32 v23, v33
	v_pk_add_f32 v[22:23], v[2:3], v[22:23]
	global_store_b64 v[0:1], v[22:23], off
.LBB229_33:                             ;   in Loop: Header=BB229_6 Depth=1
	s_and_not1_b32 vcc_lo, exec_lo, s13
	s_cbranch_vccnz .LBB229_5
; %bb.34:                               ;   in Loop: Header=BB229_6 Depth=1
	global_store_b64 v[0:1], v[2:3], off
	s_branch .LBB229_5
.LBB229_35:
	s_endpgm
	.section	.rodata,"a",@progbits
	.p2align	6, 0x0
	.amdhsa_kernel _ZL29rocblas_internal_gemmt_kernelIlLi16ELi32ELi8ELc84ELc84ELc76ELb0ELb0E19rocblas_complex_numIfEPKS1_S3_PS1_EviT_T9_T10_S5_lS7_S5_lS6_T11_S5_li
		.amdhsa_group_segment_fixed_size 4096
		.amdhsa_private_segment_fixed_size 0
		.amdhsa_kernarg_size 108
		.amdhsa_user_sgpr_count 2
		.amdhsa_user_sgpr_dispatch_ptr 0
		.amdhsa_user_sgpr_queue_ptr 0
		.amdhsa_user_sgpr_kernarg_segment_ptr 1
		.amdhsa_user_sgpr_dispatch_id 0
		.amdhsa_user_sgpr_kernarg_preload_length 0
		.amdhsa_user_sgpr_kernarg_preload_offset 0
		.amdhsa_user_sgpr_private_segment_size 0
		.amdhsa_wavefront_size32 1
		.amdhsa_uses_dynamic_stack 0
		.amdhsa_enable_private_segment 0
		.amdhsa_system_sgpr_workgroup_id_x 1
		.amdhsa_system_sgpr_workgroup_id_y 1
		.amdhsa_system_sgpr_workgroup_id_z 1
		.amdhsa_system_sgpr_workgroup_info 0
		.amdhsa_system_vgpr_workitem_id 1
		.amdhsa_next_free_vgpr 58
		.amdhsa_next_free_sgpr 37
		.amdhsa_named_barrier_count 0
		.amdhsa_reserve_vcc 1
		.amdhsa_float_round_mode_32 0
		.amdhsa_float_round_mode_16_64 0
		.amdhsa_float_denorm_mode_32 3
		.amdhsa_float_denorm_mode_16_64 3
		.amdhsa_fp16_overflow 0
		.amdhsa_memory_ordered 1
		.amdhsa_forward_progress 1
		.amdhsa_inst_pref_size 25
		.amdhsa_round_robin_scheduling 0
		.amdhsa_exception_fp_ieee_invalid_op 0
		.amdhsa_exception_fp_denorm_src 0
		.amdhsa_exception_fp_ieee_div_zero 0
		.amdhsa_exception_fp_ieee_overflow 0
		.amdhsa_exception_fp_ieee_underflow 0
		.amdhsa_exception_fp_ieee_inexact 0
		.amdhsa_exception_int_div_zero 0
	.end_amdhsa_kernel
	.section	.text._ZL29rocblas_internal_gemmt_kernelIlLi16ELi32ELi8ELc84ELc84ELc76ELb0ELb0E19rocblas_complex_numIfEPKS1_S3_PS1_EviT_T9_T10_S5_lS7_S5_lS6_T11_S5_li,"axG",@progbits,_ZL29rocblas_internal_gemmt_kernelIlLi16ELi32ELi8ELc84ELc84ELc76ELb0ELb0E19rocblas_complex_numIfEPKS1_S3_PS1_EviT_T9_T10_S5_lS7_S5_lS6_T11_S5_li,comdat
.Lfunc_end229:
	.size	_ZL29rocblas_internal_gemmt_kernelIlLi16ELi32ELi8ELc84ELc84ELc76ELb0ELb0E19rocblas_complex_numIfEPKS1_S3_PS1_EviT_T9_T10_S5_lS7_S5_lS6_T11_S5_li, .Lfunc_end229-_ZL29rocblas_internal_gemmt_kernelIlLi16ELi32ELi8ELc84ELc84ELc76ELb0ELb0E19rocblas_complex_numIfEPKS1_S3_PS1_EviT_T9_T10_S5_lS7_S5_lS6_T11_S5_li
                                        ; -- End function
	.set _ZL29rocblas_internal_gemmt_kernelIlLi16ELi32ELi8ELc84ELc84ELc76ELb0ELb0E19rocblas_complex_numIfEPKS1_S3_PS1_EviT_T9_T10_S5_lS7_S5_lS6_T11_S5_li.num_vgpr, 58
	.set _ZL29rocblas_internal_gemmt_kernelIlLi16ELi32ELi8ELc84ELc84ELc76ELb0ELb0E19rocblas_complex_numIfEPKS1_S3_PS1_EviT_T9_T10_S5_lS7_S5_lS6_T11_S5_li.num_agpr, 0
	.set _ZL29rocblas_internal_gemmt_kernelIlLi16ELi32ELi8ELc84ELc84ELc76ELb0ELb0E19rocblas_complex_numIfEPKS1_S3_PS1_EviT_T9_T10_S5_lS7_S5_lS6_T11_S5_li.numbered_sgpr, 37
	.set _ZL29rocblas_internal_gemmt_kernelIlLi16ELi32ELi8ELc84ELc84ELc76ELb0ELb0E19rocblas_complex_numIfEPKS1_S3_PS1_EviT_T9_T10_S5_lS7_S5_lS6_T11_S5_li.num_named_barrier, 0
	.set _ZL29rocblas_internal_gemmt_kernelIlLi16ELi32ELi8ELc84ELc84ELc76ELb0ELb0E19rocblas_complex_numIfEPKS1_S3_PS1_EviT_T9_T10_S5_lS7_S5_lS6_T11_S5_li.private_seg_size, 0
	.set _ZL29rocblas_internal_gemmt_kernelIlLi16ELi32ELi8ELc84ELc84ELc76ELb0ELb0E19rocblas_complex_numIfEPKS1_S3_PS1_EviT_T9_T10_S5_lS7_S5_lS6_T11_S5_li.uses_vcc, 1
	.set _ZL29rocblas_internal_gemmt_kernelIlLi16ELi32ELi8ELc84ELc84ELc76ELb0ELb0E19rocblas_complex_numIfEPKS1_S3_PS1_EviT_T9_T10_S5_lS7_S5_lS6_T11_S5_li.uses_flat_scratch, 0
	.set _ZL29rocblas_internal_gemmt_kernelIlLi16ELi32ELi8ELc84ELc84ELc76ELb0ELb0E19rocblas_complex_numIfEPKS1_S3_PS1_EviT_T9_T10_S5_lS7_S5_lS6_T11_S5_li.has_dyn_sized_stack, 0
	.set _ZL29rocblas_internal_gemmt_kernelIlLi16ELi32ELi8ELc84ELc84ELc76ELb0ELb0E19rocblas_complex_numIfEPKS1_S3_PS1_EviT_T9_T10_S5_lS7_S5_lS6_T11_S5_li.has_recursion, 0
	.set _ZL29rocblas_internal_gemmt_kernelIlLi16ELi32ELi8ELc84ELc84ELc76ELb0ELb0E19rocblas_complex_numIfEPKS1_S3_PS1_EviT_T9_T10_S5_lS7_S5_lS6_T11_S5_li.has_indirect_call, 0
	.section	.AMDGPU.csdata,"",@progbits
; Kernel info:
; codeLenInByte = 3164
; TotalNumSgprs: 39
; NumVgprs: 58
; ScratchSize: 0
; MemoryBound: 0
; FloatMode: 240
; IeeeMode: 1
; LDSByteSize: 4096 bytes/workgroup (compile time only)
; SGPRBlocks: 0
; VGPRBlocks: 3
; NumSGPRsForWavesPerEU: 39
; NumVGPRsForWavesPerEU: 58
; NamedBarCnt: 0
; Occupancy: 16
; WaveLimiterHint : 0
; COMPUTE_PGM_RSRC2:SCRATCH_EN: 0
; COMPUTE_PGM_RSRC2:USER_SGPR: 2
; COMPUTE_PGM_RSRC2:TRAP_HANDLER: 0
; COMPUTE_PGM_RSRC2:TGID_X_EN: 1
; COMPUTE_PGM_RSRC2:TGID_Y_EN: 1
; COMPUTE_PGM_RSRC2:TGID_Z_EN: 1
; COMPUTE_PGM_RSRC2:TIDIG_COMP_CNT: 1
	.section	.text._ZL29rocblas_internal_gemmt_kernelIlLi16ELi32ELi8ELc84ELc67ELc76ELb0ELb1E19rocblas_complex_numIfEPKS1_S3_PS1_EviT_T9_T10_S5_lS7_S5_lS6_T11_S5_li,"axG",@progbits,_ZL29rocblas_internal_gemmt_kernelIlLi16ELi32ELi8ELc84ELc67ELc76ELb0ELb1E19rocblas_complex_numIfEPKS1_S3_PS1_EviT_T9_T10_S5_lS7_S5_lS6_T11_S5_li,comdat
	.globl	_ZL29rocblas_internal_gemmt_kernelIlLi16ELi32ELi8ELc84ELc67ELc76ELb0ELb1E19rocblas_complex_numIfEPKS1_S3_PS1_EviT_T9_T10_S5_lS7_S5_lS6_T11_S5_li ; -- Begin function _ZL29rocblas_internal_gemmt_kernelIlLi16ELi32ELi8ELc84ELc67ELc76ELb0ELb1E19rocblas_complex_numIfEPKS1_S3_PS1_EviT_T9_T10_S5_lS7_S5_lS6_T11_S5_li
	.p2align	8
	.type	_ZL29rocblas_internal_gemmt_kernelIlLi16ELi32ELi8ELc84ELc67ELc76ELb0ELb1E19rocblas_complex_numIfEPKS1_S3_PS1_EviT_T9_T10_S5_lS7_S5_lS6_T11_S5_li,@function
_ZL29rocblas_internal_gemmt_kernelIlLi16ELi32ELi8ELc84ELc67ELc76ELb0ELb1E19rocblas_complex_numIfEPKS1_S3_PS1_EviT_T9_T10_S5_lS7_S5_lS6_T11_S5_li: ; @_ZL29rocblas_internal_gemmt_kernelIlLi16ELi32ELi8ELc84ELc67ELc76ELb0ELb1E19rocblas_complex_numIfEPKS1_S3_PS1_EviT_T9_T10_S5_lS7_S5_lS6_T11_S5_li
; %bb.0:
	s_load_b256 s[24:31], s[0:1], 0x48
	s_wait_kmcnt 0x0
	s_load_b64 s[6:7], s[24:25], 0x0
	s_load_b512 s[8:23], s[0:1], 0x8
	s_wait_kmcnt 0x0
	s_cmp_neq_f32 s6, 1.0
	s_load_b64 s[24:25], s[10:11], 0x0
	s_cselect_b32 s2, -1, 0
	s_and_b32 s4, s7, 0x7fffffff
	s_delay_alu instid0(SALU_CYCLE_1) | instskip(SKIP_3) | instid1(SALU_CYCLE_1)
	s_cmp_eq_u32 s4, 0
	s_cselect_b32 s3, -1, 0
	s_cmp_lg_u32 s4, 0
	s_cselect_b32 s4, -1, 0
	s_or_b32 s2, s2, s4
	s_delay_alu instid0(SALU_CYCLE_1)
	s_and_b32 vcc_lo, exec_lo, s2
	s_cbranch_vccnz .LBB230_2
; %bb.1:
	s_cmp_lg_u64 s[8:9], 0
	s_cselect_b32 s2, -1, 0
	s_wait_kmcnt 0x0
	s_cmp_neq_f32 s24, 0
	s_cselect_b32 s4, -1, 0
	s_cmp_neq_f32 s25, 0
	s_cselect_b32 s5, -1, 0
	s_delay_alu instid0(SALU_CYCLE_1) | instskip(NEXT) | instid1(SALU_CYCLE_1)
	s_or_b32 s4, s4, s5
	s_and_b32 s2, s2, s4
.LBB230_2:
	s_delay_alu instid0(SALU_CYCLE_1)
	s_and_not1_b32 vcc_lo, exec_lo, s2
	s_cbranch_vccnz .LBB230_37
; %bb.3:
	s_load_b32 s33, s[0:1], 0x68
	s_bfe_u32 s2, ttmp6, 0x40014
	s_lshr_b32 s4, ttmp7, 16
	s_add_co_i32 s2, s2, 1
	s_wait_xcnt 0x0
	s_bfe_u32 s10, ttmp6, 0x40008
	s_mul_i32 s5, s4, s2
	s_getreg_b32 s2, hwreg(HW_REG_IB_STS2, 6, 4)
	s_add_co_i32 s10, s10, s5
	s_cmp_eq_u32 s2, 0
	s_mov_b32 s11, 0
	s_cselect_b32 s10, s4, s10
	s_wait_kmcnt 0x0
	s_cmp_ge_u32 s10, s33
	s_cbranch_scc1 .LBB230_37
; %bb.4:
	v_and_b32_e32 v7, 0x3ff, v0
	v_bfe_u32 v9, v0, 10, 10
	s_bfe_u32 s4, ttmp6, 0x4000c
	s_bfe_u32 s34, ttmp6, 0x40010
	s_add_co_i32 s4, s4, 1
	s_and_b32 s35, ttmp7, 0xffff
	s_add_co_i32 s34, s34, 1
	v_lshl_add_u32 v8, v9, 4, v7
	s_and_b32 s5, ttmp6, 15
	s_mul_i32 s4, ttmp9, s4
	s_mul_i32 s34, s35, s34
	s_bfe_u32 s36, ttmp6, 0x40004
	s_add_co_i32 s5, s5, s4
	s_add_co_i32 s36, s36, s34
	s_cmp_eq_u32 s2, 0
	v_and_b32_e32 v10, 31, v8
	s_cselect_b32 s2, ttmp9, s5
	s_cselect_b32 s4, s35, s36
	s_lshl_b32 s2, s2, 5
	v_dual_lshlrev_b32 v5, 3, v7 :: v_dual_bitop2_b32 v4, 7, v0 bitop3:0x40
	v_or_b32_e32 v2, s2, v10
	s_load_b32 s5, s[0:1], 0x0
	s_wait_xcnt 0x0
	s_lshl_b32 s0, s4, 5
	v_lshlrev_b32_e32 v11, 3, v4
	v_dual_lshrrev_b32 v6, 5, v8 :: v_dual_ashrrev_i32 v3, 31, v2
	v_add_nc_u32_e32 v20, s0, v9
	s_cmp_neq_f32 s24, 0
	v_cmp_gt_i64_e64 s34, s[8:9], 0
	v_lshl_add_u32 v29, v9, 6, 0x800
	v_mul_u64_e32 v[0:1], s[14:15], v[2:3]
	v_dual_lshrrev_b32 v3, 3, v8 :: v_dual_add_nc_u32 v8, s2, v7
	v_dual_add_nc_u32 v22, 16, v20 :: v_dual_ashrrev_i32 v21, 31, v20
	s_delay_alu instid0(VALU_DEP_2) | instskip(NEXT) | instid1(VALU_DEP_2)
	v_dual_lshlrev_b32 v7, 3, v10 :: v_dual_add_nc_u32 v16, s0, v3
	v_dual_add_nc_u32 v10, 16, v8 :: v_dual_ashrrev_i32 v23, 31, v22
	s_delay_alu instid0(VALU_DEP_3)
	v_mul_u64_e32 v[12:13], s[28:29], v[20:21]
	s_cselect_b32 s2, -1, 0
	s_cmp_neq_f32 s25, 0
	v_cmp_le_i32_e32 vcc_lo, v20, v8
	v_mul_u64_e32 v[14:15], s[28:29], v[22:23]
	v_lshl_or_b32 v3, v3, 6, v11
	s_cselect_b32 s4, -1, 0
	v_dual_ashrrev_i32 v17, 31, v16 :: v_dual_ashrrev_i32 v11, 31, v10
	s_or_b32 s29, s2, s4
	s_cmp_neq_f32 s6, 0
	s_wait_kmcnt 0x0
	v_cmp_gt_i32_e64 s2, s5, v8
	v_cmp_gt_i32_e64 s0, s5, v2
	;; [unrolled: 1-line block ×3, first 2 shown]
	s_cselect_b32 s4, -1, 0
	s_xor_b32 s3, s3, -1
	s_and_b32 s15, vcc_lo, s2
	s_or_b32 s14, s4, s3
	v_cmp_le_i32_e64 s3, v20, v10
	v_cmp_gt_i32_e64 s4, s5, v10
	v_cmp_le_i32_e32 vcc_lo, v22, v8
	v_cmp_le_i32_e64 s5, v22, v10
	v_lshl_or_b32 v7, v6, 8, v7
	v_add_nc_u32_e32 v27, 0x800, v3
	v_lshl_add_u64 v[16:17], v[16:17], 3, s[18:19]
	v_lshl_add_u64 v[18:19], v[0:1], 3, s[12:13]
	v_dual_ashrrev_i32 v9, 31, v8 :: v_dual_mov_b32 v21, 0
	s_and_b32 s18, s3, s4
	s_and_b32 s19, vcc_lo, s2
	s_and_b32 s28, s5, s4
	s_mov_b32 s2, s6
	s_mov_b32 s3, s6
	;; [unrolled: 1-line block ×3, first 2 shown]
	s_and_b32 s29, s29, s34
	s_mov_b32 s4, s25
	s_mov_b32 s5, s24
	s_xor_b32 s1, s1, -1
	s_branch .LBB230_6
.LBB230_5:                              ;   in Loop: Header=BB230_6 Depth=1
	s_wait_xcnt 0x0
	s_or_b32 exec_lo, exec_lo, s12
	s_add_co_i32 s10, s10, 0x10000
	s_delay_alu instid0(SALU_CYCLE_1)
	s_cmp_lt_u32 s10, s33
	s_cbranch_scc0 .LBB230_37
.LBB230_6:                              ; =>This Loop Header: Depth=1
                                        ;     Child Loop BB230_9 Depth 2
	v_dual_mov_b32 v38, v21 :: v_dual_mov_b32 v40, v21
	v_dual_mov_b32 v34, v21 :: v_dual_mov_b32 v36, v21
	;; [unrolled: 1-line block ×4, first 2 shown]
	s_and_not1_b32 vcc_lo, exec_lo, s29
	s_cbranch_vccnz .LBB230_17
; %bb.7:                                ;   in Loop: Header=BB230_6 Depth=1
	s_mul_u64 s[12:13], s[16:17], s[10:11]
	s_mul_u64 s[34:35], s[22:23], s[10:11]
	v_lshl_add_u64 v[22:23], s[12:13], 3, v[18:19]
	v_lshl_add_u64 v[24:25], s[34:35], 3, v[16:17]
	v_dual_mov_b32 v28, 0 :: v_dual_mov_b32 v26, 0
	v_dual_mov_b32 v32, 0 :: v_dual_mov_b32 v30, 0
	;; [unrolled: 1-line block ×4, first 2 shown]
	s_mov_b64 s[12:13], 0
	s_branch .LBB230_9
.LBB230_8:                              ;   in Loop: Header=BB230_9 Depth=2
	s_or_b32 exec_lo, exec_lo, s34
	ds_store_b32 v27, v0 offset:4
	s_wait_dscnt 0x0
	s_barrier_signal -1
	s_barrier_wait -1
	ds_load_b128 v[42:45], v29
	ds_load_b128 v[46:49], v29 offset:16
	ds_load_b128 v[50:53], v29 offset:32
	;; [unrolled: 1-line block ×3, first 2 shown]
	ds_load_2addr_b64 v[54:57], v5 offset1:16
	s_add_nc_u64 s[12:13], s[12:13], 8
	s_delay_alu instid0(SALU_CYCLE_1) | instskip(SKIP_3) | instid1(VALU_DEP_1)
	v_cmp_gt_i64_e64 s34, s[8:9], s[12:13]
	s_and_b32 vcc_lo, exec_lo, s34
	s_wait_dscnt 0x0
	v_dual_mul_f32 v20, v43, v55 :: v_dual_mul_f32 v31, v42, v55
	v_dual_mul_f32 v33, v42, v57 :: v_dual_fma_f32 v20, v42, v54, -v20
	s_delay_alu instid0(VALU_DEP_1) | instskip(NEXT) | instid1(VALU_DEP_1)
	v_dual_fmac_f32 v31, v43, v54 :: v_dual_fmac_f32 v33, v43, v56
	v_dual_add_f32 v20, v38, v20 :: v_dual_add_f32 v38, v40, v31
	v_mul_f32_e32 v31, v43, v57
	s_delay_alu instid0(VALU_DEP_1) | instskip(NEXT) | instid1(VALU_DEP_1)
	v_dual_add_f32 v40, v36, v33 :: v_dual_fma_f32 v31, v42, v56, -v31
	v_add_f32_e32 v39, v34, v31
	ds_load_b128 v[34:37], v29 offset:1024
	s_wait_dscnt 0x0
	v_dual_mul_f32 v31, v35, v55 :: v_dual_mul_f32 v33, v34, v55
	s_delay_alu instid0(VALU_DEP_1) | instskip(NEXT) | instid1(VALU_DEP_1)
	v_dual_fma_f32 v31, v34, v54, -v31 :: v_dual_fmac_f32 v33, v35, v54
	v_dual_add_f32 v41, v30, v31 :: v_dual_add_f32 v42, v32, v33
	v_dual_mul_f32 v30, v35, v57 :: v_dual_mul_f32 v31, v34, v57
	s_delay_alu instid0(VALU_DEP_1) | instskip(NEXT) | instid1(VALU_DEP_1)
	v_dual_fma_f32 v30, v34, v56, -v30 :: v_dual_fmac_f32 v31, v35, v56
	v_dual_add_f32 v26, v26, v30 :: v_dual_add_f32 v28, v28, v31
	ds_load_2addr_b64 v[30:33], v5 offset0:32 offset1:48
	s_wait_dscnt 0x0
	v_dual_mul_f32 v34, v45, v31 :: v_dual_mul_f32 v35, v44, v31
	s_delay_alu instid0(VALU_DEP_1) | instskip(NEXT) | instid1(VALU_DEP_1)
	v_dual_fma_f32 v34, v44, v30, -v34 :: v_dual_fmac_f32 v35, v45, v30
	v_dual_add_f32 v20, v20, v34 :: v_dual_add_f32 v34, v38, v35
	v_dual_mul_f32 v35, v45, v33 :: v_dual_mul_f32 v38, v44, v33
	s_delay_alu instid0(VALU_DEP_1) | instskip(NEXT) | instid1(VALU_DEP_1)
	v_dual_fma_f32 v35, v44, v32, -v35 :: v_dual_fmac_f32 v38, v45, v32
	v_dual_add_f32 v35, v39, v35 :: v_dual_add_f32 v38, v40, v38
	v_dual_mul_f32 v39, v37, v31 :: v_dual_mul_f32 v31, v36, v31
	s_delay_alu instid0(VALU_DEP_1) | instskip(NEXT) | instid1(VALU_DEP_2)
	v_fmac_f32_e32 v31, v37, v30
	v_dual_fma_f32 v39, v36, v30, -v39 :: v_dual_mul_f32 v30, v37, v33
	s_delay_alu instid0(VALU_DEP_2) | instskip(NEXT) | instid1(VALU_DEP_2)
	v_add_f32_e32 v40, v42, v31
	v_dual_add_f32 v39, v41, v39 :: v_dual_fma_f32 v30, v36, v32, -v30
	s_delay_alu instid0(VALU_DEP_1) | instskip(NEXT) | instid1(VALU_DEP_1)
	v_dual_mul_f32 v31, v36, v33 :: v_dual_add_f32 v26, v26, v30
	v_fmac_f32_e32 v31, v37, v32
	s_delay_alu instid0(VALU_DEP_1) | instskip(SKIP_3) | instid1(VALU_DEP_1)
	v_add_f32_e32 v28, v28, v31
	ds_load_2addr_b64 v[30:33], v5 offset0:64 offset1:80
	s_wait_dscnt 0x0
	v_mul_f32_e32 v36, v47, v31
	v_dual_fma_f32 v36, v46, v30, -v36 :: v_dual_mul_f32 v37, v46, v31
	s_delay_alu instid0(VALU_DEP_1) | instskip(SKIP_1) | instid1(VALU_DEP_2)
	v_dual_add_f32 v20, v20, v36 :: v_dual_fmac_f32 v37, v47, v30
	v_mul_f32_e32 v36, v46, v33
	v_add_f32_e32 v41, v34, v37
	v_mul_f32_e32 v34, v47, v33
	s_delay_alu instid0(VALU_DEP_1) | instskip(NEXT) | instid1(VALU_DEP_1)
	v_fma_f32 v34, v46, v32, -v34
	v_add_f32_e32 v42, v35, v34
	v_fmac_f32_e32 v36, v47, v32
	s_delay_alu instid0(VALU_DEP_1) | instskip(SKIP_3) | instid1(VALU_DEP_1)
	v_add_f32_e32 v38, v38, v36
	ds_load_b128 v[34:37], v29 offset:1040
	s_wait_dscnt 0x0
	v_dual_mul_f32 v43, v35, v31 :: v_dual_mul_f32 v31, v34, v31
	v_fma_f32 v43, v34, v30, -v43
	s_delay_alu instid0(VALU_DEP_2) | instskip(NEXT) | instid1(VALU_DEP_2)
	v_dual_fmac_f32 v31, v35, v30 :: v_dual_mul_f32 v30, v35, v33
	v_add_f32_e32 v39, v39, v43
	s_delay_alu instid0(VALU_DEP_2) | instskip(NEXT) | instid1(VALU_DEP_1)
	v_dual_add_f32 v40, v40, v31 :: v_dual_mul_f32 v31, v34, v33
	v_dual_fma_f32 v30, v34, v32, -v30 :: v_dual_fmac_f32 v31, v35, v32
	s_delay_alu instid0(VALU_DEP_1) | instskip(SKIP_3) | instid1(VALU_DEP_1)
	v_dual_add_f32 v26, v26, v30 :: v_dual_add_f32 v28, v28, v31
	ds_load_2addr_b64 v[30:33], v5 offset0:96 offset1:112
	s_wait_dscnt 0x0
	v_dual_mul_f32 v34, v49, v31 :: v_dual_mul_f32 v35, v48, v31
	v_dual_fma_f32 v34, v48, v30, -v34 :: v_dual_fmac_f32 v35, v49, v30
	s_delay_alu instid0(VALU_DEP_1) | instskip(SKIP_1) | instid1(VALU_DEP_1)
	v_dual_add_f32 v20, v20, v34 :: v_dual_add_f32 v34, v41, v35
	v_mul_f32_e32 v41, v48, v33
	v_fmac_f32_e32 v41, v49, v32
	s_delay_alu instid0(VALU_DEP_1) | instskip(SKIP_1) | instid1(VALU_DEP_2)
	v_dual_add_f32 v38, v38, v41 :: v_dual_mul_f32 v41, v37, v31
	v_dual_mul_f32 v35, v49, v33 :: v_dual_mul_f32 v31, v36, v31
	v_fma_f32 v41, v36, v30, -v41
	s_delay_alu instid0(VALU_DEP_2) | instskip(NEXT) | instid1(VALU_DEP_3)
	v_fma_f32 v35, v48, v32, -v35
	v_dual_fmac_f32 v31, v37, v30 :: v_dual_mul_f32 v30, v37, v33
	s_delay_alu instid0(VALU_DEP_2) | instskip(NEXT) | instid1(VALU_DEP_2)
	v_dual_add_f32 v39, v39, v41 :: v_dual_add_f32 v35, v42, v35
	v_add_f32_e32 v40, v40, v31
	s_delay_alu instid0(VALU_DEP_3) | instskip(NEXT) | instid1(VALU_DEP_1)
	v_dual_fma_f32 v30, v36, v32, -v30 :: v_dual_mul_f32 v31, v36, v33
	v_dual_fmac_f32 v31, v37, v32 :: v_dual_add_f32 v26, v26, v30
	s_delay_alu instid0(VALU_DEP_1) | instskip(SKIP_3) | instid1(VALU_DEP_1)
	v_add_f32_e32 v28, v28, v31
	ds_load_2addr_b64 v[30:33], v5 offset0:128 offset1:144
	s_wait_dscnt 0x0
	v_dual_mul_f32 v36, v51, v31 :: v_dual_mul_f32 v37, v50, v31
	v_dual_fma_f32 v36, v50, v30, -v36 :: v_dual_fmac_f32 v37, v51, v30
	s_delay_alu instid0(VALU_DEP_1) | instskip(SKIP_1) | instid1(VALU_DEP_1)
	v_dual_add_f32 v20, v20, v36 :: v_dual_add_f32 v41, v34, v37
	v_dual_mul_f32 v34, v51, v33 :: v_dual_mul_f32 v36, v50, v33
	v_dual_fma_f32 v34, v50, v32, -v34 :: v_dual_fmac_f32 v36, v51, v32
	s_delay_alu instid0(VALU_DEP_1) | instskip(SKIP_3) | instid1(VALU_DEP_1)
	v_dual_add_f32 v42, v35, v34 :: v_dual_add_f32 v38, v38, v36
	ds_load_b128 v[34:37], v29 offset:1056
	s_wait_dscnt 0x0
	v_dual_mul_f32 v43, v35, v31 :: v_dual_mul_f32 v31, v34, v31
	v_fmac_f32_e32 v31, v35, v30
	s_delay_alu instid0(VALU_DEP_2) | instskip(NEXT) | instid1(VALU_DEP_2)
	v_dual_fma_f32 v43, v34, v30, -v43 :: v_dual_mul_f32 v30, v35, v33
	v_dual_add_f32 v40, v40, v31 :: v_dual_mul_f32 v31, v34, v33
	s_delay_alu instid0(VALU_DEP_2) | instskip(NEXT) | instid1(VALU_DEP_1)
	v_dual_add_f32 v39, v39, v43 :: v_dual_fma_f32 v30, v34, v32, -v30
	v_dual_fmac_f32 v31, v35, v32 :: v_dual_add_f32 v26, v26, v30
	s_delay_alu instid0(VALU_DEP_1) | instskip(SKIP_3) | instid1(VALU_DEP_1)
	v_add_f32_e32 v28, v28, v31
	ds_load_2addr_b64 v[30:33], v5 offset0:160 offset1:176
	s_wait_dscnt 0x0
	v_dual_mul_f32 v34, v53, v31 :: v_dual_mul_f32 v35, v52, v31
	v_dual_fma_f32 v34, v52, v30, -v34 :: v_dual_fmac_f32 v35, v53, v30
	s_delay_alu instid0(VALU_DEP_1) | instskip(SKIP_1) | instid1(VALU_DEP_1)
	v_dual_add_f32 v20, v20, v34 :: v_dual_add_f32 v34, v41, v35
	v_mul_f32_e32 v41, v52, v33
	v_fmac_f32_e32 v41, v53, v32
	s_delay_alu instid0(VALU_DEP_1) | instskip(SKIP_1) | instid1(VALU_DEP_2)
	v_dual_add_f32 v38, v38, v41 :: v_dual_mul_f32 v41, v37, v31
	v_dual_mul_f32 v35, v53, v33 :: v_dual_mul_f32 v31, v36, v31
	v_fma_f32 v41, v36, v30, -v41
	s_delay_alu instid0(VALU_DEP_2) | instskip(NEXT) | instid1(VALU_DEP_3)
	v_fma_f32 v35, v52, v32, -v35
	v_dual_fmac_f32 v31, v37, v30 :: v_dual_mul_f32 v30, v37, v33
	s_delay_alu instid0(VALU_DEP_2) | instskip(NEXT) | instid1(VALU_DEP_2)
	v_dual_add_f32 v39, v39, v41 :: v_dual_add_f32 v35, v42, v35
	v_add_f32_e32 v44, v40, v31
	s_delay_alu instid0(VALU_DEP_3) | instskip(SKIP_2) | instid1(VALU_DEP_1)
	v_dual_fma_f32 v30, v36, v32, -v30 :: v_dual_mul_f32 v31, v36, v33
	ds_load_b128 v[40:43], v29 offset:1072
	v_dual_fmac_f32 v31, v37, v32 :: v_dual_add_f32 v26, v26, v30
	v_add_f32_e32 v28, v28, v31
	ds_load_2addr_b64 v[30:33], v5 offset0:192 offset1:208
	s_wait_dscnt 0x0
	v_dual_mul_f32 v36, v1, v31 :: v_dual_mul_f32 v37, v0, v31
	s_delay_alu instid0(VALU_DEP_1) | instskip(NEXT) | instid1(VALU_DEP_1)
	v_dual_fma_f32 v36, v0, v30, -v36 :: v_dual_fmac_f32 v37, v1, v30
	v_dual_add_f32 v20, v20, v36 :: v_dual_add_f32 v34, v34, v37
	v_mul_f32_e32 v36, v1, v33
	s_delay_alu instid0(VALU_DEP_1) | instskip(NEXT) | instid1(VALU_DEP_1)
	v_dual_fma_f32 v36, v0, v32, -v36 :: v_dual_mul_f32 v0, v0, v33
	v_fmac_f32_e32 v0, v1, v32
	s_delay_alu instid0(VALU_DEP_2) | instskip(NEXT) | instid1(VALU_DEP_1)
	v_dual_add_f32 v1, v35, v36 :: v_dual_mul_f32 v35, v41, v31
	v_dual_mul_f32 v31, v40, v31 :: v_dual_fma_f32 v35, v40, v30, -v35
	s_delay_alu instid0(VALU_DEP_1) | instskip(NEXT) | instid1(VALU_DEP_2)
	v_dual_add_f32 v0, v38, v0 :: v_dual_fmac_f32 v31, v41, v30
	v_dual_add_f32 v30, v39, v35 :: v_dual_mul_f32 v35, v41, v33
	v_mul_f32_e32 v33, v40, v33
	s_delay_alu instid0(VALU_DEP_3)
	v_add_f32_e32 v31, v44, v31
	ds_load_2addr_b64 v[44:47], v5 offset0:224 offset1:240
	s_wait_dscnt 0x0
	v_dual_fma_f32 v35, v40, v32, -v35 :: v_dual_fmac_f32 v33, v41, v32
	s_barrier_signal -1
	s_barrier_wait -1
	s_delay_alu instid0(VALU_DEP_1) | instskip(SKIP_1) | instid1(VALU_DEP_1)
	v_dual_add_f32 v26, v26, v35 :: v_dual_add_f32 v28, v28, v33
	v_dual_mul_f32 v32, v3, v45 :: v_dual_mul_f32 v33, v2, v45
	v_dual_fma_f32 v32, v2, v44, -v32 :: v_dual_fmac_f32 v33, v3, v44
	s_delay_alu instid0(VALU_DEP_1) | instskip(SKIP_1) | instid1(VALU_DEP_1)
	v_dual_add_f32 v38, v20, v32 :: v_dual_add_f32 v40, v34, v33
	v_mul_f32_e32 v20, v3, v47
	v_dual_fma_f32 v20, v2, v46, -v20 :: v_dual_mul_f32 v2, v2, v47
	s_delay_alu instid0(VALU_DEP_1) | instskip(NEXT) | instid1(VALU_DEP_1)
	v_dual_fmac_f32 v2, v3, v46 :: v_dual_add_f32 v34, v1, v20
	v_dual_mul_f32 v1, v42, v45 :: v_dual_add_f32 v36, v0, v2
	s_delay_alu instid0(VALU_DEP_1) | instskip(NEXT) | instid1(VALU_DEP_1)
	v_dual_mul_f32 v0, v43, v45 :: v_dual_fmac_f32 v1, v43, v44
	v_dual_fma_f32 v0, v42, v44, -v0 :: v_dual_add_f32 v32, v31, v1
	v_mul_f32_e32 v1, v42, v47
	s_delay_alu instid0(VALU_DEP_2) | instskip(NEXT) | instid1(VALU_DEP_1)
	v_dual_add_f32 v30, v30, v0 :: v_dual_mul_f32 v0, v43, v47
	v_dual_fmac_f32 v1, v43, v46 :: v_dual_fma_f32 v0, v42, v46, -v0
	s_delay_alu instid0(VALU_DEP_1)
	v_dual_add_f32 v28, v28, v1 :: v_dual_add_f32 v26, v26, v0
	s_cbranch_vccz .LBB230_17
.LBB230_9:                              ;   Parent Loop BB230_6 Depth=1
                                        ; =>  This Inner Loop Header: Depth=2
	v_dual_mov_b32 v0, 0 :: v_dual_mov_b32 v1, 0
	s_and_saveexec_b32 s34, s0
	s_cbranch_execz .LBB230_13
; %bb.10:                               ;   in Loop: Header=BB230_9 Depth=2
	v_dual_mov_b32 v1, 0 :: v_dual_add_nc_u32 v20, s12, v6
	v_mov_b32_e32 v0, 0
	s_mov_b32 s35, exec_lo
	s_delay_alu instid0(VALU_DEP_2)
	v_cmpx_gt_u64_e64 s[8:9], v[20:21]
	s_cbranch_execz .LBB230_12
; %bb.11:                               ;   in Loop: Header=BB230_9 Depth=2
	v_lshl_add_u64 v[0:1], v[20:21], 3, v[22:23]
	global_load_b64 v[0:1], v[0:1], off
.LBB230_12:                             ;   in Loop: Header=BB230_9 Depth=2
	s_wait_xcnt 0x0
	s_or_b32 exec_lo, exec_lo, s35
.LBB230_13:                             ;   in Loop: Header=BB230_9 Depth=2
	s_delay_alu instid0(SALU_CYCLE_1)
	s_or_b32 exec_lo, exec_lo, s34
	v_add_nc_u32_e32 v20, s12, v4
	s_wait_loadcnt 0x0
	ds_store_b64 v7, v[0:1]
	v_cmp_le_u64_e32 vcc_lo, s[8:9], v[20:21]
	s_or_b32 s34, vcc_lo, s1
	s_delay_alu instid0(SALU_CYCLE_1) | instskip(NEXT) | instid1(SALU_CYCLE_1)
	s_and_saveexec_b32 s35, s34
	s_xor_b32 s34, exec_lo, s35
; %bb.14:                               ;   in Loop: Header=BB230_9 Depth=2
	ds_store_b32 v27, v21
; %bb.15:                               ;   in Loop: Header=BB230_9 Depth=2
	s_or_saveexec_b32 s34, s34
	v_mov_b32_e32 v0, 0
	s_xor_b32 exec_lo, exec_lo, s34
	s_cbranch_execz .LBB230_8
; %bb.16:                               ;   in Loop: Header=BB230_9 Depth=2
	v_mul_u64_e32 v[0:1], s[20:21], v[20:21]
	s_delay_alu instid0(VALU_DEP_1)
	v_lshl_add_u64 v[0:1], v[0:1], 3, v[24:25]
	global_load_b64 v[2:3], v[0:1], off
	s_wait_loadcnt 0x0
	s_wait_xcnt 0x0
	v_xor_b32_e32 v0, 0x80000000, v3
	ds_store_b32 v27, v2
	s_branch .LBB230_8
.LBB230_17:                             ;   in Loop: Header=BB230_6 Depth=1
	s_mul_u64 s[12:13], s[30:31], s[10:11]
	s_delay_alu instid0(SALU_CYCLE_1) | instskip(NEXT) | instid1(SALU_CYCLE_1)
	s_lshl_b64 s[12:13], s[12:13], 3
	s_add_nc_u64 s[12:13], s[26:27], s[12:13]
	s_delay_alu instid0(SALU_CYCLE_1)
	v_lshl_add_u64 v[0:1], v[12:13], 3, s[12:13]
	s_and_saveexec_b32 s34, s15
	s_cbranch_execz .LBB230_22
; %bb.18:                               ;   in Loop: Header=BB230_6 Depth=1
	v_mov_b64_e32 v[2:3], s[4:5]
	v_mov_b64_e32 v[22:23], s[24:25]
	s_and_b32 vcc_lo, exec_lo, s14
	s_mov_b32 s35, -1
	s_delay_alu instid0(VALU_DEP_2) | instskip(NEXT) | instid1(VALU_DEP_1)
	v_pk_mul_f32 v[2:3], v[40:41], v[2:3] op_sel_hi:[0,1]
	v_pk_fma_f32 v[24:25], v[38:39], v[22:23], v[2:3] op_sel_hi:[0,1,1]
	v_pk_fma_f32 v[2:3], v[38:39], v[22:23], v[2:3] neg_lo:[0,0,1] neg_hi:[0,0,1]
	v_lshl_add_u64 v[22:23], v[8:9], 3, v[0:1]
	s_delay_alu instid0(VALU_DEP_3)
	v_mov_b32_e32 v3, v25
	s_cbranch_vccz .LBB230_20
; %bb.19:                               ;   in Loop: Header=BB230_6 Depth=1
	global_load_b64 v[24:25], v[22:23], off
	v_mov_b64_e32 v[38:39], s[6:7]
	v_mov_b64_e32 v[40:41], s[2:3]
	s_mov_b32 s35, 0
	s_wait_loadcnt 0x0
	s_delay_alu instid0(VALU_DEP_2) | instskip(NEXT) | instid1(VALU_DEP_1)
	v_pk_mul_f32 v[38:39], v[24:25], v[38:39]
	v_pk_fma_f32 v[42:43], v[24:25], v[40:41], v[38:39] op_sel:[0,0,1] op_sel_hi:[1,1,0]
	v_pk_fma_f32 v[24:25], v[24:25], v[40:41], v[38:39] op_sel:[0,0,1] op_sel_hi:[1,1,0] neg_lo:[0,0,1] neg_hi:[0,0,1]
	s_delay_alu instid0(VALU_DEP_2) | instskip(NEXT) | instid1(VALU_DEP_1)
	v_mov_b32_e32 v25, v43
	v_pk_add_f32 v[24:25], v[2:3], v[24:25]
	global_store_b64 v[22:23], v[24:25], off
.LBB230_20:                             ;   in Loop: Header=BB230_6 Depth=1
	s_and_not1_b32 vcc_lo, exec_lo, s35
	s_cbranch_vccnz .LBB230_22
; %bb.21:                               ;   in Loop: Header=BB230_6 Depth=1
	global_store_b64 v[22:23], v[2:3], off
.LBB230_22:                             ;   in Loop: Header=BB230_6 Depth=1
	s_wait_xcnt 0x0
	s_or_b32 exec_lo, exec_lo, s34
	s_and_saveexec_b32 s34, s18
	s_cbranch_execz .LBB230_27
; %bb.23:                               ;   in Loop: Header=BB230_6 Depth=1
	v_mov_b64_e32 v[2:3], s[4:5]
	v_mov_b64_e32 v[22:23], s[24:25]
	v_lshl_add_u64 v[0:1], v[10:11], 3, v[0:1]
	s_and_not1_b32 vcc_lo, exec_lo, s14
	s_mov_b32 s35, -1
	s_delay_alu instid0(VALU_DEP_3) | instskip(NEXT) | instid1(VALU_DEP_1)
	v_pk_mul_f32 v[2:3], v[36:37], v[2:3] op_sel_hi:[0,1]
	v_pk_fma_f32 v[24:25], v[34:35], v[22:23], v[2:3] op_sel_hi:[0,1,1]
	v_pk_fma_f32 v[2:3], v[34:35], v[22:23], v[2:3] neg_lo:[0,0,1] neg_hi:[0,0,1]
	s_delay_alu instid0(VALU_DEP_2)
	v_mov_b32_e32 v3, v25
	s_cbranch_vccnz .LBB230_25
; %bb.24:                               ;   in Loop: Header=BB230_6 Depth=1
	global_load_b64 v[22:23], v[0:1], off
	v_mov_b64_e32 v[24:25], s[6:7]
	v_mov_b64_e32 v[34:35], s[2:3]
	s_mov_b32 s35, 0
	s_wait_loadcnt 0x0
	s_delay_alu instid0(VALU_DEP_2) | instskip(NEXT) | instid1(VALU_DEP_1)
	v_pk_mul_f32 v[24:25], v[22:23], v[24:25]
	v_pk_fma_f32 v[36:37], v[22:23], v[34:35], v[24:25] op_sel:[0,0,1] op_sel_hi:[1,1,0]
	v_pk_fma_f32 v[22:23], v[22:23], v[34:35], v[24:25] op_sel:[0,0,1] op_sel_hi:[1,1,0] neg_lo:[0,0,1] neg_hi:[0,0,1]
	s_delay_alu instid0(VALU_DEP_2) | instskip(NEXT) | instid1(VALU_DEP_1)
	v_mov_b32_e32 v23, v37
	v_pk_add_f32 v[22:23], v[2:3], v[22:23]
	global_store_b64 v[0:1], v[22:23], off
.LBB230_25:                             ;   in Loop: Header=BB230_6 Depth=1
	s_and_not1_b32 vcc_lo, exec_lo, s35
	s_cbranch_vccnz .LBB230_27
; %bb.26:                               ;   in Loop: Header=BB230_6 Depth=1
	global_store_b64 v[0:1], v[2:3], off
.LBB230_27:                             ;   in Loop: Header=BB230_6 Depth=1
	s_wait_xcnt 0x0
	s_or_b32 exec_lo, exec_lo, s34
	v_lshl_add_u64 v[0:1], v[14:15], 3, s[12:13]
	s_and_saveexec_b32 s12, s19
	s_cbranch_execz .LBB230_32
; %bb.28:                               ;   in Loop: Header=BB230_6 Depth=1
	v_mov_b64_e32 v[2:3], s[4:5]
	v_mov_b64_e32 v[22:23], s[24:25]
	s_and_not1_b32 vcc_lo, exec_lo, s14
	s_mov_b32 s13, -1
	s_delay_alu instid0(VALU_DEP_2) | instskip(NEXT) | instid1(VALU_DEP_1)
	v_pk_mul_f32 v[2:3], v[32:33], v[2:3] op_sel_hi:[0,1]
	v_pk_fma_f32 v[24:25], v[30:31], v[22:23], v[2:3] op_sel_hi:[0,1,1]
	v_pk_fma_f32 v[2:3], v[30:31], v[22:23], v[2:3] neg_lo:[0,0,1] neg_hi:[0,0,1]
	v_lshl_add_u64 v[22:23], v[8:9], 3, v[0:1]
	s_delay_alu instid0(VALU_DEP_3)
	v_mov_b32_e32 v3, v25
	s_cbranch_vccnz .LBB230_30
; %bb.29:                               ;   in Loop: Header=BB230_6 Depth=1
	global_load_b64 v[24:25], v[22:23], off
	v_mov_b64_e32 v[30:31], s[6:7]
	v_mov_b64_e32 v[32:33], s[2:3]
	s_mov_b32 s13, 0
	s_wait_loadcnt 0x0
	s_delay_alu instid0(VALU_DEP_2) | instskip(NEXT) | instid1(VALU_DEP_1)
	v_pk_mul_f32 v[30:31], v[24:25], v[30:31]
	v_pk_fma_f32 v[34:35], v[24:25], v[32:33], v[30:31] op_sel:[0,0,1] op_sel_hi:[1,1,0]
	v_pk_fma_f32 v[24:25], v[24:25], v[32:33], v[30:31] op_sel:[0,0,1] op_sel_hi:[1,1,0] neg_lo:[0,0,1] neg_hi:[0,0,1]
	s_delay_alu instid0(VALU_DEP_2) | instskip(NEXT) | instid1(VALU_DEP_1)
	v_mov_b32_e32 v25, v35
	v_pk_add_f32 v[24:25], v[2:3], v[24:25]
	global_store_b64 v[22:23], v[24:25], off
.LBB230_30:                             ;   in Loop: Header=BB230_6 Depth=1
	s_and_not1_b32 vcc_lo, exec_lo, s13
	s_cbranch_vccnz .LBB230_32
; %bb.31:                               ;   in Loop: Header=BB230_6 Depth=1
	global_store_b64 v[22:23], v[2:3], off
.LBB230_32:                             ;   in Loop: Header=BB230_6 Depth=1
	s_wait_xcnt 0x0
	s_or_b32 exec_lo, exec_lo, s12
	s_and_saveexec_b32 s12, s28
	s_cbranch_execz .LBB230_5
; %bb.33:                               ;   in Loop: Header=BB230_6 Depth=1
	v_mov_b64_e32 v[2:3], s[4:5]
	v_mov_b64_e32 v[22:23], s[24:25]
	v_lshl_add_u64 v[0:1], v[10:11], 3, v[0:1]
	s_and_not1_b32 vcc_lo, exec_lo, s14
	s_mov_b32 s13, -1
	s_delay_alu instid0(VALU_DEP_3) | instskip(NEXT) | instid1(VALU_DEP_1)
	v_pk_mul_f32 v[2:3], v[28:29], v[2:3] op_sel_hi:[0,1]
	v_pk_fma_f32 v[24:25], v[26:27], v[22:23], v[2:3] op_sel_hi:[0,1,1]
	v_pk_fma_f32 v[2:3], v[26:27], v[22:23], v[2:3] neg_lo:[0,0,1] neg_hi:[0,0,1]
	s_delay_alu instid0(VALU_DEP_2)
	v_mov_b32_e32 v3, v25
	s_cbranch_vccnz .LBB230_35
; %bb.34:                               ;   in Loop: Header=BB230_6 Depth=1
	global_load_b64 v[22:23], v[0:1], off
	v_mov_b64_e32 v[24:25], s[6:7]
	v_mov_b64_e32 v[30:31], s[2:3]
	s_mov_b32 s13, 0
	s_wait_loadcnt 0x0
	s_delay_alu instid0(VALU_DEP_2) | instskip(NEXT) | instid1(VALU_DEP_1)
	v_pk_mul_f32 v[24:25], v[22:23], v[24:25]
	v_pk_fma_f32 v[32:33], v[22:23], v[30:31], v[24:25] op_sel:[0,0,1] op_sel_hi:[1,1,0]
	v_pk_fma_f32 v[22:23], v[22:23], v[30:31], v[24:25] op_sel:[0,0,1] op_sel_hi:[1,1,0] neg_lo:[0,0,1] neg_hi:[0,0,1]
	s_delay_alu instid0(VALU_DEP_2) | instskip(NEXT) | instid1(VALU_DEP_1)
	v_mov_b32_e32 v23, v33
	v_pk_add_f32 v[22:23], v[2:3], v[22:23]
	global_store_b64 v[0:1], v[22:23], off
.LBB230_35:                             ;   in Loop: Header=BB230_6 Depth=1
	s_and_not1_b32 vcc_lo, exec_lo, s13
	s_cbranch_vccnz .LBB230_5
; %bb.36:                               ;   in Loop: Header=BB230_6 Depth=1
	global_store_b64 v[0:1], v[2:3], off
	s_branch .LBB230_5
.LBB230_37:
	s_endpgm
	.section	.rodata,"a",@progbits
	.p2align	6, 0x0
	.amdhsa_kernel _ZL29rocblas_internal_gemmt_kernelIlLi16ELi32ELi8ELc84ELc67ELc76ELb0ELb1E19rocblas_complex_numIfEPKS1_S3_PS1_EviT_T9_T10_S5_lS7_S5_lS6_T11_S5_li
		.amdhsa_group_segment_fixed_size 4096
		.amdhsa_private_segment_fixed_size 0
		.amdhsa_kernarg_size 108
		.amdhsa_user_sgpr_count 2
		.amdhsa_user_sgpr_dispatch_ptr 0
		.amdhsa_user_sgpr_queue_ptr 0
		.amdhsa_user_sgpr_kernarg_segment_ptr 1
		.amdhsa_user_sgpr_dispatch_id 0
		.amdhsa_user_sgpr_kernarg_preload_length 0
		.amdhsa_user_sgpr_kernarg_preload_offset 0
		.amdhsa_user_sgpr_private_segment_size 0
		.amdhsa_wavefront_size32 1
		.amdhsa_uses_dynamic_stack 0
		.amdhsa_enable_private_segment 0
		.amdhsa_system_sgpr_workgroup_id_x 1
		.amdhsa_system_sgpr_workgroup_id_y 1
		.amdhsa_system_sgpr_workgroup_id_z 1
		.amdhsa_system_sgpr_workgroup_info 0
		.amdhsa_system_vgpr_workitem_id 1
		.amdhsa_next_free_vgpr 58
		.amdhsa_next_free_sgpr 37
		.amdhsa_named_barrier_count 0
		.amdhsa_reserve_vcc 1
		.amdhsa_float_round_mode_32 0
		.amdhsa_float_round_mode_16_64 0
		.amdhsa_float_denorm_mode_32 3
		.amdhsa_float_denorm_mode_16_64 3
		.amdhsa_fp16_overflow 0
		.amdhsa_memory_ordered 1
		.amdhsa_forward_progress 1
		.amdhsa_inst_pref_size 25
		.amdhsa_round_robin_scheduling 0
		.amdhsa_exception_fp_ieee_invalid_op 0
		.amdhsa_exception_fp_denorm_src 0
		.amdhsa_exception_fp_ieee_div_zero 0
		.amdhsa_exception_fp_ieee_overflow 0
		.amdhsa_exception_fp_ieee_underflow 0
		.amdhsa_exception_fp_ieee_inexact 0
		.amdhsa_exception_int_div_zero 0
	.end_amdhsa_kernel
	.section	.text._ZL29rocblas_internal_gemmt_kernelIlLi16ELi32ELi8ELc84ELc67ELc76ELb0ELb1E19rocblas_complex_numIfEPKS1_S3_PS1_EviT_T9_T10_S5_lS7_S5_lS6_T11_S5_li,"axG",@progbits,_ZL29rocblas_internal_gemmt_kernelIlLi16ELi32ELi8ELc84ELc67ELc76ELb0ELb1E19rocblas_complex_numIfEPKS1_S3_PS1_EviT_T9_T10_S5_lS7_S5_lS6_T11_S5_li,comdat
.Lfunc_end230:
	.size	_ZL29rocblas_internal_gemmt_kernelIlLi16ELi32ELi8ELc84ELc67ELc76ELb0ELb1E19rocblas_complex_numIfEPKS1_S3_PS1_EviT_T9_T10_S5_lS7_S5_lS6_T11_S5_li, .Lfunc_end230-_ZL29rocblas_internal_gemmt_kernelIlLi16ELi32ELi8ELc84ELc67ELc76ELb0ELb1E19rocblas_complex_numIfEPKS1_S3_PS1_EviT_T9_T10_S5_lS7_S5_lS6_T11_S5_li
                                        ; -- End function
	.set _ZL29rocblas_internal_gemmt_kernelIlLi16ELi32ELi8ELc84ELc67ELc76ELb0ELb1E19rocblas_complex_numIfEPKS1_S3_PS1_EviT_T9_T10_S5_lS7_S5_lS6_T11_S5_li.num_vgpr, 58
	.set _ZL29rocblas_internal_gemmt_kernelIlLi16ELi32ELi8ELc84ELc67ELc76ELb0ELb1E19rocblas_complex_numIfEPKS1_S3_PS1_EviT_T9_T10_S5_lS7_S5_lS6_T11_S5_li.num_agpr, 0
	.set _ZL29rocblas_internal_gemmt_kernelIlLi16ELi32ELi8ELc84ELc67ELc76ELb0ELb1E19rocblas_complex_numIfEPKS1_S3_PS1_EviT_T9_T10_S5_lS7_S5_lS6_T11_S5_li.numbered_sgpr, 37
	.set _ZL29rocblas_internal_gemmt_kernelIlLi16ELi32ELi8ELc84ELc67ELc76ELb0ELb1E19rocblas_complex_numIfEPKS1_S3_PS1_EviT_T9_T10_S5_lS7_S5_lS6_T11_S5_li.num_named_barrier, 0
	.set _ZL29rocblas_internal_gemmt_kernelIlLi16ELi32ELi8ELc84ELc67ELc76ELb0ELb1E19rocblas_complex_numIfEPKS1_S3_PS1_EviT_T9_T10_S5_lS7_S5_lS6_T11_S5_li.private_seg_size, 0
	.set _ZL29rocblas_internal_gemmt_kernelIlLi16ELi32ELi8ELc84ELc67ELc76ELb0ELb1E19rocblas_complex_numIfEPKS1_S3_PS1_EviT_T9_T10_S5_lS7_S5_lS6_T11_S5_li.uses_vcc, 1
	.set _ZL29rocblas_internal_gemmt_kernelIlLi16ELi32ELi8ELc84ELc67ELc76ELb0ELb1E19rocblas_complex_numIfEPKS1_S3_PS1_EviT_T9_T10_S5_lS7_S5_lS6_T11_S5_li.uses_flat_scratch, 0
	.set _ZL29rocblas_internal_gemmt_kernelIlLi16ELi32ELi8ELc84ELc67ELc76ELb0ELb1E19rocblas_complex_numIfEPKS1_S3_PS1_EviT_T9_T10_S5_lS7_S5_lS6_T11_S5_li.has_dyn_sized_stack, 0
	.set _ZL29rocblas_internal_gemmt_kernelIlLi16ELi32ELi8ELc84ELc67ELc76ELb0ELb1E19rocblas_complex_numIfEPKS1_S3_PS1_EviT_T9_T10_S5_lS7_S5_lS6_T11_S5_li.has_recursion, 0
	.set _ZL29rocblas_internal_gemmt_kernelIlLi16ELi32ELi8ELc84ELc67ELc76ELb0ELb1E19rocblas_complex_numIfEPKS1_S3_PS1_EviT_T9_T10_S5_lS7_S5_lS6_T11_S5_li.has_indirect_call, 0
	.section	.AMDGPU.csdata,"",@progbits
; Kernel info:
; codeLenInByte = 3196
; TotalNumSgprs: 39
; NumVgprs: 58
; ScratchSize: 0
; MemoryBound: 0
; FloatMode: 240
; IeeeMode: 1
; LDSByteSize: 4096 bytes/workgroup (compile time only)
; SGPRBlocks: 0
; VGPRBlocks: 3
; NumSGPRsForWavesPerEU: 39
; NumVGPRsForWavesPerEU: 58
; NamedBarCnt: 0
; Occupancy: 16
; WaveLimiterHint : 0
; COMPUTE_PGM_RSRC2:SCRATCH_EN: 0
; COMPUTE_PGM_RSRC2:USER_SGPR: 2
; COMPUTE_PGM_RSRC2:TRAP_HANDLER: 0
; COMPUTE_PGM_RSRC2:TGID_X_EN: 1
; COMPUTE_PGM_RSRC2:TGID_Y_EN: 1
; COMPUTE_PGM_RSRC2:TGID_Z_EN: 1
; COMPUTE_PGM_RSRC2:TIDIG_COMP_CNT: 1
	.section	.text._ZL29rocblas_internal_gemmt_kernelIlLi16ELi32ELi8ELc67ELc78ELc76ELb1ELb0E19rocblas_complex_numIfEPKS1_S3_PS1_EviT_T9_T10_S5_lS7_S5_lS6_T11_S5_li,"axG",@progbits,_ZL29rocblas_internal_gemmt_kernelIlLi16ELi32ELi8ELc67ELc78ELc76ELb1ELb0E19rocblas_complex_numIfEPKS1_S3_PS1_EviT_T9_T10_S5_lS7_S5_lS6_T11_S5_li,comdat
	.globl	_ZL29rocblas_internal_gemmt_kernelIlLi16ELi32ELi8ELc67ELc78ELc76ELb1ELb0E19rocblas_complex_numIfEPKS1_S3_PS1_EviT_T9_T10_S5_lS7_S5_lS6_T11_S5_li ; -- Begin function _ZL29rocblas_internal_gemmt_kernelIlLi16ELi32ELi8ELc67ELc78ELc76ELb1ELb0E19rocblas_complex_numIfEPKS1_S3_PS1_EviT_T9_T10_S5_lS7_S5_lS6_T11_S5_li
	.p2align	8
	.type	_ZL29rocblas_internal_gemmt_kernelIlLi16ELi32ELi8ELc67ELc78ELc76ELb1ELb0E19rocblas_complex_numIfEPKS1_S3_PS1_EviT_T9_T10_S5_lS7_S5_lS6_T11_S5_li,@function
_ZL29rocblas_internal_gemmt_kernelIlLi16ELi32ELi8ELc67ELc78ELc76ELb1ELb0E19rocblas_complex_numIfEPKS1_S3_PS1_EviT_T9_T10_S5_lS7_S5_lS6_T11_S5_li: ; @_ZL29rocblas_internal_gemmt_kernelIlLi16ELi32ELi8ELc67ELc78ELc76ELb1ELb0E19rocblas_complex_numIfEPKS1_S3_PS1_EviT_T9_T10_S5_lS7_S5_lS6_T11_S5_li
; %bb.0:
	s_load_b256 s[24:31], s[0:1], 0x48
	s_wait_kmcnt 0x0
	s_load_b64 s[6:7], s[24:25], 0x0
	s_load_b512 s[8:23], s[0:1], 0x8
	s_wait_kmcnt 0x0
	s_cmp_neq_f32 s6, 1.0
	s_load_b64 s[24:25], s[10:11], 0x0
	s_cselect_b32 s3, -1, 0
	s_and_b32 s4, s7, 0x7fffffff
	s_delay_alu instid0(SALU_CYCLE_1) | instskip(SKIP_3) | instid1(SALU_CYCLE_1)
	s_cmp_eq_u32 s4, 0
	s_cselect_b32 s2, -1, 0
	s_cmp_lg_u32 s4, 0
	s_cselect_b32 s4, -1, 0
	s_or_b32 s3, s3, s4
	s_delay_alu instid0(SALU_CYCLE_1)
	s_and_b32 vcc_lo, exec_lo, s3
	s_cbranch_vccnz .LBB231_2
; %bb.1:
	s_cmp_lg_u64 s[8:9], 0
	s_cselect_b32 s3, -1, 0
	s_wait_kmcnt 0x0
	s_cmp_neq_f32 s24, 0
	s_cselect_b32 s4, -1, 0
	s_cmp_neq_f32 s25, 0
	s_cselect_b32 s5, -1, 0
	s_delay_alu instid0(SALU_CYCLE_1) | instskip(NEXT) | instid1(SALU_CYCLE_1)
	s_or_b32 s4, s4, s5
	s_and_b32 s3, s3, s4
.LBB231_2:
	s_delay_alu instid0(SALU_CYCLE_1)
	s_and_not1_b32 vcc_lo, exec_lo, s3
	s_cbranch_vccnz .LBB231_38
; %bb.3:
	s_load_b32 s33, s[0:1], 0x68
	s_bfe_u32 s3, ttmp6, 0x40014
	s_lshr_b32 s4, ttmp7, 16
	s_add_co_i32 s3, s3, 1
	s_wait_xcnt 0x0
	s_bfe_u32 s10, ttmp6, 0x40008
	s_mul_i32 s5, s4, s3
	s_getreg_b32 s3, hwreg(HW_REG_IB_STS2, 6, 4)
	s_add_co_i32 s10, s10, s5
	s_cmp_eq_u32 s3, 0
	s_mov_b32 s11, 0
	s_cselect_b32 s10, s4, s10
	s_wait_kmcnt 0x0
	s_cmp_ge_u32 s10, s33
	s_cbranch_scc1 .LBB231_38
; %bb.4:
	v_and_b32_e32 v7, 0x3ff, v0
	v_bfe_u32 v9, v0, 10, 10
	s_bfe_u32 s5, ttmp6, 0x4000c
	s_bfe_u32 s35, ttmp6, 0x40010
	s_and_b32 s34, ttmp7, 0xffff
	s_add_co_i32 s5, s5, 1
	s_add_co_i32 s35, s35, 1
	v_lshl_add_u32 v6, v9, 4, v7
	s_and_b32 s4, ttmp6, 15
	s_mul_i32 s5, ttmp9, s5
	s_mul_i32 s35, s34, s35
	s_bfe_u32 s36, ttmp6, 0x40004
	s_add_co_i32 s4, s4, s5
	s_add_co_i32 s36, s36, s35
	s_cmp_eq_u32 s3, 0
	v_dual_lshrrev_b32 v10, 3, v6 :: v_dual_bitop2_b32 v11, 31, v6 bitop3:0x40
	s_cselect_b32 s3, ttmp9, s4
	s_cselect_b32 s4, s34, s36
	s_lshl_b32 s3, s3, 5
	s_lshl_b32 s4, s4, 5
	s_delay_alu instid0(SALU_CYCLE_1) | instskip(SKIP_2) | instid1(VALU_DEP_3)
	v_dual_add_nc_u32 v16, s4, v10 :: v_dual_bitop2_b32 v2, s3, v11 bitop3:0x54
	v_dual_add_nc_u32 v20, s4, v9 :: v_dual_add_nc_u32 v8, s3, v7
	v_dual_lshlrev_b32 v5, 3, v7 :: v_dual_bitop2_b32 v4, 7, v0 bitop3:0x40
	v_dual_ashrrev_i32 v3, 31, v2 :: v_dual_ashrrev_i32 v17, 31, v16
	s_delay_alu instid0(VALU_DEP_3) | instskip(SKIP_1) | instid1(VALU_DEP_3)
	v_dual_lshlrev_b32 v7, 3, v11 :: v_dual_add_nc_u32 v22, 16, v20
	v_ashrrev_i32_e32 v21, 31, v20
	v_mul_u64_e32 v[0:1], s[14:15], v[2:3]
	s_delay_alu instid0(VALU_DEP_4)
	v_mul_u64_e32 v[18:19], s[20:21], v[16:17]
	s_load_b32 s5, s[0:1], 0x0
	v_ashrrev_i32_e32 v23, 31, v22
	v_mul_u64_e32 v[12:13], s[28:29], v[20:21]
	s_cmp_neq_f32 s24, 0
	v_dual_lshlrev_b32 v3, 3, v4 :: v_dual_lshrrev_b32 v6, 5, v6
	s_delay_alu instid0(VALU_DEP_3)
	v_mul_u64_e32 v[14:15], s[28:29], v[22:23]
	s_wait_xcnt 0x0
	s_cselect_b32 s1, -1, 0
	s_cmp_neq_f32 s25, 0
	v_lshl_or_b32 v3, v10, 6, v3
	v_add_nc_u32_e32 v10, 16, v8
	v_cmp_le_i32_e32 vcc_lo, v20, v8
	s_cselect_b32 s3, -1, 0
	v_cmp_gt_i64_e64 s34, s[8:9], 0
	s_or_b32 s35, s1, s3
	s_cmp_neq_f32 s6, 0
	v_lshl_add_u32 v31, v9, 6, 0x800
	v_ashrrev_i32_e32 v9, 31, v8
	v_lshl_or_b32 v7, v6, 8, v7
	s_cselect_b32 s3, -1, 0
	s_xor_b32 s4, s2, -1
	s_wait_kmcnt 0x0
	v_cmp_gt_i32_e64 s2, s5, v8
	v_cmp_gt_i32_e64 s0, s5, v2
	v_cmp_le_i32_e64 s14, s5, v2
	v_cmp_gt_i32_e64 s1, s5, v16
	s_or_b32 s15, s3, s4
	v_cmp_le_i32_e64 s3, v20, v10
	v_cmp_gt_i32_e64 s4, s5, v10
	v_cmp_le_i32_e64 s5, v22, v10
	v_add_nc_u32_e32 v29, 0x800, v3
	v_lshl_add_u64 v[16:17], v[0:1], 3, s[12:13]
	v_lshl_add_u64 v[18:19], v[18:19], 3, s[18:19]
	s_and_b32 s18, vcc_lo, s2
	v_cmp_le_i32_e32 vcc_lo, v22, v8
	v_dual_ashrrev_i32 v11, 31, v10 :: v_dual_mov_b32 v21, 0
	s_and_b32 s19, s3, s4
	s_and_b32 s21, s5, s4
	s_and_b32 s20, vcc_lo, s2
	s_mov_b32 s2, s6
	s_mov_b32 s3, s6
	s_and_b32 s28, s35, s34
	s_mov_b32 s6, s7
	s_mov_b32 s4, s25
	s_mov_b32 s5, s24
                                        ; implicit-def: $vgpr22_vgpr23
	s_branch .LBB231_6
.LBB231_5:                              ;   in Loop: Header=BB231_6 Depth=1
	s_wait_xcnt 0x0
	s_or_b32 exec_lo, exec_lo, s12
	s_add_co_i32 s10, s10, 0x10000
	s_delay_alu instid0(SALU_CYCLE_1)
	s_cmp_lt_u32 s10, s33
	s_cbranch_scc0 .LBB231_38
.LBB231_6:                              ; =>This Loop Header: Depth=1
                                        ;     Child Loop BB231_9 Depth 2
	s_and_not1_b32 vcc_lo, exec_lo, s28
	s_cbranch_vccnz .LBB231_17
; %bb.7:                                ;   in Loop: Header=BB231_6 Depth=1
	s_mul_u64 s[12:13], s[16:17], s[10:11]
	s_mul_u64 s[34:35], s[22:23], s[10:11]
	v_lshl_add_u64 v[24:25], s[12:13], 3, v[16:17]
	v_lshl_add_u64 v[26:27], s[34:35], 3, v[18:19]
	v_dual_mov_b32 v30, 0 :: v_dual_mov_b32 v28, 0
	v_dual_mov_b32 v34, 0 :: v_dual_mov_b32 v32, 0
	;; [unrolled: 1-line block ×4, first 2 shown]
	s_mov_b64 s[12:13], 0
	s_branch .LBB231_9
.LBB231_8:                              ;   in Loop: Header=BB231_9 Depth=2
	s_wait_xcnt 0x0
	s_or_b32 exec_lo, exec_lo, s29
	s_wait_loadcnt 0x0
	ds_store_b64 v29, v[0:1]
	s_wait_dscnt 0x0
	s_barrier_signal -1
	s_barrier_wait -1
	ds_load_b128 v[44:47], v31
	ds_load_b128 v[48:51], v31 offset:16
	ds_load_b128 v[52:55], v31 offset:32
	;; [unrolled: 1-line block ×3, first 2 shown]
	ds_load_2addr_b64 v[56:59], v5 offset1:16
	s_add_nc_u64 s[12:13], s[12:13], 8
	s_delay_alu instid0(SALU_CYCLE_1) | instskip(SKIP_3) | instid1(VALU_DEP_1)
	v_cmp_gt_i64_e64 s29, s[8:9], s[12:13]
	s_and_b32 vcc_lo, exec_lo, s29
	s_wait_dscnt 0x0
	v_dual_mul_f32 v20, v45, v57 :: v_dual_mul_f32 v33, v44, v57
	v_dual_mul_f32 v35, v44, v59 :: v_dual_fma_f32 v20, v44, v56, -v20
	s_delay_alu instid0(VALU_DEP_1) | instskip(NEXT) | instid1(VALU_DEP_1)
	v_dual_fmac_f32 v33, v45, v56 :: v_dual_fmac_f32 v35, v45, v58
	v_dual_add_f32 v20, v40, v20 :: v_dual_add_f32 v40, v42, v33
	v_mul_f32_e32 v33, v45, v59
	s_delay_alu instid0(VALU_DEP_1) | instskip(NEXT) | instid1(VALU_DEP_1)
	v_dual_add_f32 v42, v38, v35 :: v_dual_fma_f32 v33, v44, v58, -v33
	v_add_f32_e32 v41, v36, v33
	ds_load_b128 v[36:39], v31 offset:1024
	s_wait_dscnt 0x0
	v_dual_mul_f32 v33, v37, v57 :: v_dual_mul_f32 v35, v36, v57
	s_delay_alu instid0(VALU_DEP_1) | instskip(NEXT) | instid1(VALU_DEP_1)
	v_dual_fma_f32 v33, v36, v56, -v33 :: v_dual_fmac_f32 v35, v37, v56
	v_dual_add_f32 v43, v32, v33 :: v_dual_add_f32 v44, v34, v35
	v_dual_mul_f32 v32, v37, v59 :: v_dual_mul_f32 v33, v36, v59
	s_delay_alu instid0(VALU_DEP_1) | instskip(NEXT) | instid1(VALU_DEP_1)
	v_dual_fma_f32 v32, v36, v58, -v32 :: v_dual_fmac_f32 v33, v37, v58
	v_dual_add_f32 v28, v28, v32 :: v_dual_add_f32 v30, v30, v33
	ds_load_2addr_b64 v[32:35], v5 offset0:32 offset1:48
	s_wait_dscnt 0x0
	v_dual_mul_f32 v36, v47, v33 :: v_dual_mul_f32 v37, v46, v33
	s_delay_alu instid0(VALU_DEP_1) | instskip(NEXT) | instid1(VALU_DEP_1)
	v_dual_fma_f32 v36, v46, v32, -v36 :: v_dual_fmac_f32 v37, v47, v32
	v_add_f32_e32 v20, v20, v36
	s_delay_alu instid0(VALU_DEP_2) | instskip(NEXT) | instid1(VALU_DEP_1)
	v_dual_add_f32 v36, v40, v37 :: v_dual_mul_f32 v37, v47, v35
	v_dual_fma_f32 v37, v46, v34, -v37 :: v_dual_mul_f32 v40, v46, v35
	s_delay_alu instid0(VALU_DEP_1) | instskip(SKIP_1) | instid1(VALU_DEP_1)
	v_add_f32_e32 v37, v41, v37
	v_dual_mul_f32 v41, v39, v33 :: v_dual_mul_f32 v33, v38, v33
	v_dual_fmac_f32 v40, v47, v34 :: v_dual_fma_f32 v41, v38, v32, -v41
	s_delay_alu instid0(VALU_DEP_2) | instskip(NEXT) | instid1(VALU_DEP_2)
	v_dual_fmac_f32 v33, v39, v32 :: v_dual_mul_f32 v32, v39, v35
	v_dual_add_f32 v40, v42, v40 :: v_dual_add_f32 v41, v43, v41
	s_delay_alu instid0(VALU_DEP_2) | instskip(NEXT) | instid1(VALU_DEP_1)
	v_dual_add_f32 v42, v44, v33 :: v_dual_fma_f32 v32, v38, v34, -v32
	v_dual_mul_f32 v33, v38, v35 :: v_dual_add_f32 v28, v28, v32
	s_delay_alu instid0(VALU_DEP_1) | instskip(NEXT) | instid1(VALU_DEP_1)
	v_fmac_f32_e32 v33, v39, v34
	v_add_f32_e32 v30, v30, v33
	ds_load_2addr_b64 v[32:35], v5 offset0:64 offset1:80
	s_wait_dscnt 0x0
	v_dual_mul_f32 v38, v49, v33 :: v_dual_mul_f32 v39, v48, v33
	s_delay_alu instid0(VALU_DEP_1) | instskip(NEXT) | instid1(VALU_DEP_1)
	v_dual_fma_f32 v38, v48, v32, -v38 :: v_dual_fmac_f32 v39, v49, v32
	v_add_f32_e32 v20, v20, v38
	v_mul_f32_e32 v38, v48, v35
	s_delay_alu instid0(VALU_DEP_3) | instskip(SKIP_1) | instid1(VALU_DEP_1)
	v_add_f32_e32 v43, v36, v39
	v_mul_f32_e32 v36, v49, v35
	v_fma_f32 v36, v48, v34, -v36
	s_delay_alu instid0(VALU_DEP_1) | instskip(SKIP_1) | instid1(VALU_DEP_1)
	v_add_f32_e32 v44, v37, v36
	v_fmac_f32_e32 v38, v49, v34
	v_add_f32_e32 v40, v40, v38
	ds_load_b128 v[36:39], v31 offset:1040
	s_wait_dscnt 0x0
	v_dual_mul_f32 v45, v37, v33 :: v_dual_mul_f32 v33, v36, v33
	s_delay_alu instid0(VALU_DEP_1) | instskip(NEXT) | instid1(VALU_DEP_2)
	v_fma_f32 v45, v36, v32, -v45
	v_dual_fmac_f32 v33, v37, v32 :: v_dual_mul_f32 v32, v37, v35
	s_delay_alu instid0(VALU_DEP_2) | instskip(NEXT) | instid1(VALU_DEP_2)
	v_add_f32_e32 v41, v41, v45
	v_dual_add_f32 v42, v42, v33 :: v_dual_mul_f32 v33, v36, v35
	s_delay_alu instid0(VALU_DEP_1) | instskip(NEXT) | instid1(VALU_DEP_1)
	v_dual_fma_f32 v32, v36, v34, -v32 :: v_dual_fmac_f32 v33, v37, v34
	v_dual_add_f32 v28, v28, v32 :: v_dual_add_f32 v30, v30, v33
	ds_load_2addr_b64 v[32:35], v5 offset0:96 offset1:112
	s_wait_dscnt 0x0
	v_mul_f32_e32 v36, v51, v33
	s_delay_alu instid0(VALU_DEP_1) | instskip(NEXT) | instid1(VALU_DEP_1)
	v_dual_fma_f32 v36, v50, v32, -v36 :: v_dual_mul_f32 v37, v50, v33
	v_add_f32_e32 v20, v20, v36
	s_delay_alu instid0(VALU_DEP_2) | instskip(NEXT) | instid1(VALU_DEP_1)
	v_fmac_f32_e32 v37, v51, v32
	v_dual_add_f32 v36, v43, v37 :: v_dual_mul_f32 v43, v50, v35
	s_delay_alu instid0(VALU_DEP_1) | instskip(NEXT) | instid1(VALU_DEP_1)
	v_dual_mul_f32 v37, v51, v35 :: v_dual_fmac_f32 v43, v51, v34
	v_dual_fma_f32 v37, v50, v34, -v37 :: v_dual_add_f32 v40, v40, v43
	v_mul_f32_e32 v43, v39, v33
	s_delay_alu instid0(VALU_DEP_1) | instskip(NEXT) | instid1(VALU_DEP_1)
	v_dual_add_f32 v37, v44, v37 :: v_dual_fma_f32 v43, v38, v32, -v43
	v_dual_mul_f32 v33, v38, v33 :: v_dual_add_f32 v41, v41, v43
	s_delay_alu instid0(VALU_DEP_1) | instskip(NEXT) | instid1(VALU_DEP_1)
	v_dual_fmac_f32 v33, v39, v32 :: v_dual_mul_f32 v32, v39, v35
	v_add_f32_e32 v42, v42, v33
	s_delay_alu instid0(VALU_DEP_2) | instskip(NEXT) | instid1(VALU_DEP_1)
	v_dual_fma_f32 v32, v38, v34, -v32 :: v_dual_mul_f32 v33, v38, v35
	v_dual_fmac_f32 v33, v39, v34 :: v_dual_add_f32 v28, v28, v32
	s_delay_alu instid0(VALU_DEP_1) | instskip(SKIP_3) | instid1(VALU_DEP_1)
	v_add_f32_e32 v30, v30, v33
	ds_load_2addr_b64 v[32:35], v5 offset0:128 offset1:144
	s_wait_dscnt 0x0
	v_dual_mul_f32 v38, v53, v33 :: v_dual_mul_f32 v39, v52, v33
	v_dual_fma_f32 v38, v52, v32, -v38 :: v_dual_fmac_f32 v39, v53, v32
	s_delay_alu instid0(VALU_DEP_1) | instskip(SKIP_1) | instid1(VALU_DEP_3)
	v_add_f32_e32 v20, v20, v38
	v_mul_f32_e32 v38, v52, v35
	v_add_f32_e32 v43, v36, v39
	v_mul_f32_e32 v36, v53, v35
	s_delay_alu instid0(VALU_DEP_1) | instskip(NEXT) | instid1(VALU_DEP_1)
	v_fma_f32 v36, v52, v34, -v36
	v_add_f32_e32 v44, v37, v36
	v_fmac_f32_e32 v38, v53, v34
	s_delay_alu instid0(VALU_DEP_1) | instskip(SKIP_3) | instid1(VALU_DEP_1)
	v_add_f32_e32 v40, v40, v38
	ds_load_b128 v[36:39], v31 offset:1056
	s_wait_dscnt 0x0
	v_dual_mul_f32 v45, v37, v33 :: v_dual_mul_f32 v33, v36, v33
	v_fma_f32 v45, v36, v32, -v45
	s_delay_alu instid0(VALU_DEP_2) | instskip(NEXT) | instid1(VALU_DEP_2)
	v_dual_fmac_f32 v33, v37, v32 :: v_dual_mul_f32 v32, v37, v35
	v_add_f32_e32 v41, v41, v45
	s_delay_alu instid0(VALU_DEP_2) | instskip(NEXT) | instid1(VALU_DEP_1)
	v_dual_add_f32 v42, v42, v33 :: v_dual_mul_f32 v33, v36, v35
	v_dual_fma_f32 v32, v36, v34, -v32 :: v_dual_fmac_f32 v33, v37, v34
	s_delay_alu instid0(VALU_DEP_1) | instskip(SKIP_3) | instid1(VALU_DEP_1)
	v_dual_add_f32 v28, v28, v32 :: v_dual_add_f32 v30, v30, v33
	ds_load_2addr_b64 v[32:35], v5 offset0:160 offset1:176
	s_wait_dscnt 0x0
	v_mul_f32_e32 v36, v55, v33
	v_dual_fma_f32 v36, v54, v32, -v36 :: v_dual_mul_f32 v37, v54, v33
	s_delay_alu instid0(VALU_DEP_1) | instskip(NEXT) | instid1(VALU_DEP_2)
	v_add_f32_e32 v20, v20, v36
	v_fmac_f32_e32 v37, v55, v32
	s_delay_alu instid0(VALU_DEP_1) | instskip(NEXT) | instid1(VALU_DEP_1)
	v_dual_add_f32 v36, v43, v37 :: v_dual_mul_f32 v43, v54, v35
	v_dual_mul_f32 v37, v55, v35 :: v_dual_fmac_f32 v43, v55, v34
	s_delay_alu instid0(VALU_DEP_1) | instskip(SKIP_1) | instid1(VALU_DEP_1)
	v_dual_fma_f32 v37, v54, v34, -v37 :: v_dual_add_f32 v40, v40, v43
	v_mul_f32_e32 v43, v39, v33
	v_dual_add_f32 v37, v44, v37 :: v_dual_fma_f32 v43, v38, v32, -v43
	s_delay_alu instid0(VALU_DEP_1) | instskip(NEXT) | instid1(VALU_DEP_1)
	v_dual_mul_f32 v33, v38, v33 :: v_dual_add_f32 v41, v41, v43
	v_dual_fmac_f32 v33, v39, v32 :: v_dual_mul_f32 v32, v39, v35
	s_delay_alu instid0(VALU_DEP_1) | instskip(NEXT) | instid1(VALU_DEP_2)
	v_add_f32_e32 v46, v42, v33
	v_dual_fma_f32 v32, v38, v34, -v32 :: v_dual_mul_f32 v33, v38, v35
	ds_load_b128 v[42:45], v31 offset:1072
	v_dual_fmac_f32 v33, v39, v34 :: v_dual_add_f32 v28, v28, v32
	s_delay_alu instid0(VALU_DEP_1) | instskip(SKIP_3) | instid1(VALU_DEP_1)
	v_add_f32_e32 v30, v30, v33
	ds_load_2addr_b64 v[32:35], v5 offset0:192 offset1:208
	s_wait_dscnt 0x0
	v_dual_mul_f32 v38, v1, v33 :: v_dual_mul_f32 v39, v0, v33
	v_dual_fma_f32 v38, v0, v32, -v38 :: v_dual_fmac_f32 v39, v1, v32
	s_delay_alu instid0(VALU_DEP_1) | instskip(NEXT) | instid1(VALU_DEP_1)
	v_dual_add_f32 v20, v20, v38 :: v_dual_mul_f32 v38, v1, v35
	v_dual_fma_f32 v38, v0, v34, -v38 :: v_dual_mul_f32 v0, v0, v35
	s_delay_alu instid0(VALU_DEP_1) | instskip(NEXT) | instid1(VALU_DEP_2)
	v_dual_add_f32 v36, v36, v39 :: v_dual_fmac_f32 v0, v1, v34
	v_dual_add_f32 v1, v37, v38 :: v_dual_mul_f32 v37, v43, v33
	s_delay_alu instid0(VALU_DEP_2) | instskip(NEXT) | instid1(VALU_DEP_2)
	v_dual_mul_f32 v33, v42, v33 :: v_dual_add_f32 v0, v40, v0
	v_fma_f32 v37, v42, v32, -v37
	s_delay_alu instid0(VALU_DEP_1) | instskip(NEXT) | instid1(VALU_DEP_1)
	v_dual_fmac_f32 v33, v43, v32 :: v_dual_add_f32 v32, v41, v37
	v_dual_add_f32 v33, v46, v33 :: v_dual_mul_f32 v37, v43, v35
	ds_load_2addr_b64 v[46:49], v5 offset0:224 offset1:240
	v_mul_f32_e32 v35, v42, v35
	s_wait_dscnt 0x0
	s_barrier_signal -1
	v_fma_f32 v37, v42, v34, -v37
	s_barrier_wait -1
	v_fmac_f32_e32 v35, v43, v34
	s_delay_alu instid0(VALU_DEP_1) | instskip(SKIP_1) | instid1(VALU_DEP_1)
	v_dual_add_f32 v28, v28, v37 :: v_dual_add_f32 v30, v30, v35
	v_dual_mul_f32 v34, v3, v47 :: v_dual_mul_f32 v35, v2, v47
	v_dual_fma_f32 v34, v2, v46, -v34 :: v_dual_fmac_f32 v35, v3, v46
	s_delay_alu instid0(VALU_DEP_1) | instskip(NEXT) | instid1(VALU_DEP_1)
	v_dual_add_f32 v40, v20, v34 :: v_dual_mul_f32 v20, v3, v49
	v_dual_add_f32 v42, v36, v35 :: v_dual_fma_f32 v20, v2, v48, -v20
	s_delay_alu instid0(VALU_DEP_1) | instskip(NEXT) | instid1(VALU_DEP_1)
	v_dual_mul_f32 v2, v2, v49 :: v_dual_add_f32 v36, v1, v20
	v_dual_fmac_f32 v2, v3, v48 :: v_dual_mul_f32 v1, v44, v47
	s_delay_alu instid0(VALU_DEP_1) | instskip(NEXT) | instid1(VALU_DEP_2)
	v_fmac_f32_e32 v1, v45, v46
	v_dual_add_f32 v38, v0, v2 :: v_dual_mul_f32 v0, v45, v47
	s_delay_alu instid0(VALU_DEP_2) | instskip(NEXT) | instid1(VALU_DEP_2)
	v_add_f32_e32 v34, v33, v1
	v_dual_mul_f32 v1, v44, v49 :: v_dual_fma_f32 v0, v44, v46, -v0
	s_delay_alu instid0(VALU_DEP_1) | instskip(NEXT) | instid1(VALU_DEP_2)
	v_fmac_f32_e32 v1, v45, v48
	v_dual_add_f32 v32, v32, v0 :: v_dual_mul_f32 v0, v45, v49
	s_delay_alu instid0(VALU_DEP_1) | instskip(NEXT) | instid1(VALU_DEP_1)
	v_dual_add_f32 v30, v30, v1 :: v_dual_fma_f32 v0, v44, v48, -v0
	v_add_f32_e32 v28, v28, v0
	s_cbranch_vccz .LBB231_18
.LBB231_9:                              ;   Parent Loop BB231_6 Depth=1
                                        ; =>  This Inner Loop Header: Depth=2
	s_mov_b32 s29, 0
	s_mov_b32 s35, s14
	s_and_saveexec_b32 s34, s0
; %bb.10:                               ;   in Loop: Header=BB231_9 Depth=2
	v_add_nc_u32_e32 v20, s12, v6
	s_and_not1_b32 s35, s14, exec_lo
	s_mov_b32 s29, exec_lo
	s_delay_alu instid0(VALU_DEP_1) | instskip(SKIP_2) | instid1(SALU_CYCLE_1)
	v_cmp_le_u64_e32 vcc_lo, s[8:9], v[20:21]
	v_mov_b64_e32 v[22:23], v[20:21]
	s_and_b32 s36, vcc_lo, exec_lo
	s_or_b32 s35, s35, s36
; %bb.11:                               ;   in Loop: Header=BB231_9 Depth=2
	s_or_b32 exec_lo, exec_lo, s34
	s_and_saveexec_b32 s34, s35
	s_delay_alu instid0(SALU_CYCLE_1)
	s_xor_b32 s34, exec_lo, s34
; %bb.12:                               ;   in Loop: Header=BB231_9 Depth=2
	s_and_not1_b32 s29, s29, exec_lo
	ds_store_b32 v7, v21
; %bb.13:                               ;   in Loop: Header=BB231_9 Depth=2
	s_or_b32 exec_lo, exec_lo, s34
	v_dual_mov_b32 v0, 0 :: v_dual_mov_b32 v2, 0
	s_and_saveexec_b32 s34, s29
	s_cbranch_execz .LBB231_15
; %bb.14:                               ;   in Loop: Header=BB231_9 Depth=2
	v_lshl_add_u64 v[2:3], v[22:23], 3, v[24:25]
	global_load_b64 v[44:45], v[2:3], off
	s_wait_loadcnt 0x0
	s_wait_xcnt 0x0
	v_xor_b32_e32 v2, 0x80000000, v45
	ds_store_b32 v7, v44
.LBB231_15:                             ;   in Loop: Header=BB231_9 Depth=2
	s_or_b32 exec_lo, exec_lo, s34
	v_dual_mov_b32 v1, 0 :: v_dual_add_nc_u32 v20, s12, v4
	ds_store_b32 v7, v2 offset:4
	v_cmp_gt_u64_e32 vcc_lo, s[8:9], v[20:21]
	s_and_b32 s34, vcc_lo, s1
	s_delay_alu instid0(SALU_CYCLE_1)
	s_and_saveexec_b32 s29, s34
	s_cbranch_execz .LBB231_8
; %bb.16:                               ;   in Loop: Header=BB231_9 Depth=2
	v_lshl_add_u64 v[0:1], v[20:21], 3, v[26:27]
	global_load_b64 v[0:1], v[0:1], off
	s_branch .LBB231_8
.LBB231_17:                             ;   in Loop: Header=BB231_6 Depth=1
	v_dual_mov_b32 v40, v21 :: v_dual_mov_b32 v42, v21
	v_dual_mov_b32 v36, v21 :: v_dual_mov_b32 v38, v21
	;; [unrolled: 1-line block ×4, first 2 shown]
.LBB231_18:                             ;   in Loop: Header=BB231_6 Depth=1
	s_mul_u64 s[12:13], s[30:31], s[10:11]
	s_delay_alu instid0(SALU_CYCLE_1) | instskip(NEXT) | instid1(SALU_CYCLE_1)
	s_lshl_b64 s[12:13], s[12:13], 3
	s_add_nc_u64 s[12:13], s[26:27], s[12:13]
	s_delay_alu instid0(SALU_CYCLE_1)
	v_lshl_add_u64 v[0:1], v[12:13], 3, s[12:13]
	s_and_saveexec_b32 s29, s18
	s_cbranch_execz .LBB231_23
; %bb.19:                               ;   in Loop: Header=BB231_6 Depth=1
	v_mov_b64_e32 v[2:3], s[4:5]
	v_mov_b64_e32 v[24:25], s[24:25]
	s_and_b32 vcc_lo, exec_lo, s15
	s_mov_b32 s34, -1
	s_delay_alu instid0(VALU_DEP_2) | instskip(NEXT) | instid1(VALU_DEP_1)
	v_pk_mul_f32 v[2:3], v[42:43], v[2:3] op_sel_hi:[0,1]
	v_pk_fma_f32 v[26:27], v[40:41], v[24:25], v[2:3] op_sel_hi:[0,1,1]
	v_pk_fma_f32 v[2:3], v[40:41], v[24:25], v[2:3] neg_lo:[0,0,1] neg_hi:[0,0,1]
	v_lshl_add_u64 v[24:25], v[8:9], 3, v[0:1]
	s_delay_alu instid0(VALU_DEP_3)
	v_mov_b32_e32 v3, v27
	s_cbranch_vccz .LBB231_21
; %bb.20:                               ;   in Loop: Header=BB231_6 Depth=1
	global_load_b64 v[26:27], v[24:25], off
	v_mov_b64_e32 v[40:41], s[6:7]
	v_mov_b64_e32 v[42:43], s[2:3]
	s_mov_b32 s34, 0
	s_wait_loadcnt 0x0
	s_delay_alu instid0(VALU_DEP_2) | instskip(NEXT) | instid1(VALU_DEP_1)
	v_pk_mul_f32 v[40:41], v[26:27], v[40:41]
	v_pk_fma_f32 v[44:45], v[26:27], v[42:43], v[40:41] op_sel:[0,0,1] op_sel_hi:[1,1,0]
	v_pk_fma_f32 v[26:27], v[26:27], v[42:43], v[40:41] op_sel:[0,0,1] op_sel_hi:[1,1,0] neg_lo:[0,0,1] neg_hi:[0,0,1]
	s_delay_alu instid0(VALU_DEP_2) | instskip(NEXT) | instid1(VALU_DEP_1)
	v_mov_b32_e32 v27, v45
	v_pk_add_f32 v[26:27], v[2:3], v[26:27]
	global_store_b64 v[24:25], v[26:27], off
.LBB231_21:                             ;   in Loop: Header=BB231_6 Depth=1
	s_and_not1_b32 vcc_lo, exec_lo, s34
	s_cbranch_vccnz .LBB231_23
; %bb.22:                               ;   in Loop: Header=BB231_6 Depth=1
	global_store_b64 v[24:25], v[2:3], off
.LBB231_23:                             ;   in Loop: Header=BB231_6 Depth=1
	s_wait_xcnt 0x0
	s_or_b32 exec_lo, exec_lo, s29
	s_and_saveexec_b32 s29, s19
	s_cbranch_execz .LBB231_28
; %bb.24:                               ;   in Loop: Header=BB231_6 Depth=1
	v_mov_b64_e32 v[2:3], s[4:5]
	v_mov_b64_e32 v[24:25], s[24:25]
	v_lshl_add_u64 v[0:1], v[10:11], 3, v[0:1]
	s_and_not1_b32 vcc_lo, exec_lo, s15
	s_mov_b32 s34, -1
	s_delay_alu instid0(VALU_DEP_3) | instskip(NEXT) | instid1(VALU_DEP_1)
	v_pk_mul_f32 v[2:3], v[38:39], v[2:3] op_sel_hi:[0,1]
	v_pk_fma_f32 v[26:27], v[36:37], v[24:25], v[2:3] op_sel_hi:[0,1,1]
	v_pk_fma_f32 v[2:3], v[36:37], v[24:25], v[2:3] neg_lo:[0,0,1] neg_hi:[0,0,1]
	s_delay_alu instid0(VALU_DEP_2)
	v_mov_b32_e32 v3, v27
	s_cbranch_vccnz .LBB231_26
; %bb.25:                               ;   in Loop: Header=BB231_6 Depth=1
	global_load_b64 v[24:25], v[0:1], off
	v_mov_b64_e32 v[26:27], s[6:7]
	v_mov_b64_e32 v[36:37], s[2:3]
	s_mov_b32 s34, 0
	s_wait_loadcnt 0x0
	s_delay_alu instid0(VALU_DEP_2) | instskip(NEXT) | instid1(VALU_DEP_1)
	v_pk_mul_f32 v[26:27], v[24:25], v[26:27]
	v_pk_fma_f32 v[38:39], v[24:25], v[36:37], v[26:27] op_sel:[0,0,1] op_sel_hi:[1,1,0]
	v_pk_fma_f32 v[24:25], v[24:25], v[36:37], v[26:27] op_sel:[0,0,1] op_sel_hi:[1,1,0] neg_lo:[0,0,1] neg_hi:[0,0,1]
	s_delay_alu instid0(VALU_DEP_2) | instskip(NEXT) | instid1(VALU_DEP_1)
	v_mov_b32_e32 v25, v39
	v_pk_add_f32 v[24:25], v[2:3], v[24:25]
	global_store_b64 v[0:1], v[24:25], off
.LBB231_26:                             ;   in Loop: Header=BB231_6 Depth=1
	s_and_not1_b32 vcc_lo, exec_lo, s34
	s_cbranch_vccnz .LBB231_28
; %bb.27:                               ;   in Loop: Header=BB231_6 Depth=1
	global_store_b64 v[0:1], v[2:3], off
.LBB231_28:                             ;   in Loop: Header=BB231_6 Depth=1
	s_wait_xcnt 0x0
	s_or_b32 exec_lo, exec_lo, s29
	v_lshl_add_u64 v[0:1], v[14:15], 3, s[12:13]
	s_and_saveexec_b32 s12, s20
	s_cbranch_execz .LBB231_33
; %bb.29:                               ;   in Loop: Header=BB231_6 Depth=1
	v_mov_b64_e32 v[2:3], s[4:5]
	v_mov_b64_e32 v[24:25], s[24:25]
	s_and_not1_b32 vcc_lo, exec_lo, s15
	s_mov_b32 s13, -1
	s_delay_alu instid0(VALU_DEP_2) | instskip(NEXT) | instid1(VALU_DEP_1)
	v_pk_mul_f32 v[2:3], v[34:35], v[2:3] op_sel_hi:[0,1]
	v_pk_fma_f32 v[26:27], v[32:33], v[24:25], v[2:3] op_sel_hi:[0,1,1]
	v_pk_fma_f32 v[2:3], v[32:33], v[24:25], v[2:3] neg_lo:[0,0,1] neg_hi:[0,0,1]
	v_lshl_add_u64 v[24:25], v[8:9], 3, v[0:1]
	s_delay_alu instid0(VALU_DEP_3)
	v_mov_b32_e32 v3, v27
	s_cbranch_vccnz .LBB231_31
; %bb.30:                               ;   in Loop: Header=BB231_6 Depth=1
	global_load_b64 v[26:27], v[24:25], off
	v_mov_b64_e32 v[32:33], s[6:7]
	v_mov_b64_e32 v[34:35], s[2:3]
	s_mov_b32 s13, 0
	s_wait_loadcnt 0x0
	s_delay_alu instid0(VALU_DEP_2) | instskip(NEXT) | instid1(VALU_DEP_1)
	v_pk_mul_f32 v[32:33], v[26:27], v[32:33]
	v_pk_fma_f32 v[36:37], v[26:27], v[34:35], v[32:33] op_sel:[0,0,1] op_sel_hi:[1,1,0]
	v_pk_fma_f32 v[26:27], v[26:27], v[34:35], v[32:33] op_sel:[0,0,1] op_sel_hi:[1,1,0] neg_lo:[0,0,1] neg_hi:[0,0,1]
	s_delay_alu instid0(VALU_DEP_2) | instskip(NEXT) | instid1(VALU_DEP_1)
	v_mov_b32_e32 v27, v37
	v_pk_add_f32 v[26:27], v[2:3], v[26:27]
	global_store_b64 v[24:25], v[26:27], off
.LBB231_31:                             ;   in Loop: Header=BB231_6 Depth=1
	s_and_not1_b32 vcc_lo, exec_lo, s13
	s_cbranch_vccnz .LBB231_33
; %bb.32:                               ;   in Loop: Header=BB231_6 Depth=1
	global_store_b64 v[24:25], v[2:3], off
.LBB231_33:                             ;   in Loop: Header=BB231_6 Depth=1
	s_wait_xcnt 0x0
	s_or_b32 exec_lo, exec_lo, s12
	s_and_saveexec_b32 s12, s21
	s_cbranch_execz .LBB231_5
; %bb.34:                               ;   in Loop: Header=BB231_6 Depth=1
	v_mov_b64_e32 v[2:3], s[4:5]
	v_mov_b64_e32 v[24:25], s[24:25]
	v_lshl_add_u64 v[0:1], v[10:11], 3, v[0:1]
	s_and_not1_b32 vcc_lo, exec_lo, s15
	s_mov_b32 s13, -1
	s_delay_alu instid0(VALU_DEP_3) | instskip(NEXT) | instid1(VALU_DEP_1)
	v_pk_mul_f32 v[2:3], v[30:31], v[2:3] op_sel_hi:[0,1]
	v_pk_fma_f32 v[26:27], v[28:29], v[24:25], v[2:3] op_sel_hi:[0,1,1]
	v_pk_fma_f32 v[2:3], v[28:29], v[24:25], v[2:3] neg_lo:[0,0,1] neg_hi:[0,0,1]
	s_delay_alu instid0(VALU_DEP_2)
	v_mov_b32_e32 v3, v27
	s_cbranch_vccnz .LBB231_36
; %bb.35:                               ;   in Loop: Header=BB231_6 Depth=1
	global_load_b64 v[24:25], v[0:1], off
	v_mov_b64_e32 v[26:27], s[6:7]
	v_mov_b64_e32 v[32:33], s[2:3]
	s_mov_b32 s13, 0
	s_wait_loadcnt 0x0
	s_delay_alu instid0(VALU_DEP_2) | instskip(NEXT) | instid1(VALU_DEP_1)
	v_pk_mul_f32 v[26:27], v[24:25], v[26:27]
	v_pk_fma_f32 v[34:35], v[24:25], v[32:33], v[26:27] op_sel:[0,0,1] op_sel_hi:[1,1,0]
	v_pk_fma_f32 v[24:25], v[24:25], v[32:33], v[26:27] op_sel:[0,0,1] op_sel_hi:[1,1,0] neg_lo:[0,0,1] neg_hi:[0,0,1]
	s_delay_alu instid0(VALU_DEP_2) | instskip(NEXT) | instid1(VALU_DEP_1)
	v_mov_b32_e32 v25, v35
	v_pk_add_f32 v[24:25], v[2:3], v[24:25]
	global_store_b64 v[0:1], v[24:25], off
.LBB231_36:                             ;   in Loop: Header=BB231_6 Depth=1
	s_and_not1_b32 vcc_lo, exec_lo, s13
	s_cbranch_vccnz .LBB231_5
; %bb.37:                               ;   in Loop: Header=BB231_6 Depth=1
	global_store_b64 v[0:1], v[2:3], off
	s_branch .LBB231_5
.LBB231_38:
	s_endpgm
	.section	.rodata,"a",@progbits
	.p2align	6, 0x0
	.amdhsa_kernel _ZL29rocblas_internal_gemmt_kernelIlLi16ELi32ELi8ELc67ELc78ELc76ELb1ELb0E19rocblas_complex_numIfEPKS1_S3_PS1_EviT_T9_T10_S5_lS7_S5_lS6_T11_S5_li
		.amdhsa_group_segment_fixed_size 4096
		.amdhsa_private_segment_fixed_size 0
		.amdhsa_kernarg_size 108
		.amdhsa_user_sgpr_count 2
		.amdhsa_user_sgpr_dispatch_ptr 0
		.amdhsa_user_sgpr_queue_ptr 0
		.amdhsa_user_sgpr_kernarg_segment_ptr 1
		.amdhsa_user_sgpr_dispatch_id 0
		.amdhsa_user_sgpr_kernarg_preload_length 0
		.amdhsa_user_sgpr_kernarg_preload_offset 0
		.amdhsa_user_sgpr_private_segment_size 0
		.amdhsa_wavefront_size32 1
		.amdhsa_uses_dynamic_stack 0
		.amdhsa_enable_private_segment 0
		.amdhsa_system_sgpr_workgroup_id_x 1
		.amdhsa_system_sgpr_workgroup_id_y 1
		.amdhsa_system_sgpr_workgroup_id_z 1
		.amdhsa_system_sgpr_workgroup_info 0
		.amdhsa_system_vgpr_workitem_id 1
		.amdhsa_next_free_vgpr 60
		.amdhsa_next_free_sgpr 37
		.amdhsa_named_barrier_count 0
		.amdhsa_reserve_vcc 1
		.amdhsa_float_round_mode_32 0
		.amdhsa_float_round_mode_16_64 0
		.amdhsa_float_denorm_mode_32 3
		.amdhsa_float_denorm_mode_16_64 3
		.amdhsa_fp16_overflow 0
		.amdhsa_memory_ordered 1
		.amdhsa_forward_progress 1
		.amdhsa_inst_pref_size 26
		.amdhsa_round_robin_scheduling 0
		.amdhsa_exception_fp_ieee_invalid_op 0
		.amdhsa_exception_fp_denorm_src 0
		.amdhsa_exception_fp_ieee_div_zero 0
		.amdhsa_exception_fp_ieee_overflow 0
		.amdhsa_exception_fp_ieee_underflow 0
		.amdhsa_exception_fp_ieee_inexact 0
		.amdhsa_exception_int_div_zero 0
	.end_amdhsa_kernel
	.section	.text._ZL29rocblas_internal_gemmt_kernelIlLi16ELi32ELi8ELc67ELc78ELc76ELb1ELb0E19rocblas_complex_numIfEPKS1_S3_PS1_EviT_T9_T10_S5_lS7_S5_lS6_T11_S5_li,"axG",@progbits,_ZL29rocblas_internal_gemmt_kernelIlLi16ELi32ELi8ELc67ELc78ELc76ELb1ELb0E19rocblas_complex_numIfEPKS1_S3_PS1_EviT_T9_T10_S5_lS7_S5_lS6_T11_S5_li,comdat
.Lfunc_end231:
	.size	_ZL29rocblas_internal_gemmt_kernelIlLi16ELi32ELi8ELc67ELc78ELc76ELb1ELb0E19rocblas_complex_numIfEPKS1_S3_PS1_EviT_T9_T10_S5_lS7_S5_lS6_T11_S5_li, .Lfunc_end231-_ZL29rocblas_internal_gemmt_kernelIlLi16ELi32ELi8ELc67ELc78ELc76ELb1ELb0E19rocblas_complex_numIfEPKS1_S3_PS1_EviT_T9_T10_S5_lS7_S5_lS6_T11_S5_li
                                        ; -- End function
	.set _ZL29rocblas_internal_gemmt_kernelIlLi16ELi32ELi8ELc67ELc78ELc76ELb1ELb0E19rocblas_complex_numIfEPKS1_S3_PS1_EviT_T9_T10_S5_lS7_S5_lS6_T11_S5_li.num_vgpr, 60
	.set _ZL29rocblas_internal_gemmt_kernelIlLi16ELi32ELi8ELc67ELc78ELc76ELb1ELb0E19rocblas_complex_numIfEPKS1_S3_PS1_EviT_T9_T10_S5_lS7_S5_lS6_T11_S5_li.num_agpr, 0
	.set _ZL29rocblas_internal_gemmt_kernelIlLi16ELi32ELi8ELc67ELc78ELc76ELb1ELb0E19rocblas_complex_numIfEPKS1_S3_PS1_EviT_T9_T10_S5_lS7_S5_lS6_T11_S5_li.numbered_sgpr, 37
	.set _ZL29rocblas_internal_gemmt_kernelIlLi16ELi32ELi8ELc67ELc78ELc76ELb1ELb0E19rocblas_complex_numIfEPKS1_S3_PS1_EviT_T9_T10_S5_lS7_S5_lS6_T11_S5_li.num_named_barrier, 0
	.set _ZL29rocblas_internal_gemmt_kernelIlLi16ELi32ELi8ELc67ELc78ELc76ELb1ELb0E19rocblas_complex_numIfEPKS1_S3_PS1_EviT_T9_T10_S5_lS7_S5_lS6_T11_S5_li.private_seg_size, 0
	.set _ZL29rocblas_internal_gemmt_kernelIlLi16ELi32ELi8ELc67ELc78ELc76ELb1ELb0E19rocblas_complex_numIfEPKS1_S3_PS1_EviT_T9_T10_S5_lS7_S5_lS6_T11_S5_li.uses_vcc, 1
	.set _ZL29rocblas_internal_gemmt_kernelIlLi16ELi32ELi8ELc67ELc78ELc76ELb1ELb0E19rocblas_complex_numIfEPKS1_S3_PS1_EviT_T9_T10_S5_lS7_S5_lS6_T11_S5_li.uses_flat_scratch, 0
	.set _ZL29rocblas_internal_gemmt_kernelIlLi16ELi32ELi8ELc67ELc78ELc76ELb1ELb0E19rocblas_complex_numIfEPKS1_S3_PS1_EviT_T9_T10_S5_lS7_S5_lS6_T11_S5_li.has_dyn_sized_stack, 0
	.set _ZL29rocblas_internal_gemmt_kernelIlLi16ELi32ELi8ELc67ELc78ELc76ELb1ELb0E19rocblas_complex_numIfEPKS1_S3_PS1_EviT_T9_T10_S5_lS7_S5_lS6_T11_S5_li.has_recursion, 0
	.set _ZL29rocblas_internal_gemmt_kernelIlLi16ELi32ELi8ELc67ELc78ELc76ELb1ELb0E19rocblas_complex_numIfEPKS1_S3_PS1_EviT_T9_T10_S5_lS7_S5_lS6_T11_S5_li.has_indirect_call, 0
	.section	.AMDGPU.csdata,"",@progbits
; Kernel info:
; codeLenInByte = 3228
; TotalNumSgprs: 39
; NumVgprs: 60
; ScratchSize: 0
; MemoryBound: 0
; FloatMode: 240
; IeeeMode: 1
; LDSByteSize: 4096 bytes/workgroup (compile time only)
; SGPRBlocks: 0
; VGPRBlocks: 3
; NumSGPRsForWavesPerEU: 39
; NumVGPRsForWavesPerEU: 60
; NamedBarCnt: 0
; Occupancy: 16
; WaveLimiterHint : 0
; COMPUTE_PGM_RSRC2:SCRATCH_EN: 0
; COMPUTE_PGM_RSRC2:USER_SGPR: 2
; COMPUTE_PGM_RSRC2:TRAP_HANDLER: 0
; COMPUTE_PGM_RSRC2:TGID_X_EN: 1
; COMPUTE_PGM_RSRC2:TGID_Y_EN: 1
; COMPUTE_PGM_RSRC2:TGID_Z_EN: 1
; COMPUTE_PGM_RSRC2:TIDIG_COMP_CNT: 1
	.section	.text._ZL29rocblas_internal_gemmt_kernelIlLi16ELi32ELi8ELc67ELc84ELc76ELb1ELb0E19rocblas_complex_numIfEPKS1_S3_PS1_EviT_T9_T10_S5_lS7_S5_lS6_T11_S5_li,"axG",@progbits,_ZL29rocblas_internal_gemmt_kernelIlLi16ELi32ELi8ELc67ELc84ELc76ELb1ELb0E19rocblas_complex_numIfEPKS1_S3_PS1_EviT_T9_T10_S5_lS7_S5_lS6_T11_S5_li,comdat
	.globl	_ZL29rocblas_internal_gemmt_kernelIlLi16ELi32ELi8ELc67ELc84ELc76ELb1ELb0E19rocblas_complex_numIfEPKS1_S3_PS1_EviT_T9_T10_S5_lS7_S5_lS6_T11_S5_li ; -- Begin function _ZL29rocblas_internal_gemmt_kernelIlLi16ELi32ELi8ELc67ELc84ELc76ELb1ELb0E19rocblas_complex_numIfEPKS1_S3_PS1_EviT_T9_T10_S5_lS7_S5_lS6_T11_S5_li
	.p2align	8
	.type	_ZL29rocblas_internal_gemmt_kernelIlLi16ELi32ELi8ELc67ELc84ELc76ELb1ELb0E19rocblas_complex_numIfEPKS1_S3_PS1_EviT_T9_T10_S5_lS7_S5_lS6_T11_S5_li,@function
_ZL29rocblas_internal_gemmt_kernelIlLi16ELi32ELi8ELc67ELc84ELc76ELb1ELb0E19rocblas_complex_numIfEPKS1_S3_PS1_EviT_T9_T10_S5_lS7_S5_lS6_T11_S5_li: ; @_ZL29rocblas_internal_gemmt_kernelIlLi16ELi32ELi8ELc67ELc84ELc76ELb1ELb0E19rocblas_complex_numIfEPKS1_S3_PS1_EviT_T9_T10_S5_lS7_S5_lS6_T11_S5_li
; %bb.0:
	s_load_b256 s[24:31], s[0:1], 0x48
	s_wait_kmcnt 0x0
	s_load_b64 s[6:7], s[24:25], 0x0
	s_load_b512 s[8:23], s[0:1], 0x8
	s_wait_kmcnt 0x0
	s_cmp_neq_f32 s6, 1.0
	s_load_b64 s[24:25], s[10:11], 0x0
	s_cselect_b32 s3, -1, 0
	s_and_b32 s4, s7, 0x7fffffff
	s_delay_alu instid0(SALU_CYCLE_1) | instskip(SKIP_3) | instid1(SALU_CYCLE_1)
	s_cmp_eq_u32 s4, 0
	s_cselect_b32 s2, -1, 0
	s_cmp_lg_u32 s4, 0
	s_cselect_b32 s4, -1, 0
	s_or_b32 s3, s3, s4
	s_delay_alu instid0(SALU_CYCLE_1)
	s_and_b32 vcc_lo, exec_lo, s3
	s_cbranch_vccnz .LBB232_2
; %bb.1:
	s_cmp_lg_u64 s[8:9], 0
	s_cselect_b32 s3, -1, 0
	s_wait_kmcnt 0x0
	s_cmp_neq_f32 s24, 0
	s_cselect_b32 s4, -1, 0
	s_cmp_neq_f32 s25, 0
	s_cselect_b32 s5, -1, 0
	s_delay_alu instid0(SALU_CYCLE_1) | instskip(NEXT) | instid1(SALU_CYCLE_1)
	s_or_b32 s4, s4, s5
	s_and_b32 s3, s3, s4
.LBB232_2:
	s_delay_alu instid0(SALU_CYCLE_1)
	s_and_not1_b32 vcc_lo, exec_lo, s3
	s_cbranch_vccnz .LBB232_38
; %bb.3:
	s_load_b32 s33, s[0:1], 0x68
	s_bfe_u32 s3, ttmp6, 0x40014
	s_lshr_b32 s4, ttmp7, 16
	s_add_co_i32 s3, s3, 1
	s_wait_xcnt 0x0
	s_bfe_u32 s10, ttmp6, 0x40008
	s_mul_i32 s5, s4, s3
	s_getreg_b32 s3, hwreg(HW_REG_IB_STS2, 6, 4)
	s_add_co_i32 s10, s10, s5
	s_cmp_eq_u32 s3, 0
	s_mov_b32 s11, 0
	s_cselect_b32 s10, s4, s10
	s_wait_kmcnt 0x0
	s_cmp_ge_u32 s10, s33
	s_cbranch_scc1 .LBB232_38
; %bb.4:
	v_and_b32_e32 v7, 0x3ff, v0
	v_bfe_u32 v9, v0, 10, 10
	s_bfe_u32 s4, ttmp6, 0x4000c
	s_bfe_u32 s34, ttmp6, 0x40010
	s_add_co_i32 s4, s4, 1
	s_and_b32 s35, ttmp7, 0xffff
	s_add_co_i32 s34, s34, 1
	v_lshl_add_u32 v8, v9, 4, v7
	s_and_b32 s5, ttmp6, 15
	s_mul_i32 s4, ttmp9, s4
	s_mul_i32 s34, s35, s34
	s_bfe_u32 s36, ttmp6, 0x40004
	s_add_co_i32 s5, s5, s4
	s_add_co_i32 s36, s36, s34
	s_cmp_eq_u32 s3, 0
	v_and_b32_e32 v10, 31, v8
	s_cselect_b32 s3, ttmp9, s5
	s_cselect_b32 s4, s35, s36
	s_lshl_b32 s3, s3, 5
	v_dual_lshlrev_b32 v5, 3, v7 :: v_dual_bitop2_b32 v4, 7, v0 bitop3:0x40
	v_or_b32_e32 v2, s3, v10
	s_load_b32 s5, s[0:1], 0x0
	s_wait_xcnt 0x0
	s_lshl_b32 s0, s4, 5
	v_lshlrev_b32_e32 v11, 3, v4
	v_dual_lshrrev_b32 v6, 5, v8 :: v_dual_ashrrev_i32 v3, 31, v2
	v_add_nc_u32_e32 v20, s0, v9
	s_cmp_neq_f32 s24, 0
	v_cmp_gt_i64_e64 s34, s[8:9], 0
	v_lshl_add_u32 v31, v9, 6, 0x800
	v_mul_u64_e32 v[0:1], s[14:15], v[2:3]
	v_dual_lshrrev_b32 v3, 3, v8 :: v_dual_add_nc_u32 v8, s3, v7
	v_dual_add_nc_u32 v22, 16, v20 :: v_dual_ashrrev_i32 v21, 31, v20
	s_delay_alu instid0(VALU_DEP_2) | instskip(NEXT) | instid1(VALU_DEP_2)
	v_dual_lshlrev_b32 v7, 3, v10 :: v_dual_add_nc_u32 v16, s0, v3
	v_dual_add_nc_u32 v10, 16, v8 :: v_dual_ashrrev_i32 v23, 31, v22
	s_delay_alu instid0(VALU_DEP_3)
	v_mul_u64_e32 v[12:13], s[28:29], v[20:21]
	s_cselect_b32 s1, -1, 0
	s_cmp_neq_f32 s25, 0
	v_cmp_le_i32_e32 vcc_lo, v20, v8
	v_mul_u64_e32 v[14:15], s[28:29], v[22:23]
	v_ashrrev_i32_e32 v17, 31, v16
	s_cselect_b32 s3, -1, 0
	v_lshl_or_b32 v3, v3, 6, v11
	s_or_b32 s35, s1, s3
	s_cmp_neq_f32 s6, 0
	s_wait_kmcnt 0x0
	v_cmp_gt_i32_e64 s0, s5, v2
	v_cmp_le_i32_e64 s14, s5, v2
	v_cmp_gt_i32_e64 s1, s5, v16
	s_cselect_b32 s3, -1, 0
	s_xor_b32 s4, s2, -1
	v_cmp_gt_i32_e64 s2, s5, v8
	s_or_b32 s15, s3, s4
	v_cmp_le_i32_e64 s3, v20, v10
	v_cmp_gt_i32_e64 s4, s5, v10
	v_cmp_le_i32_e64 s5, v22, v10
	v_ashrrev_i32_e32 v11, 31, v10
	v_lshl_add_u64 v[16:17], v[16:17], 3, s[18:19]
	s_and_b32 s18, vcc_lo, s2
	v_cmp_le_i32_e32 vcc_lo, v22, v8
	v_lshl_or_b32 v7, v6, 8, v7
	v_add_nc_u32_e32 v29, 0x800, v3
	v_lshl_add_u64 v[18:19], v[0:1], 3, s[12:13]
	v_dual_ashrrev_i32 v9, 31, v8 :: v_dual_mov_b32 v21, 0
	s_and_b32 s19, s3, s4
	s_and_b32 s28, vcc_lo, s2
	s_and_b32 s29, s5, s4
	s_mov_b32 s2, s6
	s_mov_b32 s3, s6
	s_and_b32 s34, s35, s34
	s_mov_b32 s6, s7
	s_mov_b32 s4, s25
	;; [unrolled: 1-line block ×3, first 2 shown]
                                        ; implicit-def: $vgpr22_vgpr23
	s_branch .LBB232_6
.LBB232_5:                              ;   in Loop: Header=BB232_6 Depth=1
	s_wait_xcnt 0x0
	s_or_b32 exec_lo, exec_lo, s12
	s_add_co_i32 s10, s10, 0x10000
	s_delay_alu instid0(SALU_CYCLE_1)
	s_cmp_lt_u32 s10, s33
	s_cbranch_scc0 .LBB232_38
.LBB232_6:                              ; =>This Loop Header: Depth=1
                                        ;     Child Loop BB232_9 Depth 2
	s_and_not1_b32 vcc_lo, exec_lo, s34
	s_cbranch_vccnz .LBB232_17
; %bb.7:                                ;   in Loop: Header=BB232_6 Depth=1
	s_mul_u64 s[12:13], s[16:17], s[10:11]
	s_mul_u64 s[36:37], s[22:23], s[10:11]
	v_lshl_add_u64 v[24:25], s[12:13], 3, v[18:19]
	v_lshl_add_u64 v[26:27], s[36:37], 3, v[16:17]
	v_dual_mov_b32 v30, 0 :: v_dual_mov_b32 v28, 0
	v_dual_mov_b32 v34, 0 :: v_dual_mov_b32 v32, 0
	;; [unrolled: 1-line block ×4, first 2 shown]
	s_mov_b64 s[12:13], 0
	s_branch .LBB232_9
.LBB232_8:                              ;   in Loop: Header=BB232_9 Depth=2
	s_wait_xcnt 0x0
	s_or_b32 exec_lo, exec_lo, s35
	s_wait_loadcnt 0x0
	ds_store_b64 v29, v[0:1]
	s_wait_dscnt 0x0
	s_barrier_signal -1
	s_barrier_wait -1
	ds_load_b128 v[44:47], v31
	ds_load_b128 v[48:51], v31 offset:16
	ds_load_b128 v[52:55], v31 offset:32
	;; [unrolled: 1-line block ×3, first 2 shown]
	ds_load_2addr_b64 v[56:59], v5 offset1:16
	s_add_nc_u64 s[12:13], s[12:13], 8
	s_delay_alu instid0(SALU_CYCLE_1) | instskip(SKIP_3) | instid1(VALU_DEP_1)
	v_cmp_gt_i64_e64 s35, s[8:9], s[12:13]
	s_and_b32 vcc_lo, exec_lo, s35
	s_wait_dscnt 0x0
	v_dual_mul_f32 v20, v45, v57 :: v_dual_mul_f32 v33, v44, v57
	v_dual_mul_f32 v35, v44, v59 :: v_dual_fma_f32 v20, v44, v56, -v20
	s_delay_alu instid0(VALU_DEP_1) | instskip(NEXT) | instid1(VALU_DEP_1)
	v_dual_fmac_f32 v33, v45, v56 :: v_dual_fmac_f32 v35, v45, v58
	v_dual_add_f32 v20, v40, v20 :: v_dual_add_f32 v40, v42, v33
	v_mul_f32_e32 v33, v45, v59
	s_delay_alu instid0(VALU_DEP_1) | instskip(NEXT) | instid1(VALU_DEP_1)
	v_dual_add_f32 v42, v38, v35 :: v_dual_fma_f32 v33, v44, v58, -v33
	v_add_f32_e32 v41, v36, v33
	ds_load_b128 v[36:39], v31 offset:1024
	s_wait_dscnt 0x0
	v_dual_mul_f32 v33, v37, v57 :: v_dual_mul_f32 v35, v36, v57
	s_delay_alu instid0(VALU_DEP_1) | instskip(NEXT) | instid1(VALU_DEP_1)
	v_dual_fma_f32 v33, v36, v56, -v33 :: v_dual_fmac_f32 v35, v37, v56
	v_dual_add_f32 v43, v32, v33 :: v_dual_add_f32 v44, v34, v35
	v_dual_mul_f32 v32, v37, v59 :: v_dual_mul_f32 v33, v36, v59
	s_delay_alu instid0(VALU_DEP_1) | instskip(NEXT) | instid1(VALU_DEP_1)
	v_dual_fma_f32 v32, v36, v58, -v32 :: v_dual_fmac_f32 v33, v37, v58
	v_dual_add_f32 v28, v28, v32 :: v_dual_add_f32 v30, v30, v33
	ds_load_2addr_b64 v[32:35], v5 offset0:32 offset1:48
	s_wait_dscnt 0x0
	v_dual_mul_f32 v36, v47, v33 :: v_dual_mul_f32 v37, v46, v33
	s_delay_alu instid0(VALU_DEP_1) | instskip(NEXT) | instid1(VALU_DEP_1)
	v_dual_fma_f32 v36, v46, v32, -v36 :: v_dual_fmac_f32 v37, v47, v32
	v_add_f32_e32 v20, v20, v36
	s_delay_alu instid0(VALU_DEP_2) | instskip(NEXT) | instid1(VALU_DEP_1)
	v_dual_add_f32 v36, v40, v37 :: v_dual_mul_f32 v37, v47, v35
	v_dual_fma_f32 v37, v46, v34, -v37 :: v_dual_mul_f32 v40, v46, v35
	s_delay_alu instid0(VALU_DEP_1) | instskip(SKIP_1) | instid1(VALU_DEP_1)
	v_add_f32_e32 v37, v41, v37
	v_dual_mul_f32 v41, v39, v33 :: v_dual_mul_f32 v33, v38, v33
	v_dual_fmac_f32 v40, v47, v34 :: v_dual_fma_f32 v41, v38, v32, -v41
	s_delay_alu instid0(VALU_DEP_2) | instskip(NEXT) | instid1(VALU_DEP_2)
	v_dual_fmac_f32 v33, v39, v32 :: v_dual_mul_f32 v32, v39, v35
	v_dual_add_f32 v40, v42, v40 :: v_dual_add_f32 v41, v43, v41
	s_delay_alu instid0(VALU_DEP_2) | instskip(NEXT) | instid1(VALU_DEP_1)
	v_dual_add_f32 v42, v44, v33 :: v_dual_fma_f32 v32, v38, v34, -v32
	v_dual_mul_f32 v33, v38, v35 :: v_dual_add_f32 v28, v28, v32
	s_delay_alu instid0(VALU_DEP_1) | instskip(NEXT) | instid1(VALU_DEP_1)
	v_fmac_f32_e32 v33, v39, v34
	v_add_f32_e32 v30, v30, v33
	ds_load_2addr_b64 v[32:35], v5 offset0:64 offset1:80
	s_wait_dscnt 0x0
	v_dual_mul_f32 v38, v49, v33 :: v_dual_mul_f32 v39, v48, v33
	s_delay_alu instid0(VALU_DEP_1) | instskip(NEXT) | instid1(VALU_DEP_1)
	v_dual_fma_f32 v38, v48, v32, -v38 :: v_dual_fmac_f32 v39, v49, v32
	v_add_f32_e32 v20, v20, v38
	v_mul_f32_e32 v38, v48, v35
	s_delay_alu instid0(VALU_DEP_3) | instskip(SKIP_1) | instid1(VALU_DEP_1)
	v_add_f32_e32 v43, v36, v39
	v_mul_f32_e32 v36, v49, v35
	v_fma_f32 v36, v48, v34, -v36
	s_delay_alu instid0(VALU_DEP_1) | instskip(SKIP_1) | instid1(VALU_DEP_1)
	v_add_f32_e32 v44, v37, v36
	v_fmac_f32_e32 v38, v49, v34
	v_add_f32_e32 v40, v40, v38
	ds_load_b128 v[36:39], v31 offset:1040
	s_wait_dscnt 0x0
	v_dual_mul_f32 v45, v37, v33 :: v_dual_mul_f32 v33, v36, v33
	s_delay_alu instid0(VALU_DEP_1) | instskip(NEXT) | instid1(VALU_DEP_2)
	v_fma_f32 v45, v36, v32, -v45
	v_dual_fmac_f32 v33, v37, v32 :: v_dual_mul_f32 v32, v37, v35
	s_delay_alu instid0(VALU_DEP_2) | instskip(NEXT) | instid1(VALU_DEP_2)
	v_add_f32_e32 v41, v41, v45
	v_dual_add_f32 v42, v42, v33 :: v_dual_mul_f32 v33, v36, v35
	s_delay_alu instid0(VALU_DEP_1) | instskip(NEXT) | instid1(VALU_DEP_1)
	v_dual_fma_f32 v32, v36, v34, -v32 :: v_dual_fmac_f32 v33, v37, v34
	v_dual_add_f32 v28, v28, v32 :: v_dual_add_f32 v30, v30, v33
	ds_load_2addr_b64 v[32:35], v5 offset0:96 offset1:112
	s_wait_dscnt 0x0
	v_mul_f32_e32 v36, v51, v33
	s_delay_alu instid0(VALU_DEP_1) | instskip(NEXT) | instid1(VALU_DEP_1)
	v_dual_fma_f32 v36, v50, v32, -v36 :: v_dual_mul_f32 v37, v50, v33
	v_add_f32_e32 v20, v20, v36
	s_delay_alu instid0(VALU_DEP_2) | instskip(NEXT) | instid1(VALU_DEP_1)
	v_fmac_f32_e32 v37, v51, v32
	v_dual_add_f32 v36, v43, v37 :: v_dual_mul_f32 v43, v50, v35
	s_delay_alu instid0(VALU_DEP_1) | instskip(NEXT) | instid1(VALU_DEP_1)
	v_dual_mul_f32 v37, v51, v35 :: v_dual_fmac_f32 v43, v51, v34
	v_dual_fma_f32 v37, v50, v34, -v37 :: v_dual_add_f32 v40, v40, v43
	v_mul_f32_e32 v43, v39, v33
	s_delay_alu instid0(VALU_DEP_1) | instskip(NEXT) | instid1(VALU_DEP_1)
	v_dual_add_f32 v37, v44, v37 :: v_dual_fma_f32 v43, v38, v32, -v43
	v_dual_mul_f32 v33, v38, v33 :: v_dual_add_f32 v41, v41, v43
	s_delay_alu instid0(VALU_DEP_1) | instskip(NEXT) | instid1(VALU_DEP_1)
	v_dual_fmac_f32 v33, v39, v32 :: v_dual_mul_f32 v32, v39, v35
	v_add_f32_e32 v42, v42, v33
	s_delay_alu instid0(VALU_DEP_2) | instskip(NEXT) | instid1(VALU_DEP_1)
	v_dual_fma_f32 v32, v38, v34, -v32 :: v_dual_mul_f32 v33, v38, v35
	v_dual_fmac_f32 v33, v39, v34 :: v_dual_add_f32 v28, v28, v32
	s_delay_alu instid0(VALU_DEP_1) | instskip(SKIP_3) | instid1(VALU_DEP_1)
	v_add_f32_e32 v30, v30, v33
	ds_load_2addr_b64 v[32:35], v5 offset0:128 offset1:144
	s_wait_dscnt 0x0
	v_dual_mul_f32 v38, v53, v33 :: v_dual_mul_f32 v39, v52, v33
	v_dual_fma_f32 v38, v52, v32, -v38 :: v_dual_fmac_f32 v39, v53, v32
	s_delay_alu instid0(VALU_DEP_1) | instskip(SKIP_1) | instid1(VALU_DEP_3)
	v_add_f32_e32 v20, v20, v38
	v_mul_f32_e32 v38, v52, v35
	v_add_f32_e32 v43, v36, v39
	v_mul_f32_e32 v36, v53, v35
	s_delay_alu instid0(VALU_DEP_1) | instskip(NEXT) | instid1(VALU_DEP_1)
	v_fma_f32 v36, v52, v34, -v36
	v_add_f32_e32 v44, v37, v36
	v_fmac_f32_e32 v38, v53, v34
	s_delay_alu instid0(VALU_DEP_1) | instskip(SKIP_3) | instid1(VALU_DEP_1)
	v_add_f32_e32 v40, v40, v38
	ds_load_b128 v[36:39], v31 offset:1056
	s_wait_dscnt 0x0
	v_dual_mul_f32 v45, v37, v33 :: v_dual_mul_f32 v33, v36, v33
	v_fma_f32 v45, v36, v32, -v45
	s_delay_alu instid0(VALU_DEP_2) | instskip(NEXT) | instid1(VALU_DEP_2)
	v_dual_fmac_f32 v33, v37, v32 :: v_dual_mul_f32 v32, v37, v35
	v_add_f32_e32 v41, v41, v45
	s_delay_alu instid0(VALU_DEP_2) | instskip(NEXT) | instid1(VALU_DEP_1)
	v_dual_add_f32 v42, v42, v33 :: v_dual_mul_f32 v33, v36, v35
	v_dual_fma_f32 v32, v36, v34, -v32 :: v_dual_fmac_f32 v33, v37, v34
	s_delay_alu instid0(VALU_DEP_1) | instskip(SKIP_3) | instid1(VALU_DEP_1)
	v_dual_add_f32 v28, v28, v32 :: v_dual_add_f32 v30, v30, v33
	ds_load_2addr_b64 v[32:35], v5 offset0:160 offset1:176
	s_wait_dscnt 0x0
	v_mul_f32_e32 v36, v55, v33
	v_dual_fma_f32 v36, v54, v32, -v36 :: v_dual_mul_f32 v37, v54, v33
	s_delay_alu instid0(VALU_DEP_1) | instskip(NEXT) | instid1(VALU_DEP_2)
	v_add_f32_e32 v20, v20, v36
	v_fmac_f32_e32 v37, v55, v32
	s_delay_alu instid0(VALU_DEP_1) | instskip(NEXT) | instid1(VALU_DEP_1)
	v_dual_add_f32 v36, v43, v37 :: v_dual_mul_f32 v43, v54, v35
	v_dual_mul_f32 v37, v55, v35 :: v_dual_fmac_f32 v43, v55, v34
	s_delay_alu instid0(VALU_DEP_1) | instskip(SKIP_1) | instid1(VALU_DEP_1)
	v_dual_fma_f32 v37, v54, v34, -v37 :: v_dual_add_f32 v40, v40, v43
	v_mul_f32_e32 v43, v39, v33
	v_dual_add_f32 v37, v44, v37 :: v_dual_fma_f32 v43, v38, v32, -v43
	s_delay_alu instid0(VALU_DEP_1) | instskip(NEXT) | instid1(VALU_DEP_1)
	v_dual_mul_f32 v33, v38, v33 :: v_dual_add_f32 v41, v41, v43
	v_dual_fmac_f32 v33, v39, v32 :: v_dual_mul_f32 v32, v39, v35
	s_delay_alu instid0(VALU_DEP_1) | instskip(NEXT) | instid1(VALU_DEP_2)
	v_add_f32_e32 v46, v42, v33
	v_dual_fma_f32 v32, v38, v34, -v32 :: v_dual_mul_f32 v33, v38, v35
	ds_load_b128 v[42:45], v31 offset:1072
	v_dual_fmac_f32 v33, v39, v34 :: v_dual_add_f32 v28, v28, v32
	s_delay_alu instid0(VALU_DEP_1) | instskip(SKIP_3) | instid1(VALU_DEP_1)
	v_add_f32_e32 v30, v30, v33
	ds_load_2addr_b64 v[32:35], v5 offset0:192 offset1:208
	s_wait_dscnt 0x0
	v_dual_mul_f32 v38, v1, v33 :: v_dual_mul_f32 v39, v0, v33
	v_dual_fma_f32 v38, v0, v32, -v38 :: v_dual_fmac_f32 v39, v1, v32
	s_delay_alu instid0(VALU_DEP_1) | instskip(NEXT) | instid1(VALU_DEP_1)
	v_dual_add_f32 v20, v20, v38 :: v_dual_mul_f32 v38, v1, v35
	v_dual_fma_f32 v38, v0, v34, -v38 :: v_dual_mul_f32 v0, v0, v35
	s_delay_alu instid0(VALU_DEP_1) | instskip(NEXT) | instid1(VALU_DEP_2)
	v_dual_add_f32 v36, v36, v39 :: v_dual_fmac_f32 v0, v1, v34
	v_dual_add_f32 v1, v37, v38 :: v_dual_mul_f32 v37, v43, v33
	s_delay_alu instid0(VALU_DEP_2) | instskip(NEXT) | instid1(VALU_DEP_2)
	v_dual_mul_f32 v33, v42, v33 :: v_dual_add_f32 v0, v40, v0
	v_fma_f32 v37, v42, v32, -v37
	s_delay_alu instid0(VALU_DEP_1) | instskip(NEXT) | instid1(VALU_DEP_1)
	v_dual_fmac_f32 v33, v43, v32 :: v_dual_add_f32 v32, v41, v37
	v_dual_add_f32 v33, v46, v33 :: v_dual_mul_f32 v37, v43, v35
	ds_load_2addr_b64 v[46:49], v5 offset0:224 offset1:240
	v_mul_f32_e32 v35, v42, v35
	s_wait_dscnt 0x0
	s_barrier_signal -1
	v_fma_f32 v37, v42, v34, -v37
	s_barrier_wait -1
	v_fmac_f32_e32 v35, v43, v34
	s_delay_alu instid0(VALU_DEP_1) | instskip(SKIP_1) | instid1(VALU_DEP_1)
	v_dual_add_f32 v28, v28, v37 :: v_dual_add_f32 v30, v30, v35
	v_dual_mul_f32 v34, v3, v47 :: v_dual_mul_f32 v35, v2, v47
	v_dual_fma_f32 v34, v2, v46, -v34 :: v_dual_fmac_f32 v35, v3, v46
	s_delay_alu instid0(VALU_DEP_1) | instskip(NEXT) | instid1(VALU_DEP_1)
	v_dual_add_f32 v40, v20, v34 :: v_dual_mul_f32 v20, v3, v49
	v_dual_add_f32 v42, v36, v35 :: v_dual_fma_f32 v20, v2, v48, -v20
	s_delay_alu instid0(VALU_DEP_1) | instskip(NEXT) | instid1(VALU_DEP_1)
	v_dual_mul_f32 v2, v2, v49 :: v_dual_add_f32 v36, v1, v20
	v_dual_fmac_f32 v2, v3, v48 :: v_dual_mul_f32 v1, v44, v47
	s_delay_alu instid0(VALU_DEP_1) | instskip(NEXT) | instid1(VALU_DEP_2)
	v_fmac_f32_e32 v1, v45, v46
	v_dual_add_f32 v38, v0, v2 :: v_dual_mul_f32 v0, v45, v47
	s_delay_alu instid0(VALU_DEP_2) | instskip(NEXT) | instid1(VALU_DEP_2)
	v_add_f32_e32 v34, v33, v1
	v_dual_mul_f32 v1, v44, v49 :: v_dual_fma_f32 v0, v44, v46, -v0
	s_delay_alu instid0(VALU_DEP_1) | instskip(NEXT) | instid1(VALU_DEP_2)
	v_fmac_f32_e32 v1, v45, v48
	v_dual_add_f32 v32, v32, v0 :: v_dual_mul_f32 v0, v45, v49
	s_delay_alu instid0(VALU_DEP_1) | instskip(NEXT) | instid1(VALU_DEP_1)
	v_dual_add_f32 v30, v30, v1 :: v_dual_fma_f32 v0, v44, v48, -v0
	v_add_f32_e32 v28, v28, v0
	s_cbranch_vccz .LBB232_18
.LBB232_9:                              ;   Parent Loop BB232_6 Depth=1
                                        ; =>  This Inner Loop Header: Depth=2
	s_mov_b32 s35, 0
	s_mov_b32 s37, s14
	s_and_saveexec_b32 s36, s0
; %bb.10:                               ;   in Loop: Header=BB232_9 Depth=2
	v_add_nc_u32_e32 v20, s12, v6
	s_and_not1_b32 s37, s14, exec_lo
	s_mov_b32 s35, exec_lo
	s_delay_alu instid0(VALU_DEP_1) | instskip(SKIP_2) | instid1(SALU_CYCLE_1)
	v_cmp_le_u64_e32 vcc_lo, s[8:9], v[20:21]
	v_mov_b64_e32 v[22:23], v[20:21]
	s_and_b32 s38, vcc_lo, exec_lo
	s_or_b32 s37, s37, s38
; %bb.11:                               ;   in Loop: Header=BB232_9 Depth=2
	s_or_b32 exec_lo, exec_lo, s36
	s_and_saveexec_b32 s36, s37
	s_delay_alu instid0(SALU_CYCLE_1)
	s_xor_b32 s36, exec_lo, s36
; %bb.12:                               ;   in Loop: Header=BB232_9 Depth=2
	s_and_not1_b32 s35, s35, exec_lo
	ds_store_b32 v7, v21
; %bb.13:                               ;   in Loop: Header=BB232_9 Depth=2
	s_or_b32 exec_lo, exec_lo, s36
	v_dual_mov_b32 v0, 0 :: v_dual_mov_b32 v2, 0
	s_and_saveexec_b32 s36, s35
	s_cbranch_execz .LBB232_15
; %bb.14:                               ;   in Loop: Header=BB232_9 Depth=2
	v_lshl_add_u64 v[2:3], v[22:23], 3, v[24:25]
	global_load_b64 v[44:45], v[2:3], off
	s_wait_loadcnt 0x0
	s_wait_xcnt 0x0
	v_xor_b32_e32 v2, 0x80000000, v45
	ds_store_b32 v7, v44
.LBB232_15:                             ;   in Loop: Header=BB232_9 Depth=2
	s_or_b32 exec_lo, exec_lo, s36
	v_dual_mov_b32 v1, 0 :: v_dual_add_nc_u32 v20, s12, v4
	ds_store_b32 v7, v2 offset:4
	v_cmp_gt_u64_e32 vcc_lo, s[8:9], v[20:21]
	s_and_b32 s36, vcc_lo, s1
	s_delay_alu instid0(SALU_CYCLE_1)
	s_and_saveexec_b32 s35, s36
	s_cbranch_execz .LBB232_8
; %bb.16:                               ;   in Loop: Header=BB232_9 Depth=2
	v_mul_u64_e32 v[0:1], s[20:21], v[20:21]
	s_delay_alu instid0(VALU_DEP_1)
	v_lshl_add_u64 v[0:1], v[0:1], 3, v[26:27]
	global_load_b64 v[0:1], v[0:1], off
	s_branch .LBB232_8
.LBB232_17:                             ;   in Loop: Header=BB232_6 Depth=1
	v_dual_mov_b32 v40, v21 :: v_dual_mov_b32 v42, v21
	v_dual_mov_b32 v36, v21 :: v_dual_mov_b32 v38, v21
	v_dual_mov_b32 v32, v21 :: v_dual_mov_b32 v34, v21
	v_dual_mov_b32 v28, v21 :: v_dual_mov_b32 v30, v21
.LBB232_18:                             ;   in Loop: Header=BB232_6 Depth=1
	s_mul_u64 s[12:13], s[30:31], s[10:11]
	s_delay_alu instid0(SALU_CYCLE_1) | instskip(NEXT) | instid1(SALU_CYCLE_1)
	s_lshl_b64 s[12:13], s[12:13], 3
	s_add_nc_u64 s[12:13], s[26:27], s[12:13]
	s_delay_alu instid0(SALU_CYCLE_1)
	v_lshl_add_u64 v[0:1], v[12:13], 3, s[12:13]
	s_and_saveexec_b32 s35, s18
	s_cbranch_execz .LBB232_23
; %bb.19:                               ;   in Loop: Header=BB232_6 Depth=1
	v_mov_b64_e32 v[2:3], s[4:5]
	v_mov_b64_e32 v[24:25], s[24:25]
	s_and_b32 vcc_lo, exec_lo, s15
	s_mov_b32 s36, -1
	s_delay_alu instid0(VALU_DEP_2) | instskip(NEXT) | instid1(VALU_DEP_1)
	v_pk_mul_f32 v[2:3], v[42:43], v[2:3] op_sel_hi:[0,1]
	v_pk_fma_f32 v[26:27], v[40:41], v[24:25], v[2:3] op_sel_hi:[0,1,1]
	v_pk_fma_f32 v[2:3], v[40:41], v[24:25], v[2:3] neg_lo:[0,0,1] neg_hi:[0,0,1]
	v_lshl_add_u64 v[24:25], v[8:9], 3, v[0:1]
	s_delay_alu instid0(VALU_DEP_3)
	v_mov_b32_e32 v3, v27
	s_cbranch_vccz .LBB232_21
; %bb.20:                               ;   in Loop: Header=BB232_6 Depth=1
	global_load_b64 v[26:27], v[24:25], off
	v_mov_b64_e32 v[40:41], s[6:7]
	v_mov_b64_e32 v[42:43], s[2:3]
	s_mov_b32 s36, 0
	s_wait_loadcnt 0x0
	s_delay_alu instid0(VALU_DEP_2) | instskip(NEXT) | instid1(VALU_DEP_1)
	v_pk_mul_f32 v[40:41], v[26:27], v[40:41]
	v_pk_fma_f32 v[44:45], v[26:27], v[42:43], v[40:41] op_sel:[0,0,1] op_sel_hi:[1,1,0]
	v_pk_fma_f32 v[26:27], v[26:27], v[42:43], v[40:41] op_sel:[0,0,1] op_sel_hi:[1,1,0] neg_lo:[0,0,1] neg_hi:[0,0,1]
	s_delay_alu instid0(VALU_DEP_2) | instskip(NEXT) | instid1(VALU_DEP_1)
	v_mov_b32_e32 v27, v45
	v_pk_add_f32 v[26:27], v[2:3], v[26:27]
	global_store_b64 v[24:25], v[26:27], off
.LBB232_21:                             ;   in Loop: Header=BB232_6 Depth=1
	s_and_not1_b32 vcc_lo, exec_lo, s36
	s_cbranch_vccnz .LBB232_23
; %bb.22:                               ;   in Loop: Header=BB232_6 Depth=1
	global_store_b64 v[24:25], v[2:3], off
.LBB232_23:                             ;   in Loop: Header=BB232_6 Depth=1
	s_wait_xcnt 0x0
	s_or_b32 exec_lo, exec_lo, s35
	s_and_saveexec_b32 s35, s19
	s_cbranch_execz .LBB232_28
; %bb.24:                               ;   in Loop: Header=BB232_6 Depth=1
	v_mov_b64_e32 v[2:3], s[4:5]
	v_mov_b64_e32 v[24:25], s[24:25]
	v_lshl_add_u64 v[0:1], v[10:11], 3, v[0:1]
	s_and_not1_b32 vcc_lo, exec_lo, s15
	s_mov_b32 s36, -1
	s_delay_alu instid0(VALU_DEP_3) | instskip(NEXT) | instid1(VALU_DEP_1)
	v_pk_mul_f32 v[2:3], v[38:39], v[2:3] op_sel_hi:[0,1]
	v_pk_fma_f32 v[26:27], v[36:37], v[24:25], v[2:3] op_sel_hi:[0,1,1]
	v_pk_fma_f32 v[2:3], v[36:37], v[24:25], v[2:3] neg_lo:[0,0,1] neg_hi:[0,0,1]
	s_delay_alu instid0(VALU_DEP_2)
	v_mov_b32_e32 v3, v27
	s_cbranch_vccnz .LBB232_26
; %bb.25:                               ;   in Loop: Header=BB232_6 Depth=1
	global_load_b64 v[24:25], v[0:1], off
	v_mov_b64_e32 v[26:27], s[6:7]
	v_mov_b64_e32 v[36:37], s[2:3]
	s_mov_b32 s36, 0
	s_wait_loadcnt 0x0
	s_delay_alu instid0(VALU_DEP_2) | instskip(NEXT) | instid1(VALU_DEP_1)
	v_pk_mul_f32 v[26:27], v[24:25], v[26:27]
	v_pk_fma_f32 v[38:39], v[24:25], v[36:37], v[26:27] op_sel:[0,0,1] op_sel_hi:[1,1,0]
	v_pk_fma_f32 v[24:25], v[24:25], v[36:37], v[26:27] op_sel:[0,0,1] op_sel_hi:[1,1,0] neg_lo:[0,0,1] neg_hi:[0,0,1]
	s_delay_alu instid0(VALU_DEP_2) | instskip(NEXT) | instid1(VALU_DEP_1)
	v_mov_b32_e32 v25, v39
	v_pk_add_f32 v[24:25], v[2:3], v[24:25]
	global_store_b64 v[0:1], v[24:25], off
.LBB232_26:                             ;   in Loop: Header=BB232_6 Depth=1
	s_and_not1_b32 vcc_lo, exec_lo, s36
	s_cbranch_vccnz .LBB232_28
; %bb.27:                               ;   in Loop: Header=BB232_6 Depth=1
	global_store_b64 v[0:1], v[2:3], off
.LBB232_28:                             ;   in Loop: Header=BB232_6 Depth=1
	s_wait_xcnt 0x0
	s_or_b32 exec_lo, exec_lo, s35
	v_lshl_add_u64 v[0:1], v[14:15], 3, s[12:13]
	s_and_saveexec_b32 s12, s28
	s_cbranch_execz .LBB232_33
; %bb.29:                               ;   in Loop: Header=BB232_6 Depth=1
	v_mov_b64_e32 v[2:3], s[4:5]
	v_mov_b64_e32 v[24:25], s[24:25]
	s_and_not1_b32 vcc_lo, exec_lo, s15
	s_mov_b32 s13, -1
	s_delay_alu instid0(VALU_DEP_2) | instskip(NEXT) | instid1(VALU_DEP_1)
	v_pk_mul_f32 v[2:3], v[34:35], v[2:3] op_sel_hi:[0,1]
	v_pk_fma_f32 v[26:27], v[32:33], v[24:25], v[2:3] op_sel_hi:[0,1,1]
	v_pk_fma_f32 v[2:3], v[32:33], v[24:25], v[2:3] neg_lo:[0,0,1] neg_hi:[0,0,1]
	v_lshl_add_u64 v[24:25], v[8:9], 3, v[0:1]
	s_delay_alu instid0(VALU_DEP_3)
	v_mov_b32_e32 v3, v27
	s_cbranch_vccnz .LBB232_31
; %bb.30:                               ;   in Loop: Header=BB232_6 Depth=1
	global_load_b64 v[26:27], v[24:25], off
	v_mov_b64_e32 v[32:33], s[6:7]
	v_mov_b64_e32 v[34:35], s[2:3]
	s_mov_b32 s13, 0
	s_wait_loadcnt 0x0
	s_delay_alu instid0(VALU_DEP_2) | instskip(NEXT) | instid1(VALU_DEP_1)
	v_pk_mul_f32 v[32:33], v[26:27], v[32:33]
	v_pk_fma_f32 v[36:37], v[26:27], v[34:35], v[32:33] op_sel:[0,0,1] op_sel_hi:[1,1,0]
	v_pk_fma_f32 v[26:27], v[26:27], v[34:35], v[32:33] op_sel:[0,0,1] op_sel_hi:[1,1,0] neg_lo:[0,0,1] neg_hi:[0,0,1]
	s_delay_alu instid0(VALU_DEP_2) | instskip(NEXT) | instid1(VALU_DEP_1)
	v_mov_b32_e32 v27, v37
	v_pk_add_f32 v[26:27], v[2:3], v[26:27]
	global_store_b64 v[24:25], v[26:27], off
.LBB232_31:                             ;   in Loop: Header=BB232_6 Depth=1
	s_and_not1_b32 vcc_lo, exec_lo, s13
	s_cbranch_vccnz .LBB232_33
; %bb.32:                               ;   in Loop: Header=BB232_6 Depth=1
	global_store_b64 v[24:25], v[2:3], off
.LBB232_33:                             ;   in Loop: Header=BB232_6 Depth=1
	s_wait_xcnt 0x0
	s_or_b32 exec_lo, exec_lo, s12
	s_and_saveexec_b32 s12, s29
	s_cbranch_execz .LBB232_5
; %bb.34:                               ;   in Loop: Header=BB232_6 Depth=1
	v_mov_b64_e32 v[2:3], s[4:5]
	v_mov_b64_e32 v[24:25], s[24:25]
	v_lshl_add_u64 v[0:1], v[10:11], 3, v[0:1]
	s_and_not1_b32 vcc_lo, exec_lo, s15
	s_mov_b32 s13, -1
	s_delay_alu instid0(VALU_DEP_3) | instskip(NEXT) | instid1(VALU_DEP_1)
	v_pk_mul_f32 v[2:3], v[30:31], v[2:3] op_sel_hi:[0,1]
	v_pk_fma_f32 v[26:27], v[28:29], v[24:25], v[2:3] op_sel_hi:[0,1,1]
	v_pk_fma_f32 v[2:3], v[28:29], v[24:25], v[2:3] neg_lo:[0,0,1] neg_hi:[0,0,1]
	s_delay_alu instid0(VALU_DEP_2)
	v_mov_b32_e32 v3, v27
	s_cbranch_vccnz .LBB232_36
; %bb.35:                               ;   in Loop: Header=BB232_6 Depth=1
	global_load_b64 v[24:25], v[0:1], off
	v_mov_b64_e32 v[26:27], s[6:7]
	v_mov_b64_e32 v[32:33], s[2:3]
	s_mov_b32 s13, 0
	s_wait_loadcnt 0x0
	s_delay_alu instid0(VALU_DEP_2) | instskip(NEXT) | instid1(VALU_DEP_1)
	v_pk_mul_f32 v[26:27], v[24:25], v[26:27]
	v_pk_fma_f32 v[34:35], v[24:25], v[32:33], v[26:27] op_sel:[0,0,1] op_sel_hi:[1,1,0]
	v_pk_fma_f32 v[24:25], v[24:25], v[32:33], v[26:27] op_sel:[0,0,1] op_sel_hi:[1,1,0] neg_lo:[0,0,1] neg_hi:[0,0,1]
	s_delay_alu instid0(VALU_DEP_2) | instskip(NEXT) | instid1(VALU_DEP_1)
	v_mov_b32_e32 v25, v35
	v_pk_add_f32 v[24:25], v[2:3], v[24:25]
	global_store_b64 v[0:1], v[24:25], off
.LBB232_36:                             ;   in Loop: Header=BB232_6 Depth=1
	s_and_not1_b32 vcc_lo, exec_lo, s13
	s_cbranch_vccnz .LBB232_5
; %bb.37:                               ;   in Loop: Header=BB232_6 Depth=1
	global_store_b64 v[0:1], v[2:3], off
	s_branch .LBB232_5
.LBB232_38:
	s_endpgm
	.section	.rodata,"a",@progbits
	.p2align	6, 0x0
	.amdhsa_kernel _ZL29rocblas_internal_gemmt_kernelIlLi16ELi32ELi8ELc67ELc84ELc76ELb1ELb0E19rocblas_complex_numIfEPKS1_S3_PS1_EviT_T9_T10_S5_lS7_S5_lS6_T11_S5_li
		.amdhsa_group_segment_fixed_size 4096
		.amdhsa_private_segment_fixed_size 0
		.amdhsa_kernarg_size 108
		.amdhsa_user_sgpr_count 2
		.amdhsa_user_sgpr_dispatch_ptr 0
		.amdhsa_user_sgpr_queue_ptr 0
		.amdhsa_user_sgpr_kernarg_segment_ptr 1
		.amdhsa_user_sgpr_dispatch_id 0
		.amdhsa_user_sgpr_kernarg_preload_length 0
		.amdhsa_user_sgpr_kernarg_preload_offset 0
		.amdhsa_user_sgpr_private_segment_size 0
		.amdhsa_wavefront_size32 1
		.amdhsa_uses_dynamic_stack 0
		.amdhsa_enable_private_segment 0
		.amdhsa_system_sgpr_workgroup_id_x 1
		.amdhsa_system_sgpr_workgroup_id_y 1
		.amdhsa_system_sgpr_workgroup_id_z 1
		.amdhsa_system_sgpr_workgroup_info 0
		.amdhsa_system_vgpr_workitem_id 1
		.amdhsa_next_free_vgpr 60
		.amdhsa_next_free_sgpr 39
		.amdhsa_named_barrier_count 0
		.amdhsa_reserve_vcc 1
		.amdhsa_float_round_mode_32 0
		.amdhsa_float_round_mode_16_64 0
		.amdhsa_float_denorm_mode_32 3
		.amdhsa_float_denorm_mode_16_64 3
		.amdhsa_fp16_overflow 0
		.amdhsa_memory_ordered 1
		.amdhsa_forward_progress 1
		.amdhsa_inst_pref_size 26
		.amdhsa_round_robin_scheduling 0
		.amdhsa_exception_fp_ieee_invalid_op 0
		.amdhsa_exception_fp_denorm_src 0
		.amdhsa_exception_fp_ieee_div_zero 0
		.amdhsa_exception_fp_ieee_overflow 0
		.amdhsa_exception_fp_ieee_underflow 0
		.amdhsa_exception_fp_ieee_inexact 0
		.amdhsa_exception_int_div_zero 0
	.end_amdhsa_kernel
	.section	.text._ZL29rocblas_internal_gemmt_kernelIlLi16ELi32ELi8ELc67ELc84ELc76ELb1ELb0E19rocblas_complex_numIfEPKS1_S3_PS1_EviT_T9_T10_S5_lS7_S5_lS6_T11_S5_li,"axG",@progbits,_ZL29rocblas_internal_gemmt_kernelIlLi16ELi32ELi8ELc67ELc84ELc76ELb1ELb0E19rocblas_complex_numIfEPKS1_S3_PS1_EviT_T9_T10_S5_lS7_S5_lS6_T11_S5_li,comdat
.Lfunc_end232:
	.size	_ZL29rocblas_internal_gemmt_kernelIlLi16ELi32ELi8ELc67ELc84ELc76ELb1ELb0E19rocblas_complex_numIfEPKS1_S3_PS1_EviT_T9_T10_S5_lS7_S5_lS6_T11_S5_li, .Lfunc_end232-_ZL29rocblas_internal_gemmt_kernelIlLi16ELi32ELi8ELc67ELc84ELc76ELb1ELb0E19rocblas_complex_numIfEPKS1_S3_PS1_EviT_T9_T10_S5_lS7_S5_lS6_T11_S5_li
                                        ; -- End function
	.set _ZL29rocblas_internal_gemmt_kernelIlLi16ELi32ELi8ELc67ELc84ELc76ELb1ELb0E19rocblas_complex_numIfEPKS1_S3_PS1_EviT_T9_T10_S5_lS7_S5_lS6_T11_S5_li.num_vgpr, 60
	.set _ZL29rocblas_internal_gemmt_kernelIlLi16ELi32ELi8ELc67ELc84ELc76ELb1ELb0E19rocblas_complex_numIfEPKS1_S3_PS1_EviT_T9_T10_S5_lS7_S5_lS6_T11_S5_li.num_agpr, 0
	.set _ZL29rocblas_internal_gemmt_kernelIlLi16ELi32ELi8ELc67ELc84ELc76ELb1ELb0E19rocblas_complex_numIfEPKS1_S3_PS1_EviT_T9_T10_S5_lS7_S5_lS6_T11_S5_li.numbered_sgpr, 39
	.set _ZL29rocblas_internal_gemmt_kernelIlLi16ELi32ELi8ELc67ELc84ELc76ELb1ELb0E19rocblas_complex_numIfEPKS1_S3_PS1_EviT_T9_T10_S5_lS7_S5_lS6_T11_S5_li.num_named_barrier, 0
	.set _ZL29rocblas_internal_gemmt_kernelIlLi16ELi32ELi8ELc67ELc84ELc76ELb1ELb0E19rocblas_complex_numIfEPKS1_S3_PS1_EviT_T9_T10_S5_lS7_S5_lS6_T11_S5_li.private_seg_size, 0
	.set _ZL29rocblas_internal_gemmt_kernelIlLi16ELi32ELi8ELc67ELc84ELc76ELb1ELb0E19rocblas_complex_numIfEPKS1_S3_PS1_EviT_T9_T10_S5_lS7_S5_lS6_T11_S5_li.uses_vcc, 1
	.set _ZL29rocblas_internal_gemmt_kernelIlLi16ELi32ELi8ELc67ELc84ELc76ELb1ELb0E19rocblas_complex_numIfEPKS1_S3_PS1_EviT_T9_T10_S5_lS7_S5_lS6_T11_S5_li.uses_flat_scratch, 0
	.set _ZL29rocblas_internal_gemmt_kernelIlLi16ELi32ELi8ELc67ELc84ELc76ELb1ELb0E19rocblas_complex_numIfEPKS1_S3_PS1_EviT_T9_T10_S5_lS7_S5_lS6_T11_S5_li.has_dyn_sized_stack, 0
	.set _ZL29rocblas_internal_gemmt_kernelIlLi16ELi32ELi8ELc67ELc84ELc76ELb1ELb0E19rocblas_complex_numIfEPKS1_S3_PS1_EviT_T9_T10_S5_lS7_S5_lS6_T11_S5_li.has_recursion, 0
	.set _ZL29rocblas_internal_gemmt_kernelIlLi16ELi32ELi8ELc67ELc84ELc76ELb1ELb0E19rocblas_complex_numIfEPKS1_S3_PS1_EviT_T9_T10_S5_lS7_S5_lS6_T11_S5_li.has_indirect_call, 0
	.section	.AMDGPU.csdata,"",@progbits
; Kernel info:
; codeLenInByte = 3220
; TotalNumSgprs: 41
; NumVgprs: 60
; ScratchSize: 0
; MemoryBound: 0
; FloatMode: 240
; IeeeMode: 1
; LDSByteSize: 4096 bytes/workgroup (compile time only)
; SGPRBlocks: 0
; VGPRBlocks: 3
; NumSGPRsForWavesPerEU: 41
; NumVGPRsForWavesPerEU: 60
; NamedBarCnt: 0
; Occupancy: 16
; WaveLimiterHint : 0
; COMPUTE_PGM_RSRC2:SCRATCH_EN: 0
; COMPUTE_PGM_RSRC2:USER_SGPR: 2
; COMPUTE_PGM_RSRC2:TRAP_HANDLER: 0
; COMPUTE_PGM_RSRC2:TGID_X_EN: 1
; COMPUTE_PGM_RSRC2:TGID_Y_EN: 1
; COMPUTE_PGM_RSRC2:TGID_Z_EN: 1
; COMPUTE_PGM_RSRC2:TIDIG_COMP_CNT: 1
	.section	.text._ZL29rocblas_internal_gemmt_kernelIlLi16ELi32ELi8ELc67ELc67ELc76ELb1ELb1E19rocblas_complex_numIfEPKS1_S3_PS1_EviT_T9_T10_S5_lS7_S5_lS6_T11_S5_li,"axG",@progbits,_ZL29rocblas_internal_gemmt_kernelIlLi16ELi32ELi8ELc67ELc67ELc76ELb1ELb1E19rocblas_complex_numIfEPKS1_S3_PS1_EviT_T9_T10_S5_lS7_S5_lS6_T11_S5_li,comdat
	.globl	_ZL29rocblas_internal_gemmt_kernelIlLi16ELi32ELi8ELc67ELc67ELc76ELb1ELb1E19rocblas_complex_numIfEPKS1_S3_PS1_EviT_T9_T10_S5_lS7_S5_lS6_T11_S5_li ; -- Begin function _ZL29rocblas_internal_gemmt_kernelIlLi16ELi32ELi8ELc67ELc67ELc76ELb1ELb1E19rocblas_complex_numIfEPKS1_S3_PS1_EviT_T9_T10_S5_lS7_S5_lS6_T11_S5_li
	.p2align	8
	.type	_ZL29rocblas_internal_gemmt_kernelIlLi16ELi32ELi8ELc67ELc67ELc76ELb1ELb1E19rocblas_complex_numIfEPKS1_S3_PS1_EviT_T9_T10_S5_lS7_S5_lS6_T11_S5_li,@function
_ZL29rocblas_internal_gemmt_kernelIlLi16ELi32ELi8ELc67ELc67ELc76ELb1ELb1E19rocblas_complex_numIfEPKS1_S3_PS1_EviT_T9_T10_S5_lS7_S5_lS6_T11_S5_li: ; @_ZL29rocblas_internal_gemmt_kernelIlLi16ELi32ELi8ELc67ELc67ELc76ELb1ELb1E19rocblas_complex_numIfEPKS1_S3_PS1_EviT_T9_T10_S5_lS7_S5_lS6_T11_S5_li
; %bb.0:
	s_load_b256 s[24:31], s[0:1], 0x48
	s_wait_kmcnt 0x0
	s_load_b64 s[6:7], s[24:25], 0x0
	s_load_b512 s[8:23], s[0:1], 0x8
	s_wait_kmcnt 0x0
	s_cmp_neq_f32 s6, 1.0
	s_load_b64 s[24:25], s[10:11], 0x0
	s_cselect_b32 s3, -1, 0
	s_and_b32 s4, s7, 0x7fffffff
	s_delay_alu instid0(SALU_CYCLE_1) | instskip(SKIP_3) | instid1(SALU_CYCLE_1)
	s_cmp_eq_u32 s4, 0
	s_cselect_b32 s2, -1, 0
	s_cmp_lg_u32 s4, 0
	s_cselect_b32 s4, -1, 0
	s_or_b32 s3, s3, s4
	s_delay_alu instid0(SALU_CYCLE_1)
	s_and_b32 vcc_lo, exec_lo, s3
	s_cbranch_vccnz .LBB233_2
; %bb.1:
	s_cmp_lg_u64 s[8:9], 0
	s_cselect_b32 s3, -1, 0
	s_wait_kmcnt 0x0
	s_cmp_neq_f32 s24, 0
	s_cselect_b32 s4, -1, 0
	s_cmp_neq_f32 s25, 0
	s_cselect_b32 s5, -1, 0
	s_delay_alu instid0(SALU_CYCLE_1) | instskip(NEXT) | instid1(SALU_CYCLE_1)
	s_or_b32 s4, s4, s5
	s_and_b32 s3, s3, s4
.LBB233_2:
	s_delay_alu instid0(SALU_CYCLE_1)
	s_and_not1_b32 vcc_lo, exec_lo, s3
	s_cbranch_vccnz .LBB233_40
; %bb.3:
	s_load_b32 s33, s[0:1], 0x68
	s_bfe_u32 s3, ttmp6, 0x40014
	s_lshr_b32 s4, ttmp7, 16
	s_add_co_i32 s3, s3, 1
	s_wait_xcnt 0x0
	s_bfe_u32 s10, ttmp6, 0x40008
	s_mul_i32 s5, s4, s3
	s_getreg_b32 s3, hwreg(HW_REG_IB_STS2, 6, 4)
	s_add_co_i32 s10, s10, s5
	s_cmp_eq_u32 s3, 0
	s_mov_b32 s11, 0
	s_cselect_b32 s10, s4, s10
	s_wait_kmcnt 0x0
	s_cmp_ge_u32 s10, s33
	s_cbranch_scc1 .LBB233_40
; %bb.4:
	v_and_b32_e32 v7, 0x3ff, v0
	v_bfe_u32 v9, v0, 10, 10
	s_bfe_u32 s4, ttmp6, 0x4000c
	s_bfe_u32 s34, ttmp6, 0x40010
	s_add_co_i32 s4, s4, 1
	s_and_b32 s35, ttmp7, 0xffff
	s_add_co_i32 s34, s34, 1
	v_lshl_add_u32 v8, v9, 4, v7
	s_and_b32 s5, ttmp6, 15
	s_mul_i32 s4, ttmp9, s4
	s_mul_i32 s34, s35, s34
	s_bfe_u32 s36, ttmp6, 0x40004
	s_add_co_i32 s5, s5, s4
	s_add_co_i32 s36, s36, s34
	s_cmp_eq_u32 s3, 0
	v_and_b32_e32 v10, 31, v8
	s_cselect_b32 s3, ttmp9, s5
	s_cselect_b32 s4, s35, s36
	s_lshl_b32 s3, s3, 5
	v_dual_lshlrev_b32 v5, 3, v7 :: v_dual_bitop2_b32 v4, 7, v0 bitop3:0x40
	v_or_b32_e32 v2, s3, v10
	s_load_b32 s5, s[0:1], 0x0
	s_wait_xcnt 0x0
	s_lshl_b32 s0, s4, 5
	v_lshlrev_b32_e32 v11, 3, v4
	v_dual_lshrrev_b32 v6, 5, v8 :: v_dual_ashrrev_i32 v3, 31, v2
	v_add_nc_u32_e32 v20, s0, v9
	s_cmp_neq_f32 s24, 0
	v_cmp_gt_i64_e64 s34, s[8:9], 0
	v_lshl_add_u32 v31, v9, 6, 0x800
	v_mul_u64_e32 v[0:1], s[14:15], v[2:3]
	v_dual_lshrrev_b32 v3, 3, v8 :: v_dual_add_nc_u32 v8, s3, v7
	v_dual_ashrrev_i32 v21, 31, v20 :: v_dual_add_nc_u32 v22, 16, v20
	s_delay_alu instid0(VALU_DEP_2) | instskip(NEXT) | instid1(VALU_DEP_3)
	v_dual_lshlrev_b32 v7, 3, v10 :: v_dual_add_nc_u32 v16, s0, v3
	v_add_nc_u32_e32 v10, 16, v8
	s_delay_alu instid0(VALU_DEP_3) | instskip(NEXT) | instid1(VALU_DEP_4)
	v_mul_u64_e32 v[12:13], s[28:29], v[20:21]
	v_ashrrev_i32_e32 v23, 31, v22
	s_cselect_b32 s1, -1, 0
	s_cmp_neq_f32 s25, 0
	v_cmp_le_i32_e32 vcc_lo, v20, v8
	v_ashrrev_i32_e32 v17, 31, v16
	v_mul_u64_e32 v[14:15], s[28:29], v[22:23]
	s_cselect_b32 s3, -1, 0
	v_lshl_or_b32 v3, v3, 6, v11
	s_or_b32 s35, s1, s3
	s_cmp_neq_f32 s6, 0
	s_wait_kmcnt 0x0
	v_cmp_gt_i32_e64 s0, s5, v2
	v_cmp_le_i32_e64 s14, s5, v2
	v_cmp_gt_i32_e64 s1, s5, v16
	s_cselect_b32 s3, -1, 0
	s_xor_b32 s4, s2, -1
	v_cmp_gt_i32_e64 s2, s5, v8
	s_or_b32 s15, s3, s4
	v_cmp_le_i32_e64 s3, v20, v10
	v_cmp_gt_i32_e64 s4, s5, v10
	v_cmp_le_i32_e64 s5, v22, v10
	v_ashrrev_i32_e32 v11, 31, v10
	v_lshl_add_u64 v[16:17], v[16:17], 3, s[18:19]
	s_and_b32 s18, vcc_lo, s2
	v_cmp_le_i32_e32 vcc_lo, v22, v8
	v_lshl_or_b32 v7, v6, 8, v7
	v_add_nc_u32_e32 v29, 0x800, v3
	v_lshl_add_u64 v[18:19], v[0:1], 3, s[12:13]
	v_dual_ashrrev_i32 v9, 31, v8 :: v_dual_mov_b32 v21, 0
	s_and_b32 s19, s3, s4
	s_and_b32 s28, vcc_lo, s2
	s_and_b32 s29, s5, s4
	s_mov_b32 s2, s6
	s_mov_b32 s3, s6
	;; [unrolled: 1-line block ×3, first 2 shown]
	s_and_b32 s34, s35, s34
	s_mov_b32 s4, s25
	s_mov_b32 s5, s24
	s_xor_b32 s1, s1, -1
                                        ; implicit-def: $vgpr22_vgpr23
	s_branch .LBB233_6
.LBB233_5:                              ;   in Loop: Header=BB233_6 Depth=1
	s_wait_xcnt 0x0
	s_or_b32 exec_lo, exec_lo, s12
	s_add_co_i32 s10, s10, 0x10000
	s_delay_alu instid0(SALU_CYCLE_1)
	s_cmp_lt_u32 s10, s33
	s_cbranch_scc0 .LBB233_40
.LBB233_6:                              ; =>This Loop Header: Depth=1
                                        ;     Child Loop BB233_9 Depth 2
	s_and_not1_b32 vcc_lo, exec_lo, s34
	s_cbranch_vccnz .LBB233_19
; %bb.7:                                ;   in Loop: Header=BB233_6 Depth=1
	s_mul_u64 s[12:13], s[16:17], s[10:11]
	s_mul_u64 s[36:37], s[22:23], s[10:11]
	v_lshl_add_u64 v[24:25], s[12:13], 3, v[18:19]
	v_lshl_add_u64 v[26:27], s[36:37], 3, v[16:17]
	v_dual_mov_b32 v30, 0 :: v_dual_mov_b32 v28, 0
	v_dual_mov_b32 v34, 0 :: v_dual_mov_b32 v32, 0
	;; [unrolled: 1-line block ×4, first 2 shown]
	s_mov_b64 s[12:13], 0
	s_branch .LBB233_9
.LBB233_8:                              ;   in Loop: Header=BB233_9 Depth=2
	s_or_b32 exec_lo, exec_lo, s35
	ds_store_b32 v29, v0 offset:4
	s_wait_dscnt 0x0
	s_barrier_signal -1
	s_barrier_wait -1
	ds_load_b128 v[44:47], v31
	ds_load_b128 v[48:51], v31 offset:16
	ds_load_b128 v[52:55], v31 offset:32
	ds_load_b128 v[0:3], v31 offset:48
	ds_load_2addr_b64 v[56:59], v5 offset1:16
	s_add_nc_u64 s[12:13], s[12:13], 8
	s_delay_alu instid0(SALU_CYCLE_1) | instskip(SKIP_3) | instid1(VALU_DEP_1)
	v_cmp_gt_i64_e64 s35, s[8:9], s[12:13]
	s_and_b32 vcc_lo, exec_lo, s35
	s_wait_dscnt 0x0
	v_dual_mul_f32 v20, v45, v57 :: v_dual_mul_f32 v33, v44, v57
	v_dual_mul_f32 v35, v44, v59 :: v_dual_fma_f32 v20, v44, v56, -v20
	s_delay_alu instid0(VALU_DEP_1) | instskip(NEXT) | instid1(VALU_DEP_1)
	v_dual_fmac_f32 v33, v45, v56 :: v_dual_fmac_f32 v35, v45, v58
	v_dual_add_f32 v20, v40, v20 :: v_dual_add_f32 v40, v42, v33
	v_mul_f32_e32 v33, v45, v59
	s_delay_alu instid0(VALU_DEP_1) | instskip(NEXT) | instid1(VALU_DEP_1)
	v_dual_add_f32 v42, v38, v35 :: v_dual_fma_f32 v33, v44, v58, -v33
	v_add_f32_e32 v41, v36, v33
	ds_load_b128 v[36:39], v31 offset:1024
	s_wait_dscnt 0x0
	v_dual_mul_f32 v33, v37, v57 :: v_dual_mul_f32 v35, v36, v57
	s_delay_alu instid0(VALU_DEP_1) | instskip(NEXT) | instid1(VALU_DEP_1)
	v_dual_fma_f32 v33, v36, v56, -v33 :: v_dual_fmac_f32 v35, v37, v56
	v_dual_add_f32 v43, v32, v33 :: v_dual_add_f32 v44, v34, v35
	v_dual_mul_f32 v32, v37, v59 :: v_dual_mul_f32 v33, v36, v59
	s_delay_alu instid0(VALU_DEP_1) | instskip(NEXT) | instid1(VALU_DEP_1)
	v_dual_fma_f32 v32, v36, v58, -v32 :: v_dual_fmac_f32 v33, v37, v58
	v_dual_add_f32 v28, v28, v32 :: v_dual_add_f32 v30, v30, v33
	ds_load_2addr_b64 v[32:35], v5 offset0:32 offset1:48
	s_wait_dscnt 0x0
	v_dual_mul_f32 v36, v47, v33 :: v_dual_mul_f32 v37, v46, v33
	s_delay_alu instid0(VALU_DEP_1) | instskip(NEXT) | instid1(VALU_DEP_1)
	v_dual_fma_f32 v36, v46, v32, -v36 :: v_dual_fmac_f32 v37, v47, v32
	v_add_f32_e32 v20, v20, v36
	s_delay_alu instid0(VALU_DEP_2) | instskip(NEXT) | instid1(VALU_DEP_1)
	v_dual_add_f32 v36, v40, v37 :: v_dual_mul_f32 v37, v47, v35
	v_dual_fma_f32 v37, v46, v34, -v37 :: v_dual_mul_f32 v40, v46, v35
	s_delay_alu instid0(VALU_DEP_1) | instskip(SKIP_1) | instid1(VALU_DEP_1)
	v_add_f32_e32 v37, v41, v37
	v_dual_mul_f32 v41, v39, v33 :: v_dual_mul_f32 v33, v38, v33
	v_dual_fmac_f32 v40, v47, v34 :: v_dual_fma_f32 v41, v38, v32, -v41
	s_delay_alu instid0(VALU_DEP_2) | instskip(NEXT) | instid1(VALU_DEP_2)
	v_dual_fmac_f32 v33, v39, v32 :: v_dual_mul_f32 v32, v39, v35
	v_dual_add_f32 v40, v42, v40 :: v_dual_add_f32 v41, v43, v41
	s_delay_alu instid0(VALU_DEP_2) | instskip(NEXT) | instid1(VALU_DEP_1)
	v_dual_add_f32 v42, v44, v33 :: v_dual_fma_f32 v32, v38, v34, -v32
	v_dual_mul_f32 v33, v38, v35 :: v_dual_add_f32 v28, v28, v32
	s_delay_alu instid0(VALU_DEP_1) | instskip(NEXT) | instid1(VALU_DEP_1)
	v_fmac_f32_e32 v33, v39, v34
	v_add_f32_e32 v30, v30, v33
	ds_load_2addr_b64 v[32:35], v5 offset0:64 offset1:80
	s_wait_dscnt 0x0
	v_dual_mul_f32 v38, v49, v33 :: v_dual_mul_f32 v39, v48, v33
	s_delay_alu instid0(VALU_DEP_1) | instskip(NEXT) | instid1(VALU_DEP_1)
	v_dual_fma_f32 v38, v48, v32, -v38 :: v_dual_fmac_f32 v39, v49, v32
	v_add_f32_e32 v20, v20, v38
	v_mul_f32_e32 v38, v48, v35
	s_delay_alu instid0(VALU_DEP_3) | instskip(SKIP_1) | instid1(VALU_DEP_1)
	v_add_f32_e32 v43, v36, v39
	v_mul_f32_e32 v36, v49, v35
	v_fma_f32 v36, v48, v34, -v36
	s_delay_alu instid0(VALU_DEP_1) | instskip(SKIP_1) | instid1(VALU_DEP_1)
	v_add_f32_e32 v44, v37, v36
	v_fmac_f32_e32 v38, v49, v34
	v_add_f32_e32 v40, v40, v38
	ds_load_b128 v[36:39], v31 offset:1040
	s_wait_dscnt 0x0
	v_dual_mul_f32 v45, v37, v33 :: v_dual_mul_f32 v33, v36, v33
	s_delay_alu instid0(VALU_DEP_1) | instskip(NEXT) | instid1(VALU_DEP_2)
	v_fma_f32 v45, v36, v32, -v45
	v_dual_fmac_f32 v33, v37, v32 :: v_dual_mul_f32 v32, v37, v35
	s_delay_alu instid0(VALU_DEP_2) | instskip(NEXT) | instid1(VALU_DEP_2)
	v_add_f32_e32 v41, v41, v45
	v_dual_add_f32 v42, v42, v33 :: v_dual_mul_f32 v33, v36, v35
	s_delay_alu instid0(VALU_DEP_1) | instskip(NEXT) | instid1(VALU_DEP_1)
	v_dual_fma_f32 v32, v36, v34, -v32 :: v_dual_fmac_f32 v33, v37, v34
	v_dual_add_f32 v28, v28, v32 :: v_dual_add_f32 v30, v30, v33
	ds_load_2addr_b64 v[32:35], v5 offset0:96 offset1:112
	s_wait_dscnt 0x0
	v_mul_f32_e32 v36, v51, v33
	s_delay_alu instid0(VALU_DEP_1) | instskip(NEXT) | instid1(VALU_DEP_1)
	v_dual_fma_f32 v36, v50, v32, -v36 :: v_dual_mul_f32 v37, v50, v33
	v_add_f32_e32 v20, v20, v36
	s_delay_alu instid0(VALU_DEP_2) | instskip(NEXT) | instid1(VALU_DEP_1)
	v_fmac_f32_e32 v37, v51, v32
	v_dual_add_f32 v36, v43, v37 :: v_dual_mul_f32 v43, v50, v35
	s_delay_alu instid0(VALU_DEP_1) | instskip(NEXT) | instid1(VALU_DEP_1)
	v_dual_mul_f32 v37, v51, v35 :: v_dual_fmac_f32 v43, v51, v34
	v_dual_fma_f32 v37, v50, v34, -v37 :: v_dual_add_f32 v40, v40, v43
	v_mul_f32_e32 v43, v39, v33
	s_delay_alu instid0(VALU_DEP_1) | instskip(NEXT) | instid1(VALU_DEP_1)
	v_dual_add_f32 v37, v44, v37 :: v_dual_fma_f32 v43, v38, v32, -v43
	v_dual_mul_f32 v33, v38, v33 :: v_dual_add_f32 v41, v41, v43
	s_delay_alu instid0(VALU_DEP_1) | instskip(NEXT) | instid1(VALU_DEP_1)
	v_dual_fmac_f32 v33, v39, v32 :: v_dual_mul_f32 v32, v39, v35
	v_add_f32_e32 v42, v42, v33
	s_delay_alu instid0(VALU_DEP_2) | instskip(NEXT) | instid1(VALU_DEP_1)
	v_dual_fma_f32 v32, v38, v34, -v32 :: v_dual_mul_f32 v33, v38, v35
	v_dual_fmac_f32 v33, v39, v34 :: v_dual_add_f32 v28, v28, v32
	s_delay_alu instid0(VALU_DEP_1) | instskip(SKIP_3) | instid1(VALU_DEP_1)
	v_add_f32_e32 v30, v30, v33
	ds_load_2addr_b64 v[32:35], v5 offset0:128 offset1:144
	s_wait_dscnt 0x0
	v_dual_mul_f32 v38, v53, v33 :: v_dual_mul_f32 v39, v52, v33
	v_dual_fma_f32 v38, v52, v32, -v38 :: v_dual_fmac_f32 v39, v53, v32
	s_delay_alu instid0(VALU_DEP_1) | instskip(SKIP_1) | instid1(VALU_DEP_3)
	v_add_f32_e32 v20, v20, v38
	v_mul_f32_e32 v38, v52, v35
	v_add_f32_e32 v43, v36, v39
	v_mul_f32_e32 v36, v53, v35
	s_delay_alu instid0(VALU_DEP_1) | instskip(NEXT) | instid1(VALU_DEP_1)
	v_fma_f32 v36, v52, v34, -v36
	v_add_f32_e32 v44, v37, v36
	v_fmac_f32_e32 v38, v53, v34
	s_delay_alu instid0(VALU_DEP_1) | instskip(SKIP_3) | instid1(VALU_DEP_1)
	v_add_f32_e32 v40, v40, v38
	ds_load_b128 v[36:39], v31 offset:1056
	s_wait_dscnt 0x0
	v_dual_mul_f32 v45, v37, v33 :: v_dual_mul_f32 v33, v36, v33
	v_fma_f32 v45, v36, v32, -v45
	s_delay_alu instid0(VALU_DEP_2) | instskip(NEXT) | instid1(VALU_DEP_2)
	v_dual_fmac_f32 v33, v37, v32 :: v_dual_mul_f32 v32, v37, v35
	v_add_f32_e32 v41, v41, v45
	s_delay_alu instid0(VALU_DEP_2) | instskip(NEXT) | instid1(VALU_DEP_1)
	v_dual_add_f32 v42, v42, v33 :: v_dual_mul_f32 v33, v36, v35
	v_dual_fma_f32 v32, v36, v34, -v32 :: v_dual_fmac_f32 v33, v37, v34
	s_delay_alu instid0(VALU_DEP_1) | instskip(SKIP_3) | instid1(VALU_DEP_1)
	v_dual_add_f32 v28, v28, v32 :: v_dual_add_f32 v30, v30, v33
	ds_load_2addr_b64 v[32:35], v5 offset0:160 offset1:176
	s_wait_dscnt 0x0
	v_mul_f32_e32 v36, v55, v33
	v_dual_fma_f32 v36, v54, v32, -v36 :: v_dual_mul_f32 v37, v54, v33
	s_delay_alu instid0(VALU_DEP_1) | instskip(NEXT) | instid1(VALU_DEP_2)
	v_add_f32_e32 v20, v20, v36
	v_fmac_f32_e32 v37, v55, v32
	s_delay_alu instid0(VALU_DEP_1) | instskip(NEXT) | instid1(VALU_DEP_1)
	v_dual_add_f32 v36, v43, v37 :: v_dual_mul_f32 v43, v54, v35
	v_dual_mul_f32 v37, v55, v35 :: v_dual_fmac_f32 v43, v55, v34
	s_delay_alu instid0(VALU_DEP_1) | instskip(SKIP_1) | instid1(VALU_DEP_1)
	v_dual_fma_f32 v37, v54, v34, -v37 :: v_dual_add_f32 v40, v40, v43
	v_mul_f32_e32 v43, v39, v33
	v_dual_add_f32 v37, v44, v37 :: v_dual_fma_f32 v43, v38, v32, -v43
	s_delay_alu instid0(VALU_DEP_1) | instskip(NEXT) | instid1(VALU_DEP_1)
	v_dual_mul_f32 v33, v38, v33 :: v_dual_add_f32 v41, v41, v43
	v_dual_fmac_f32 v33, v39, v32 :: v_dual_mul_f32 v32, v39, v35
	s_delay_alu instid0(VALU_DEP_1) | instskip(NEXT) | instid1(VALU_DEP_2)
	v_add_f32_e32 v46, v42, v33
	v_dual_fma_f32 v32, v38, v34, -v32 :: v_dual_mul_f32 v33, v38, v35
	ds_load_b128 v[42:45], v31 offset:1072
	v_dual_fmac_f32 v33, v39, v34 :: v_dual_add_f32 v28, v28, v32
	s_delay_alu instid0(VALU_DEP_1) | instskip(SKIP_3) | instid1(VALU_DEP_1)
	v_add_f32_e32 v30, v30, v33
	ds_load_2addr_b64 v[32:35], v5 offset0:192 offset1:208
	s_wait_dscnt 0x0
	v_dual_mul_f32 v38, v1, v33 :: v_dual_mul_f32 v39, v0, v33
	v_dual_fma_f32 v38, v0, v32, -v38 :: v_dual_fmac_f32 v39, v1, v32
	s_delay_alu instid0(VALU_DEP_1) | instskip(NEXT) | instid1(VALU_DEP_1)
	v_dual_add_f32 v20, v20, v38 :: v_dual_mul_f32 v38, v1, v35
	v_dual_fma_f32 v38, v0, v34, -v38 :: v_dual_mul_f32 v0, v0, v35
	s_delay_alu instid0(VALU_DEP_1) | instskip(NEXT) | instid1(VALU_DEP_2)
	v_dual_add_f32 v36, v36, v39 :: v_dual_fmac_f32 v0, v1, v34
	v_dual_add_f32 v1, v37, v38 :: v_dual_mul_f32 v37, v43, v33
	s_delay_alu instid0(VALU_DEP_2) | instskip(NEXT) | instid1(VALU_DEP_2)
	v_dual_mul_f32 v33, v42, v33 :: v_dual_add_f32 v0, v40, v0
	v_fma_f32 v37, v42, v32, -v37
	s_delay_alu instid0(VALU_DEP_1) | instskip(NEXT) | instid1(VALU_DEP_1)
	v_dual_fmac_f32 v33, v43, v32 :: v_dual_add_f32 v32, v41, v37
	v_dual_add_f32 v33, v46, v33 :: v_dual_mul_f32 v37, v43, v35
	ds_load_2addr_b64 v[46:49], v5 offset0:224 offset1:240
	v_mul_f32_e32 v35, v42, v35
	s_wait_dscnt 0x0
	s_barrier_signal -1
	v_fma_f32 v37, v42, v34, -v37
	s_barrier_wait -1
	v_fmac_f32_e32 v35, v43, v34
	s_delay_alu instid0(VALU_DEP_1) | instskip(SKIP_1) | instid1(VALU_DEP_1)
	v_dual_add_f32 v28, v28, v37 :: v_dual_add_f32 v30, v30, v35
	v_dual_mul_f32 v34, v3, v47 :: v_dual_mul_f32 v35, v2, v47
	v_dual_fma_f32 v34, v2, v46, -v34 :: v_dual_fmac_f32 v35, v3, v46
	s_delay_alu instid0(VALU_DEP_1) | instskip(NEXT) | instid1(VALU_DEP_1)
	v_dual_add_f32 v40, v20, v34 :: v_dual_mul_f32 v20, v3, v49
	v_dual_add_f32 v42, v36, v35 :: v_dual_fma_f32 v20, v2, v48, -v20
	s_delay_alu instid0(VALU_DEP_1) | instskip(NEXT) | instid1(VALU_DEP_1)
	v_dual_mul_f32 v2, v2, v49 :: v_dual_add_f32 v36, v1, v20
	v_dual_fmac_f32 v2, v3, v48 :: v_dual_mul_f32 v1, v44, v47
	s_delay_alu instid0(VALU_DEP_1) | instskip(NEXT) | instid1(VALU_DEP_2)
	v_fmac_f32_e32 v1, v45, v46
	v_dual_add_f32 v38, v0, v2 :: v_dual_mul_f32 v0, v45, v47
	s_delay_alu instid0(VALU_DEP_2) | instskip(NEXT) | instid1(VALU_DEP_2)
	v_add_f32_e32 v34, v33, v1
	v_dual_mul_f32 v1, v44, v49 :: v_dual_fma_f32 v0, v44, v46, -v0
	s_delay_alu instid0(VALU_DEP_1) | instskip(NEXT) | instid1(VALU_DEP_2)
	v_fmac_f32_e32 v1, v45, v48
	v_dual_add_f32 v32, v32, v0 :: v_dual_mul_f32 v0, v45, v49
	s_delay_alu instid0(VALU_DEP_1) | instskip(NEXT) | instid1(VALU_DEP_1)
	v_dual_add_f32 v30, v30, v1 :: v_dual_fma_f32 v0, v44, v48, -v0
	v_add_f32_e32 v28, v28, v0
	s_cbranch_vccz .LBB233_20
.LBB233_9:                              ;   Parent Loop BB233_6 Depth=1
                                        ; =>  This Inner Loop Header: Depth=2
	s_mov_b32 s35, 0
	s_mov_b32 s37, s14
	s_and_saveexec_b32 s36, s0
	s_cbranch_execnz .LBB233_17
; %bb.10:                               ;   in Loop: Header=BB233_9 Depth=2
	s_or_b32 exec_lo, exec_lo, s36
	s_and_saveexec_b32 s36, s37
	s_delay_alu instid0(SALU_CYCLE_1)
	s_xor_b32 s36, exec_lo, s36
	s_cbranch_execnz .LBB233_18
.LBB233_11:                             ;   in Loop: Header=BB233_9 Depth=2
	s_or_b32 exec_lo, exec_lo, s36
	v_mov_b32_e32 v0, 0
	s_and_saveexec_b32 s36, s35
	s_cbranch_execz .LBB233_13
.LBB233_12:                             ;   in Loop: Header=BB233_9 Depth=2
	v_lshl_add_u64 v[0:1], v[22:23], 3, v[24:25]
	global_load_b64 v[2:3], v[0:1], off
	s_wait_loadcnt 0x0
	s_wait_xcnt 0x0
	v_xor_b32_e32 v0, 0x80000000, v3
	ds_store_b32 v7, v2
.LBB233_13:                             ;   in Loop: Header=BB233_9 Depth=2
	s_or_b32 exec_lo, exec_lo, s36
	v_add_nc_u32_e32 v20, s12, v4
	ds_store_b32 v7, v0 offset:4
	v_cmp_le_u64_e32 vcc_lo, s[8:9], v[20:21]
	s_or_b32 s35, vcc_lo, s1
	s_delay_alu instid0(SALU_CYCLE_1) | instskip(NEXT) | instid1(SALU_CYCLE_1)
	s_and_saveexec_b32 s36, s35
	s_xor_b32 s35, exec_lo, s36
; %bb.14:                               ;   in Loop: Header=BB233_9 Depth=2
	ds_store_b32 v29, v21
; %bb.15:                               ;   in Loop: Header=BB233_9 Depth=2
	s_or_saveexec_b32 s35, s35
	v_mov_b32_e32 v0, 0
	s_xor_b32 exec_lo, exec_lo, s35
	s_cbranch_execz .LBB233_8
; %bb.16:                               ;   in Loop: Header=BB233_9 Depth=2
	v_mul_u64_e32 v[0:1], s[20:21], v[20:21]
	s_delay_alu instid0(VALU_DEP_1)
	v_lshl_add_u64 v[0:1], v[0:1], 3, v[26:27]
	global_load_b64 v[2:3], v[0:1], off
	s_wait_loadcnt 0x0
	s_wait_xcnt 0x0
	v_xor_b32_e32 v0, 0x80000000, v3
	ds_store_b32 v29, v2
	s_branch .LBB233_8
.LBB233_17:                             ;   in Loop: Header=BB233_9 Depth=2
	v_add_nc_u32_e32 v20, s12, v6
	s_and_not1_b32 s37, s14, exec_lo
	s_mov_b32 s35, exec_lo
	s_delay_alu instid0(VALU_DEP_1) | instskip(SKIP_2) | instid1(SALU_CYCLE_1)
	v_cmp_le_u64_e32 vcc_lo, s[8:9], v[20:21]
	v_mov_b64_e32 v[22:23], v[20:21]
	s_and_b32 s38, vcc_lo, exec_lo
	s_or_b32 s37, s37, s38
	s_or_b32 exec_lo, exec_lo, s36
	s_and_saveexec_b32 s36, s37
	s_delay_alu instid0(SALU_CYCLE_1)
	s_xor_b32 s36, exec_lo, s36
	s_cbranch_execz .LBB233_11
.LBB233_18:                             ;   in Loop: Header=BB233_9 Depth=2
	s_and_not1_b32 s35, s35, exec_lo
	ds_store_b32 v7, v21
	s_or_b32 exec_lo, exec_lo, s36
	v_mov_b32_e32 v0, 0
	s_and_saveexec_b32 s36, s35
	s_cbranch_execnz .LBB233_12
	s_branch .LBB233_13
.LBB233_19:                             ;   in Loop: Header=BB233_6 Depth=1
	v_dual_mov_b32 v40, v21 :: v_dual_mov_b32 v42, v21
	v_dual_mov_b32 v36, v21 :: v_dual_mov_b32 v38, v21
	;; [unrolled: 1-line block ×4, first 2 shown]
.LBB233_20:                             ;   in Loop: Header=BB233_6 Depth=1
	s_mul_u64 s[12:13], s[30:31], s[10:11]
	s_delay_alu instid0(SALU_CYCLE_1) | instskip(NEXT) | instid1(SALU_CYCLE_1)
	s_lshl_b64 s[12:13], s[12:13], 3
	s_add_nc_u64 s[12:13], s[26:27], s[12:13]
	s_delay_alu instid0(SALU_CYCLE_1)
	v_lshl_add_u64 v[0:1], v[12:13], 3, s[12:13]
	s_and_saveexec_b32 s35, s18
	s_cbranch_execz .LBB233_25
; %bb.21:                               ;   in Loop: Header=BB233_6 Depth=1
	v_mov_b64_e32 v[2:3], s[4:5]
	v_mov_b64_e32 v[24:25], s[24:25]
	s_and_b32 vcc_lo, exec_lo, s15
	s_mov_b32 s36, -1
	s_delay_alu instid0(VALU_DEP_2) | instskip(NEXT) | instid1(VALU_DEP_1)
	v_pk_mul_f32 v[2:3], v[42:43], v[2:3] op_sel_hi:[0,1]
	v_pk_fma_f32 v[26:27], v[40:41], v[24:25], v[2:3] op_sel_hi:[0,1,1]
	v_pk_fma_f32 v[2:3], v[40:41], v[24:25], v[2:3] neg_lo:[0,0,1] neg_hi:[0,0,1]
	v_lshl_add_u64 v[24:25], v[8:9], 3, v[0:1]
	s_delay_alu instid0(VALU_DEP_3)
	v_mov_b32_e32 v3, v27
	s_cbranch_vccz .LBB233_23
; %bb.22:                               ;   in Loop: Header=BB233_6 Depth=1
	global_load_b64 v[26:27], v[24:25], off
	v_mov_b64_e32 v[40:41], s[6:7]
	v_mov_b64_e32 v[42:43], s[2:3]
	s_mov_b32 s36, 0
	s_wait_loadcnt 0x0
	s_delay_alu instid0(VALU_DEP_2) | instskip(NEXT) | instid1(VALU_DEP_1)
	v_pk_mul_f32 v[40:41], v[26:27], v[40:41]
	v_pk_fma_f32 v[44:45], v[26:27], v[42:43], v[40:41] op_sel:[0,0,1] op_sel_hi:[1,1,0]
	v_pk_fma_f32 v[26:27], v[26:27], v[42:43], v[40:41] op_sel:[0,0,1] op_sel_hi:[1,1,0] neg_lo:[0,0,1] neg_hi:[0,0,1]
	s_delay_alu instid0(VALU_DEP_2) | instskip(NEXT) | instid1(VALU_DEP_1)
	v_mov_b32_e32 v27, v45
	v_pk_add_f32 v[26:27], v[2:3], v[26:27]
	global_store_b64 v[24:25], v[26:27], off
.LBB233_23:                             ;   in Loop: Header=BB233_6 Depth=1
	s_and_not1_b32 vcc_lo, exec_lo, s36
	s_cbranch_vccnz .LBB233_25
; %bb.24:                               ;   in Loop: Header=BB233_6 Depth=1
	global_store_b64 v[24:25], v[2:3], off
.LBB233_25:                             ;   in Loop: Header=BB233_6 Depth=1
	s_wait_xcnt 0x0
	s_or_b32 exec_lo, exec_lo, s35
	s_and_saveexec_b32 s35, s19
	s_cbranch_execz .LBB233_30
; %bb.26:                               ;   in Loop: Header=BB233_6 Depth=1
	v_mov_b64_e32 v[2:3], s[4:5]
	v_mov_b64_e32 v[24:25], s[24:25]
	v_lshl_add_u64 v[0:1], v[10:11], 3, v[0:1]
	s_and_not1_b32 vcc_lo, exec_lo, s15
	s_mov_b32 s36, -1
	s_delay_alu instid0(VALU_DEP_3) | instskip(NEXT) | instid1(VALU_DEP_1)
	v_pk_mul_f32 v[2:3], v[38:39], v[2:3] op_sel_hi:[0,1]
	v_pk_fma_f32 v[26:27], v[36:37], v[24:25], v[2:3] op_sel_hi:[0,1,1]
	v_pk_fma_f32 v[2:3], v[36:37], v[24:25], v[2:3] neg_lo:[0,0,1] neg_hi:[0,0,1]
	s_delay_alu instid0(VALU_DEP_2)
	v_mov_b32_e32 v3, v27
	s_cbranch_vccnz .LBB233_28
; %bb.27:                               ;   in Loop: Header=BB233_6 Depth=1
	global_load_b64 v[24:25], v[0:1], off
	v_mov_b64_e32 v[26:27], s[6:7]
	v_mov_b64_e32 v[36:37], s[2:3]
	s_mov_b32 s36, 0
	s_wait_loadcnt 0x0
	s_delay_alu instid0(VALU_DEP_2) | instskip(NEXT) | instid1(VALU_DEP_1)
	v_pk_mul_f32 v[26:27], v[24:25], v[26:27]
	v_pk_fma_f32 v[38:39], v[24:25], v[36:37], v[26:27] op_sel:[0,0,1] op_sel_hi:[1,1,0]
	v_pk_fma_f32 v[24:25], v[24:25], v[36:37], v[26:27] op_sel:[0,0,1] op_sel_hi:[1,1,0] neg_lo:[0,0,1] neg_hi:[0,0,1]
	s_delay_alu instid0(VALU_DEP_2) | instskip(NEXT) | instid1(VALU_DEP_1)
	v_mov_b32_e32 v25, v39
	v_pk_add_f32 v[24:25], v[2:3], v[24:25]
	global_store_b64 v[0:1], v[24:25], off
.LBB233_28:                             ;   in Loop: Header=BB233_6 Depth=1
	s_and_not1_b32 vcc_lo, exec_lo, s36
	s_cbranch_vccnz .LBB233_30
; %bb.29:                               ;   in Loop: Header=BB233_6 Depth=1
	global_store_b64 v[0:1], v[2:3], off
.LBB233_30:                             ;   in Loop: Header=BB233_6 Depth=1
	s_wait_xcnt 0x0
	s_or_b32 exec_lo, exec_lo, s35
	v_lshl_add_u64 v[0:1], v[14:15], 3, s[12:13]
	s_and_saveexec_b32 s12, s28
	s_cbranch_execz .LBB233_35
; %bb.31:                               ;   in Loop: Header=BB233_6 Depth=1
	v_mov_b64_e32 v[2:3], s[4:5]
	v_mov_b64_e32 v[24:25], s[24:25]
	s_and_not1_b32 vcc_lo, exec_lo, s15
	s_mov_b32 s13, -1
	s_delay_alu instid0(VALU_DEP_2) | instskip(NEXT) | instid1(VALU_DEP_1)
	v_pk_mul_f32 v[2:3], v[34:35], v[2:3] op_sel_hi:[0,1]
	v_pk_fma_f32 v[26:27], v[32:33], v[24:25], v[2:3] op_sel_hi:[0,1,1]
	v_pk_fma_f32 v[2:3], v[32:33], v[24:25], v[2:3] neg_lo:[0,0,1] neg_hi:[0,0,1]
	v_lshl_add_u64 v[24:25], v[8:9], 3, v[0:1]
	s_delay_alu instid0(VALU_DEP_3)
	v_mov_b32_e32 v3, v27
	s_cbranch_vccnz .LBB233_33
; %bb.32:                               ;   in Loop: Header=BB233_6 Depth=1
	global_load_b64 v[26:27], v[24:25], off
	v_mov_b64_e32 v[32:33], s[6:7]
	v_mov_b64_e32 v[34:35], s[2:3]
	s_mov_b32 s13, 0
	s_wait_loadcnt 0x0
	s_delay_alu instid0(VALU_DEP_2) | instskip(NEXT) | instid1(VALU_DEP_1)
	v_pk_mul_f32 v[32:33], v[26:27], v[32:33]
	v_pk_fma_f32 v[36:37], v[26:27], v[34:35], v[32:33] op_sel:[0,0,1] op_sel_hi:[1,1,0]
	v_pk_fma_f32 v[26:27], v[26:27], v[34:35], v[32:33] op_sel:[0,0,1] op_sel_hi:[1,1,0] neg_lo:[0,0,1] neg_hi:[0,0,1]
	s_delay_alu instid0(VALU_DEP_2) | instskip(NEXT) | instid1(VALU_DEP_1)
	v_mov_b32_e32 v27, v37
	v_pk_add_f32 v[26:27], v[2:3], v[26:27]
	global_store_b64 v[24:25], v[26:27], off
.LBB233_33:                             ;   in Loop: Header=BB233_6 Depth=1
	s_and_not1_b32 vcc_lo, exec_lo, s13
	s_cbranch_vccnz .LBB233_35
; %bb.34:                               ;   in Loop: Header=BB233_6 Depth=1
	global_store_b64 v[24:25], v[2:3], off
.LBB233_35:                             ;   in Loop: Header=BB233_6 Depth=1
	s_wait_xcnt 0x0
	s_or_b32 exec_lo, exec_lo, s12
	s_and_saveexec_b32 s12, s29
	s_cbranch_execz .LBB233_5
; %bb.36:                               ;   in Loop: Header=BB233_6 Depth=1
	v_mov_b64_e32 v[2:3], s[4:5]
	v_mov_b64_e32 v[24:25], s[24:25]
	v_lshl_add_u64 v[0:1], v[10:11], 3, v[0:1]
	s_and_not1_b32 vcc_lo, exec_lo, s15
	s_mov_b32 s13, -1
	s_delay_alu instid0(VALU_DEP_3) | instskip(NEXT) | instid1(VALU_DEP_1)
	v_pk_mul_f32 v[2:3], v[30:31], v[2:3] op_sel_hi:[0,1]
	v_pk_fma_f32 v[26:27], v[28:29], v[24:25], v[2:3] op_sel_hi:[0,1,1]
	v_pk_fma_f32 v[2:3], v[28:29], v[24:25], v[2:3] neg_lo:[0,0,1] neg_hi:[0,0,1]
	s_delay_alu instid0(VALU_DEP_2)
	v_mov_b32_e32 v3, v27
	s_cbranch_vccnz .LBB233_38
; %bb.37:                               ;   in Loop: Header=BB233_6 Depth=1
	global_load_b64 v[24:25], v[0:1], off
	v_mov_b64_e32 v[26:27], s[6:7]
	v_mov_b64_e32 v[32:33], s[2:3]
	s_mov_b32 s13, 0
	s_wait_loadcnt 0x0
	s_delay_alu instid0(VALU_DEP_2) | instskip(NEXT) | instid1(VALU_DEP_1)
	v_pk_mul_f32 v[26:27], v[24:25], v[26:27]
	v_pk_fma_f32 v[34:35], v[24:25], v[32:33], v[26:27] op_sel:[0,0,1] op_sel_hi:[1,1,0]
	v_pk_fma_f32 v[24:25], v[24:25], v[32:33], v[26:27] op_sel:[0,0,1] op_sel_hi:[1,1,0] neg_lo:[0,0,1] neg_hi:[0,0,1]
	s_delay_alu instid0(VALU_DEP_2) | instskip(NEXT) | instid1(VALU_DEP_1)
	v_mov_b32_e32 v25, v35
	v_pk_add_f32 v[24:25], v[2:3], v[24:25]
	global_store_b64 v[0:1], v[24:25], off
.LBB233_38:                             ;   in Loop: Header=BB233_6 Depth=1
	s_and_not1_b32 vcc_lo, exec_lo, s13
	s_cbranch_vccnz .LBB233_5
; %bb.39:                               ;   in Loop: Header=BB233_6 Depth=1
	global_store_b64 v[0:1], v[2:3], off
	s_branch .LBB233_5
.LBB233_40:
	s_endpgm
	.section	.rodata,"a",@progbits
	.p2align	6, 0x0
	.amdhsa_kernel _ZL29rocblas_internal_gemmt_kernelIlLi16ELi32ELi8ELc67ELc67ELc76ELb1ELb1E19rocblas_complex_numIfEPKS1_S3_PS1_EviT_T9_T10_S5_lS7_S5_lS6_T11_S5_li
		.amdhsa_group_segment_fixed_size 4096
		.amdhsa_private_segment_fixed_size 0
		.amdhsa_kernarg_size 108
		.amdhsa_user_sgpr_count 2
		.amdhsa_user_sgpr_dispatch_ptr 0
		.amdhsa_user_sgpr_queue_ptr 0
		.amdhsa_user_sgpr_kernarg_segment_ptr 1
		.amdhsa_user_sgpr_dispatch_id 0
		.amdhsa_user_sgpr_kernarg_preload_length 0
		.amdhsa_user_sgpr_kernarg_preload_offset 0
		.amdhsa_user_sgpr_private_segment_size 0
		.amdhsa_wavefront_size32 1
		.amdhsa_uses_dynamic_stack 0
		.amdhsa_enable_private_segment 0
		.amdhsa_system_sgpr_workgroup_id_x 1
		.amdhsa_system_sgpr_workgroup_id_y 1
		.amdhsa_system_sgpr_workgroup_id_z 1
		.amdhsa_system_sgpr_workgroup_info 0
		.amdhsa_system_vgpr_workitem_id 1
		.amdhsa_next_free_vgpr 60
		.amdhsa_next_free_sgpr 39
		.amdhsa_named_barrier_count 0
		.amdhsa_reserve_vcc 1
		.amdhsa_float_round_mode_32 0
		.amdhsa_float_round_mode_16_64 0
		.amdhsa_float_denorm_mode_32 3
		.amdhsa_float_denorm_mode_16_64 3
		.amdhsa_fp16_overflow 0
		.amdhsa_memory_ordered 1
		.amdhsa_forward_progress 1
		.amdhsa_inst_pref_size 26
		.amdhsa_round_robin_scheduling 0
		.amdhsa_exception_fp_ieee_invalid_op 0
		.amdhsa_exception_fp_denorm_src 0
		.amdhsa_exception_fp_ieee_div_zero 0
		.amdhsa_exception_fp_ieee_overflow 0
		.amdhsa_exception_fp_ieee_underflow 0
		.amdhsa_exception_fp_ieee_inexact 0
		.amdhsa_exception_int_div_zero 0
	.end_amdhsa_kernel
	.section	.text._ZL29rocblas_internal_gemmt_kernelIlLi16ELi32ELi8ELc67ELc67ELc76ELb1ELb1E19rocblas_complex_numIfEPKS1_S3_PS1_EviT_T9_T10_S5_lS7_S5_lS6_T11_S5_li,"axG",@progbits,_ZL29rocblas_internal_gemmt_kernelIlLi16ELi32ELi8ELc67ELc67ELc76ELb1ELb1E19rocblas_complex_numIfEPKS1_S3_PS1_EviT_T9_T10_S5_lS7_S5_lS6_T11_S5_li,comdat
.Lfunc_end233:
	.size	_ZL29rocblas_internal_gemmt_kernelIlLi16ELi32ELi8ELc67ELc67ELc76ELb1ELb1E19rocblas_complex_numIfEPKS1_S3_PS1_EviT_T9_T10_S5_lS7_S5_lS6_T11_S5_li, .Lfunc_end233-_ZL29rocblas_internal_gemmt_kernelIlLi16ELi32ELi8ELc67ELc67ELc76ELb1ELb1E19rocblas_complex_numIfEPKS1_S3_PS1_EviT_T9_T10_S5_lS7_S5_lS6_T11_S5_li
                                        ; -- End function
	.set _ZL29rocblas_internal_gemmt_kernelIlLi16ELi32ELi8ELc67ELc67ELc76ELb1ELb1E19rocblas_complex_numIfEPKS1_S3_PS1_EviT_T9_T10_S5_lS7_S5_lS6_T11_S5_li.num_vgpr, 60
	.set _ZL29rocblas_internal_gemmt_kernelIlLi16ELi32ELi8ELc67ELc67ELc76ELb1ELb1E19rocblas_complex_numIfEPKS1_S3_PS1_EviT_T9_T10_S5_lS7_S5_lS6_T11_S5_li.num_agpr, 0
	.set _ZL29rocblas_internal_gemmt_kernelIlLi16ELi32ELi8ELc67ELc67ELc76ELb1ELb1E19rocblas_complex_numIfEPKS1_S3_PS1_EviT_T9_T10_S5_lS7_S5_lS6_T11_S5_li.numbered_sgpr, 39
	.set _ZL29rocblas_internal_gemmt_kernelIlLi16ELi32ELi8ELc67ELc67ELc76ELb1ELb1E19rocblas_complex_numIfEPKS1_S3_PS1_EviT_T9_T10_S5_lS7_S5_lS6_T11_S5_li.num_named_barrier, 0
	.set _ZL29rocblas_internal_gemmt_kernelIlLi16ELi32ELi8ELc67ELc67ELc76ELb1ELb1E19rocblas_complex_numIfEPKS1_S3_PS1_EviT_T9_T10_S5_lS7_S5_lS6_T11_S5_li.private_seg_size, 0
	.set _ZL29rocblas_internal_gemmt_kernelIlLi16ELi32ELi8ELc67ELc67ELc76ELb1ELb1E19rocblas_complex_numIfEPKS1_S3_PS1_EviT_T9_T10_S5_lS7_S5_lS6_T11_S5_li.uses_vcc, 1
	.set _ZL29rocblas_internal_gemmt_kernelIlLi16ELi32ELi8ELc67ELc67ELc76ELb1ELb1E19rocblas_complex_numIfEPKS1_S3_PS1_EviT_T9_T10_S5_lS7_S5_lS6_T11_S5_li.uses_flat_scratch, 0
	.set _ZL29rocblas_internal_gemmt_kernelIlLi16ELi32ELi8ELc67ELc67ELc76ELb1ELb1E19rocblas_complex_numIfEPKS1_S3_PS1_EviT_T9_T10_S5_lS7_S5_lS6_T11_S5_li.has_dyn_sized_stack, 0
	.set _ZL29rocblas_internal_gemmt_kernelIlLi16ELi32ELi8ELc67ELc67ELc76ELb1ELb1E19rocblas_complex_numIfEPKS1_S3_PS1_EviT_T9_T10_S5_lS7_S5_lS6_T11_S5_li.has_recursion, 0
	.set _ZL29rocblas_internal_gemmt_kernelIlLi16ELi32ELi8ELc67ELc67ELc76ELb1ELb1E19rocblas_complex_numIfEPKS1_S3_PS1_EviT_T9_T10_S5_lS7_S5_lS6_T11_S5_li.has_indirect_call, 0
	.section	.AMDGPU.csdata,"",@progbits
; Kernel info:
; codeLenInByte = 3296
; TotalNumSgprs: 41
; NumVgprs: 60
; ScratchSize: 0
; MemoryBound: 0
; FloatMode: 240
; IeeeMode: 1
; LDSByteSize: 4096 bytes/workgroup (compile time only)
; SGPRBlocks: 0
; VGPRBlocks: 3
; NumSGPRsForWavesPerEU: 41
; NumVGPRsForWavesPerEU: 60
; NamedBarCnt: 0
; Occupancy: 16
; WaveLimiterHint : 0
; COMPUTE_PGM_RSRC2:SCRATCH_EN: 0
; COMPUTE_PGM_RSRC2:USER_SGPR: 2
; COMPUTE_PGM_RSRC2:TRAP_HANDLER: 0
; COMPUTE_PGM_RSRC2:TGID_X_EN: 1
; COMPUTE_PGM_RSRC2:TGID_Y_EN: 1
; COMPUTE_PGM_RSRC2:TGID_Z_EN: 1
; COMPUTE_PGM_RSRC2:TIDIG_COMP_CNT: 1
	.section	.text._ZL29rocblas_internal_gemmt_kernelIlLi16ELi32ELi8ELc78ELc78ELc85ELb0ELb0E19rocblas_complex_numIfES1_PKS1_PS1_EviT_T9_T10_S5_lS7_S5_lS6_T11_S5_li,"axG",@progbits,_ZL29rocblas_internal_gemmt_kernelIlLi16ELi32ELi8ELc78ELc78ELc85ELb0ELb0E19rocblas_complex_numIfES1_PKS1_PS1_EviT_T9_T10_S5_lS7_S5_lS6_T11_S5_li,comdat
	.globl	_ZL29rocblas_internal_gemmt_kernelIlLi16ELi32ELi8ELc78ELc78ELc85ELb0ELb0E19rocblas_complex_numIfES1_PKS1_PS1_EviT_T9_T10_S5_lS7_S5_lS6_T11_S5_li ; -- Begin function _ZL29rocblas_internal_gemmt_kernelIlLi16ELi32ELi8ELc78ELc78ELc85ELb0ELb0E19rocblas_complex_numIfES1_PKS1_PS1_EviT_T9_T10_S5_lS7_S5_lS6_T11_S5_li
	.p2align	8
	.type	_ZL29rocblas_internal_gemmt_kernelIlLi16ELi32ELi8ELc78ELc78ELc85ELb0ELb0E19rocblas_complex_numIfES1_PKS1_PS1_EviT_T9_T10_S5_lS7_S5_lS6_T11_S5_li,@function
_ZL29rocblas_internal_gemmt_kernelIlLi16ELi32ELi8ELc78ELc78ELc85ELb0ELb0E19rocblas_complex_numIfES1_PKS1_PS1_EviT_T9_T10_S5_lS7_S5_lS6_T11_S5_li: ; @_ZL29rocblas_internal_gemmt_kernelIlLi16ELi32ELi8ELc78ELc78ELc85ELb0ELb0E19rocblas_complex_numIfES1_PKS1_PS1_EviT_T9_T10_S5_lS7_S5_lS6_T11_S5_li
; %bb.0:
	s_clause 0x1
	s_load_b64 s[24:25], s[0:1], 0x48
	s_load_b128 s[12:15], s[0:1], 0x8
	s_wait_kmcnt 0x0
	s_cmp_neq_f32 s24, 1.0
	s_cselect_b32 s2, -1, 0
	s_and_b32 s4, s25, 0x7fffffff
	s_delay_alu instid0(SALU_CYCLE_1) | instskip(SKIP_3) | instid1(SALU_CYCLE_1)
	s_cmp_eq_u32 s4, 0
	s_cselect_b32 s3, -1, 0
	s_cmp_lg_u32 s4, 0
	s_cselect_b32 s4, -1, 0
	s_or_b32 s2, s2, s4
	s_delay_alu instid0(SALU_CYCLE_1)
	s_and_b32 vcc_lo, exec_lo, s2
	s_cbranch_vccnz .LBB234_2
; %bb.1:
	s_cmp_lg_u64 s[12:13], 0
	s_cselect_b32 s2, -1, 0
	s_cmp_neq_f32 s14, 0
	s_cselect_b32 s4, -1, 0
	s_cmp_neq_f32 s15, 0
	s_cselect_b32 s5, -1, 0
	s_delay_alu instid0(SALU_CYCLE_1) | instskip(NEXT) | instid1(SALU_CYCLE_1)
	s_or_b32 s4, s4, s5
	s_and_b32 s2, s2, s4
.LBB234_2:
	s_delay_alu instid0(SALU_CYCLE_1)
	s_and_not1_b32 vcc_lo, exec_lo, s2
	s_cbranch_vccnz .LBB234_35
; %bb.3:
	s_load_b32 s28, s[0:1], 0x68
	s_bfe_u32 s2, ttmp6, 0x40014
	s_lshr_b32 s4, ttmp7, 16
	s_add_co_i32 s2, s2, 1
	s_bfe_u32 s6, ttmp6, 0x40008
	s_mul_i32 s5, s4, s2
	s_getreg_b32 s2, hwreg(HW_REG_IB_STS2, 6, 4)
	s_add_co_i32 s6, s6, s5
	s_cmp_eq_u32 s2, 0
	s_mov_b32 s27, 0
	s_cselect_b32 s26, s4, s6
	s_wait_kmcnt 0x0
	s_cmp_ge_u32 s26, s28
	s_cbranch_scc1 .LBB234_35
; %bb.4:
	v_and_b32_e32 v7, 0x3ff, v0
	v_bfe_u32 v9, v0, 10, 10
	s_bfe_u32 s5, ttmp6, 0x4000c
	s_bfe_u32 s6, ttmp6, 0x40010
	s_add_co_i32 s5, s5, 1
	s_and_b32 s7, ttmp7, 0xffff
	s_add_co_i32 s6, s6, 1
	s_load_b128 s[16:19], s[0:1], 0x38
	v_lshl_add_u32 v8, v9, 4, v7
	s_and_b32 s4, ttmp6, 15
	s_mul_i32 s5, ttmp9, s5
	s_mul_i32 s6, s7, s6
	s_bfe_u32 s8, ttmp6, 0x40004
	s_add_co_i32 s4, s4, s5
	s_add_co_i32 s8, s8, s6
	s_cmp_eq_u32 s2, 0
	v_lshrrev_b32_e32 v10, 3, v8
	s_cselect_b32 s2, s7, s8
	s_cselect_b32 s29, ttmp9, s4
	s_lshl_b32 s2, s2, 5
	s_delay_alu instid0(VALU_DEP_1) | instid1(SALU_CYCLE_1)
	v_dual_add_nc_u32 v2, s2, v10 :: v_dual_bitop2_b32 v4, 7, v0 bitop3:0x40
	s_clause 0x1
	s_load_b32 s30, s[0:1], 0x0
	s_load_b128 s[20:23], s[0:1], 0x50
	v_dual_lshrrev_b32 v6, 5, v8 :: v_dual_bitop2_b32 v11, 31, v8 bitop3:0x40
	v_dual_lshlrev_b32 v5, 3, v7 :: v_dual_ashrrev_i32 v3, 31, v2
	v_add_nc_u32_e32 v20, s2, v9
	v_cmp_gt_i64_e64 s33, s[12:13], 0
	v_lshl_add_u32 v29, v9, 6, 0x800
	s_wait_kmcnt 0x0
	v_mul_u64_e32 v[0:1], s[16:17], v[2:3]
	s_clause 0x1
	s_load_b256 s[4:11], s[0:1], 0x18
	s_load_b64 s[16:17], s[0:1], 0x60
	s_wait_xcnt 0x0
	s_lshl_b32 s0, s29, 5
	v_dual_add_nc_u32 v22, 16, v20 :: v_dual_ashrrev_i32 v21, 31, v20
	v_dual_add_nc_u32 v8, s0, v7 :: v_dual_lshlrev_b32 v3, 3, v4
	v_dual_lshlrev_b32 v7, 3, v11 :: v_dual_bitop2_b32 v14, s0, v11 bitop3:0x54
	s_delay_alu instid0(VALU_DEP_2) | instskip(NEXT) | instid1(VALU_DEP_3)
	v_dual_ashrrev_i32 v23, 31, v22 :: v_dual_add_nc_u32 v18, 16, v8
	v_lshl_or_b32 v3, v10, 6, v3
	v_mul_u64_e32 v[10:11], s[22:23], v[20:21]
	s_cmp_neq_f32 s14, 0
	s_delay_alu instid0(VALU_DEP_3)
	v_mul_u64_e32 v[12:13], s[22:23], v[22:23]
	v_dual_ashrrev_i32 v15, 31, v14 :: v_dual_ashrrev_i32 v9, 31, v8
	s_cselect_b32 s1, -1, 0
	s_cmp_neq_f32 s15, 0
	v_cmp_gt_i32_e32 vcc_lo, s30, v20
	v_cmp_gt_i32_e64 s0, s30, v14
	s_wait_kmcnt 0x0
	v_lshl_add_u64 v[14:15], v[14:15], 3, s[4:5]
	s_cselect_b32 s2, -1, 0
	v_cmp_le_i32_e64 s5, v18, v22
	s_or_b32 s34, s1, s2
	s_cmp_neq_f32 s24, 0
	v_cmp_le_i32_e64 s2, v8, v20
	v_lshl_or_b32 v7, v6, 8, v7
	v_cmp_gt_i32_e64 s1, s30, v2
	s_cselect_b32 s4, -1, 0
	s_xor_b32 s3, s3, -1
	s_and_b32 s23, vcc_lo, s2
	s_or_b32 s22, s4, s3
	v_cmp_le_i32_e64 s2, v18, v20
	v_cmp_gt_i32_e64 s3, s30, v22
	v_cmp_le_i32_e64 s4, v8, v22
	v_add_nc_u32_e32 v27, 0x800, v3
	v_lshl_add_u64 v[16:17], v[0:1], 3, s[10:11]
	v_dual_ashrrev_i32 v19, 31, v18 :: v_dual_mov_b32 v21, 0
	s_and_b32 s29, vcc_lo, s2
	s_and_b32 s30, s3, s4
	s_and_b32 s31, s3, s5
	s_mov_b32 s2, s24
	s_mov_b32 s3, s24
	s_and_b32 s33, s34, s33
	s_mov_b32 s24, s25
	s_mov_b32 s4, s15
	;; [unrolled: 1-line block ×3, first 2 shown]
	s_branch .LBB234_6
.LBB234_5:                              ;   in Loop: Header=BB234_6 Depth=1
	s_wait_xcnt 0x0
	s_or_b32 exec_lo, exec_lo, s10
	s_add_co_i32 s26, s26, 0x10000
	s_delay_alu instid0(SALU_CYCLE_1)
	s_cmp_lt_u32 s26, s28
	s_cbranch_scc0 .LBB234_35
.LBB234_6:                              ; =>This Loop Header: Depth=1
                                        ;     Child Loop BB234_9 Depth 2
	v_dual_mov_b32 v38, v21 :: v_dual_mov_b32 v40, v21
	v_dual_mov_b32 v34, v21 :: v_dual_mov_b32 v36, v21
	;; [unrolled: 1-line block ×4, first 2 shown]
	s_and_not1_b32 vcc_lo, exec_lo, s33
	s_cbranch_vccnz .LBB234_15
; %bb.7:                                ;   in Loop: Header=BB234_6 Depth=1
	s_mul_u64 s[10:11], s[8:9], s[26:27]
	s_mul_u64 s[34:35], s[18:19], s[26:27]
	v_lshl_add_u64 v[22:23], s[10:11], 3, v[14:15]
	v_lshl_add_u64 v[24:25], s[34:35], 3, v[16:17]
	v_dual_mov_b32 v28, 0 :: v_dual_mov_b32 v26, 0
	v_dual_mov_b32 v32, 0 :: v_dual_mov_b32 v30, 0
	;; [unrolled: 1-line block ×4, first 2 shown]
	s_mov_b64 s[10:11], 0
	s_branch .LBB234_9
.LBB234_8:                              ;   in Loop: Header=BB234_9 Depth=2
	s_wait_xcnt 0x0
	s_or_b32 exec_lo, exec_lo, s34
	s_wait_loadcnt 0x0
	ds_store_b64 v27, v[2:3]
	s_wait_dscnt 0x0
	s_barrier_signal -1
	s_barrier_wait -1
	ds_load_b128 v[42:45], v29
	ds_load_b128 v[46:49], v29 offset:16
	ds_load_b128 v[50:53], v29 offset:32
	;; [unrolled: 1-line block ×3, first 2 shown]
	ds_load_2addr_b64 v[54:57], v5 offset1:16
	s_add_nc_u64 s[10:11], s[10:11], 8
	s_delay_alu instid0(SALU_CYCLE_1) | instskip(SKIP_3) | instid1(VALU_DEP_1)
	v_cmp_gt_i64_e64 s34, s[12:13], s[10:11]
	s_and_b32 vcc_lo, exec_lo, s34
	s_wait_dscnt 0x0
	v_dual_mul_f32 v20, v43, v55 :: v_dual_mul_f32 v31, v42, v55
	v_dual_mul_f32 v33, v42, v57 :: v_dual_fma_f32 v20, v42, v54, -v20
	s_delay_alu instid0(VALU_DEP_1) | instskip(NEXT) | instid1(VALU_DEP_1)
	v_dual_fmac_f32 v31, v43, v54 :: v_dual_fmac_f32 v33, v43, v56
	v_dual_add_f32 v20, v38, v20 :: v_dual_add_f32 v38, v40, v31
	v_mul_f32_e32 v31, v43, v57
	s_delay_alu instid0(VALU_DEP_1) | instskip(NEXT) | instid1(VALU_DEP_1)
	v_dual_add_f32 v40, v36, v33 :: v_dual_fma_f32 v31, v42, v56, -v31
	v_add_f32_e32 v39, v34, v31
	ds_load_b128 v[34:37], v29 offset:1024
	s_wait_dscnt 0x0
	v_dual_mul_f32 v31, v35, v55 :: v_dual_mul_f32 v33, v34, v55
	s_delay_alu instid0(VALU_DEP_1) | instskip(NEXT) | instid1(VALU_DEP_1)
	v_dual_fma_f32 v31, v34, v54, -v31 :: v_dual_fmac_f32 v33, v35, v54
	v_dual_add_f32 v41, v30, v31 :: v_dual_add_f32 v42, v32, v33
	v_dual_mul_f32 v30, v35, v57 :: v_dual_mul_f32 v31, v34, v57
	s_delay_alu instid0(VALU_DEP_1) | instskip(NEXT) | instid1(VALU_DEP_1)
	v_dual_fma_f32 v30, v34, v56, -v30 :: v_dual_fmac_f32 v31, v35, v56
	v_dual_add_f32 v26, v26, v30 :: v_dual_add_f32 v28, v28, v31
	ds_load_2addr_b64 v[30:33], v5 offset0:32 offset1:48
	s_wait_dscnt 0x0
	v_dual_mul_f32 v34, v45, v31 :: v_dual_mul_f32 v35, v44, v31
	s_delay_alu instid0(VALU_DEP_1) | instskip(NEXT) | instid1(VALU_DEP_1)
	v_dual_fma_f32 v34, v44, v30, -v34 :: v_dual_fmac_f32 v35, v45, v30
	v_dual_add_f32 v20, v20, v34 :: v_dual_add_f32 v34, v38, v35
	v_dual_mul_f32 v35, v45, v33 :: v_dual_mul_f32 v38, v44, v33
	s_delay_alu instid0(VALU_DEP_1) | instskip(NEXT) | instid1(VALU_DEP_1)
	v_dual_fma_f32 v35, v44, v32, -v35 :: v_dual_fmac_f32 v38, v45, v32
	v_dual_add_f32 v35, v39, v35 :: v_dual_add_f32 v38, v40, v38
	v_dual_mul_f32 v39, v37, v31 :: v_dual_mul_f32 v31, v36, v31
	s_delay_alu instid0(VALU_DEP_1) | instskip(NEXT) | instid1(VALU_DEP_2)
	v_fmac_f32_e32 v31, v37, v30
	v_dual_fma_f32 v39, v36, v30, -v39 :: v_dual_mul_f32 v30, v37, v33
	s_delay_alu instid0(VALU_DEP_2) | instskip(NEXT) | instid1(VALU_DEP_2)
	v_add_f32_e32 v40, v42, v31
	v_dual_add_f32 v39, v41, v39 :: v_dual_fma_f32 v30, v36, v32, -v30
	s_delay_alu instid0(VALU_DEP_1) | instskip(NEXT) | instid1(VALU_DEP_1)
	v_dual_mul_f32 v31, v36, v33 :: v_dual_add_f32 v26, v26, v30
	v_fmac_f32_e32 v31, v37, v32
	s_delay_alu instid0(VALU_DEP_1) | instskip(SKIP_3) | instid1(VALU_DEP_1)
	v_add_f32_e32 v28, v28, v31
	ds_load_2addr_b64 v[30:33], v5 offset0:64 offset1:80
	s_wait_dscnt 0x0
	v_mul_f32_e32 v36, v47, v31
	v_dual_fma_f32 v36, v46, v30, -v36 :: v_dual_mul_f32 v37, v46, v31
	s_delay_alu instid0(VALU_DEP_1) | instskip(SKIP_1) | instid1(VALU_DEP_2)
	v_dual_add_f32 v20, v20, v36 :: v_dual_fmac_f32 v37, v47, v30
	v_mul_f32_e32 v36, v46, v33
	v_add_f32_e32 v41, v34, v37
	v_mul_f32_e32 v34, v47, v33
	s_delay_alu instid0(VALU_DEP_1) | instskip(NEXT) | instid1(VALU_DEP_1)
	v_fma_f32 v34, v46, v32, -v34
	v_add_f32_e32 v42, v35, v34
	v_fmac_f32_e32 v36, v47, v32
	s_delay_alu instid0(VALU_DEP_1) | instskip(SKIP_3) | instid1(VALU_DEP_1)
	v_add_f32_e32 v38, v38, v36
	ds_load_b128 v[34:37], v29 offset:1040
	s_wait_dscnt 0x0
	v_dual_mul_f32 v43, v35, v31 :: v_dual_mul_f32 v31, v34, v31
	v_fma_f32 v43, v34, v30, -v43
	s_delay_alu instid0(VALU_DEP_2) | instskip(NEXT) | instid1(VALU_DEP_2)
	v_dual_fmac_f32 v31, v35, v30 :: v_dual_mul_f32 v30, v35, v33
	v_add_f32_e32 v39, v39, v43
	s_delay_alu instid0(VALU_DEP_2) | instskip(NEXT) | instid1(VALU_DEP_1)
	v_dual_add_f32 v40, v40, v31 :: v_dual_mul_f32 v31, v34, v33
	v_dual_fma_f32 v30, v34, v32, -v30 :: v_dual_fmac_f32 v31, v35, v32
	s_delay_alu instid0(VALU_DEP_1) | instskip(SKIP_3) | instid1(VALU_DEP_1)
	v_dual_add_f32 v26, v26, v30 :: v_dual_add_f32 v28, v28, v31
	ds_load_2addr_b64 v[30:33], v5 offset0:96 offset1:112
	s_wait_dscnt 0x0
	v_dual_mul_f32 v34, v49, v31 :: v_dual_mul_f32 v35, v48, v31
	v_dual_fma_f32 v34, v48, v30, -v34 :: v_dual_fmac_f32 v35, v49, v30
	s_delay_alu instid0(VALU_DEP_1) | instskip(SKIP_1) | instid1(VALU_DEP_1)
	v_dual_add_f32 v20, v20, v34 :: v_dual_add_f32 v34, v41, v35
	v_mul_f32_e32 v41, v48, v33
	v_fmac_f32_e32 v41, v49, v32
	s_delay_alu instid0(VALU_DEP_1) | instskip(SKIP_1) | instid1(VALU_DEP_2)
	v_dual_add_f32 v38, v38, v41 :: v_dual_mul_f32 v41, v37, v31
	v_dual_mul_f32 v35, v49, v33 :: v_dual_mul_f32 v31, v36, v31
	v_fma_f32 v41, v36, v30, -v41
	s_delay_alu instid0(VALU_DEP_2) | instskip(NEXT) | instid1(VALU_DEP_3)
	v_fma_f32 v35, v48, v32, -v35
	v_dual_fmac_f32 v31, v37, v30 :: v_dual_mul_f32 v30, v37, v33
	s_delay_alu instid0(VALU_DEP_2) | instskip(NEXT) | instid1(VALU_DEP_2)
	v_dual_add_f32 v39, v39, v41 :: v_dual_add_f32 v35, v42, v35
	v_add_f32_e32 v40, v40, v31
	s_delay_alu instid0(VALU_DEP_3) | instskip(NEXT) | instid1(VALU_DEP_1)
	v_dual_fma_f32 v30, v36, v32, -v30 :: v_dual_mul_f32 v31, v36, v33
	v_dual_fmac_f32 v31, v37, v32 :: v_dual_add_f32 v26, v26, v30
	s_delay_alu instid0(VALU_DEP_1) | instskip(SKIP_3) | instid1(VALU_DEP_1)
	v_add_f32_e32 v28, v28, v31
	ds_load_2addr_b64 v[30:33], v5 offset0:128 offset1:144
	s_wait_dscnt 0x0
	v_dual_mul_f32 v36, v51, v31 :: v_dual_mul_f32 v37, v50, v31
	v_dual_fma_f32 v36, v50, v30, -v36 :: v_dual_fmac_f32 v37, v51, v30
	s_delay_alu instid0(VALU_DEP_1) | instskip(SKIP_1) | instid1(VALU_DEP_1)
	v_dual_add_f32 v20, v20, v36 :: v_dual_add_f32 v41, v34, v37
	v_dual_mul_f32 v34, v51, v33 :: v_dual_mul_f32 v36, v50, v33
	v_dual_fma_f32 v34, v50, v32, -v34 :: v_dual_fmac_f32 v36, v51, v32
	s_delay_alu instid0(VALU_DEP_1) | instskip(SKIP_3) | instid1(VALU_DEP_1)
	v_dual_add_f32 v42, v35, v34 :: v_dual_add_f32 v38, v38, v36
	ds_load_b128 v[34:37], v29 offset:1056
	s_wait_dscnt 0x0
	v_dual_mul_f32 v43, v35, v31 :: v_dual_mul_f32 v31, v34, v31
	v_fmac_f32_e32 v31, v35, v30
	s_delay_alu instid0(VALU_DEP_2) | instskip(NEXT) | instid1(VALU_DEP_2)
	v_dual_fma_f32 v43, v34, v30, -v43 :: v_dual_mul_f32 v30, v35, v33
	v_dual_add_f32 v40, v40, v31 :: v_dual_mul_f32 v31, v34, v33
	s_delay_alu instid0(VALU_DEP_2) | instskip(NEXT) | instid1(VALU_DEP_1)
	v_dual_add_f32 v39, v39, v43 :: v_dual_fma_f32 v30, v34, v32, -v30
	v_dual_fmac_f32 v31, v35, v32 :: v_dual_add_f32 v26, v26, v30
	s_delay_alu instid0(VALU_DEP_1) | instskip(SKIP_3) | instid1(VALU_DEP_1)
	v_add_f32_e32 v28, v28, v31
	ds_load_2addr_b64 v[30:33], v5 offset0:160 offset1:176
	s_wait_dscnt 0x0
	v_dual_mul_f32 v34, v53, v31 :: v_dual_mul_f32 v35, v52, v31
	v_dual_fma_f32 v34, v52, v30, -v34 :: v_dual_fmac_f32 v35, v53, v30
	s_delay_alu instid0(VALU_DEP_1) | instskip(SKIP_1) | instid1(VALU_DEP_1)
	v_dual_add_f32 v20, v20, v34 :: v_dual_add_f32 v34, v41, v35
	v_mul_f32_e32 v41, v52, v33
	v_fmac_f32_e32 v41, v53, v32
	s_delay_alu instid0(VALU_DEP_1) | instskip(SKIP_1) | instid1(VALU_DEP_2)
	v_dual_add_f32 v38, v38, v41 :: v_dual_mul_f32 v41, v37, v31
	v_dual_mul_f32 v35, v53, v33 :: v_dual_mul_f32 v31, v36, v31
	v_fma_f32 v41, v36, v30, -v41
	s_delay_alu instid0(VALU_DEP_2) | instskip(NEXT) | instid1(VALU_DEP_3)
	v_fma_f32 v35, v52, v32, -v35
	v_dual_fmac_f32 v31, v37, v30 :: v_dual_mul_f32 v30, v37, v33
	s_delay_alu instid0(VALU_DEP_2) | instskip(NEXT) | instid1(VALU_DEP_2)
	v_dual_add_f32 v39, v39, v41 :: v_dual_add_f32 v35, v42, v35
	v_add_f32_e32 v44, v40, v31
	s_delay_alu instid0(VALU_DEP_3) | instskip(SKIP_2) | instid1(VALU_DEP_1)
	v_dual_fma_f32 v30, v36, v32, -v30 :: v_dual_mul_f32 v31, v36, v33
	ds_load_b128 v[40:43], v29 offset:1072
	v_dual_fmac_f32 v31, v37, v32 :: v_dual_add_f32 v26, v26, v30
	v_add_f32_e32 v28, v28, v31
	ds_load_2addr_b64 v[30:33], v5 offset0:192 offset1:208
	s_wait_dscnt 0x0
	v_dual_mul_f32 v36, v1, v31 :: v_dual_mul_f32 v37, v0, v31
	s_delay_alu instid0(VALU_DEP_1) | instskip(NEXT) | instid1(VALU_DEP_1)
	v_dual_fma_f32 v36, v0, v30, -v36 :: v_dual_fmac_f32 v37, v1, v30
	v_dual_add_f32 v20, v20, v36 :: v_dual_add_f32 v34, v34, v37
	v_mul_f32_e32 v36, v1, v33
	s_delay_alu instid0(VALU_DEP_1) | instskip(NEXT) | instid1(VALU_DEP_1)
	v_dual_fma_f32 v36, v0, v32, -v36 :: v_dual_mul_f32 v0, v0, v33
	v_fmac_f32_e32 v0, v1, v32
	s_delay_alu instid0(VALU_DEP_2) | instskip(NEXT) | instid1(VALU_DEP_1)
	v_dual_add_f32 v1, v35, v36 :: v_dual_mul_f32 v35, v41, v31
	v_dual_mul_f32 v31, v40, v31 :: v_dual_fma_f32 v35, v40, v30, -v35
	s_delay_alu instid0(VALU_DEP_1) | instskip(NEXT) | instid1(VALU_DEP_2)
	v_dual_add_f32 v0, v38, v0 :: v_dual_fmac_f32 v31, v41, v30
	v_dual_add_f32 v30, v39, v35 :: v_dual_mul_f32 v35, v41, v33
	v_mul_f32_e32 v33, v40, v33
	s_delay_alu instid0(VALU_DEP_3)
	v_add_f32_e32 v31, v44, v31
	ds_load_2addr_b64 v[44:47], v5 offset0:224 offset1:240
	s_wait_dscnt 0x0
	v_dual_fma_f32 v35, v40, v32, -v35 :: v_dual_fmac_f32 v33, v41, v32
	s_barrier_signal -1
	s_barrier_wait -1
	s_delay_alu instid0(VALU_DEP_1) | instskip(SKIP_1) | instid1(VALU_DEP_1)
	v_dual_add_f32 v26, v26, v35 :: v_dual_add_f32 v28, v28, v33
	v_dual_mul_f32 v32, v3, v45 :: v_dual_mul_f32 v33, v2, v45
	v_dual_fma_f32 v32, v2, v44, -v32 :: v_dual_fmac_f32 v33, v3, v44
	s_delay_alu instid0(VALU_DEP_1) | instskip(SKIP_1) | instid1(VALU_DEP_1)
	v_dual_add_f32 v38, v20, v32 :: v_dual_add_f32 v40, v34, v33
	v_mul_f32_e32 v20, v3, v47
	v_dual_fma_f32 v20, v2, v46, -v20 :: v_dual_mul_f32 v2, v2, v47
	s_delay_alu instid0(VALU_DEP_1) | instskip(NEXT) | instid1(VALU_DEP_1)
	v_dual_fmac_f32 v2, v3, v46 :: v_dual_add_f32 v34, v1, v20
	v_dual_mul_f32 v1, v42, v45 :: v_dual_add_f32 v36, v0, v2
	s_delay_alu instid0(VALU_DEP_1) | instskip(NEXT) | instid1(VALU_DEP_1)
	v_dual_mul_f32 v0, v43, v45 :: v_dual_fmac_f32 v1, v43, v44
	v_dual_fma_f32 v0, v42, v44, -v0 :: v_dual_add_f32 v32, v31, v1
	v_mul_f32_e32 v1, v42, v47
	s_delay_alu instid0(VALU_DEP_2) | instskip(NEXT) | instid1(VALU_DEP_1)
	v_dual_add_f32 v30, v30, v0 :: v_dual_mul_f32 v0, v43, v47
	v_dual_fmac_f32 v1, v43, v46 :: v_dual_fma_f32 v0, v42, v46, -v0
	s_delay_alu instid0(VALU_DEP_1)
	v_dual_add_f32 v28, v28, v1 :: v_dual_add_f32 v26, v26, v0
	s_cbranch_vccz .LBB234_15
.LBB234_9:                              ;   Parent Loop BB234_6 Depth=1
                                        ; =>  This Inner Loop Header: Depth=2
	v_dual_mov_b32 v0, 0 :: v_dual_mov_b32 v1, 0
	s_and_saveexec_b32 s34, s0
	s_cbranch_execz .LBB234_13
; %bb.10:                               ;   in Loop: Header=BB234_9 Depth=2
	v_dual_mov_b32 v1, 0 :: v_dual_add_nc_u32 v20, s10, v6
	v_mov_b32_e32 v0, 0
	s_mov_b32 s35, exec_lo
	s_delay_alu instid0(VALU_DEP_2)
	v_cmpx_gt_u64_e64 s[12:13], v[20:21]
	s_cbranch_execz .LBB234_12
; %bb.11:                               ;   in Loop: Header=BB234_9 Depth=2
	v_mul_u64_e32 v[0:1], s[6:7], v[20:21]
	s_delay_alu instid0(VALU_DEP_1)
	v_lshl_add_u64 v[0:1], v[0:1], 3, v[22:23]
	global_load_b64 v[0:1], v[0:1], off
.LBB234_12:                             ;   in Loop: Header=BB234_9 Depth=2
	s_wait_xcnt 0x0
	s_or_b32 exec_lo, exec_lo, s35
.LBB234_13:                             ;   in Loop: Header=BB234_9 Depth=2
	s_delay_alu instid0(SALU_CYCLE_1)
	s_or_b32 exec_lo, exec_lo, s34
	v_dual_add_nc_u32 v20, s10, v4 :: v_dual_mov_b32 v2, 0
	v_mov_b32_e32 v3, 0
	s_wait_loadcnt 0x0
	ds_store_b64 v7, v[0:1]
	v_cmp_gt_u64_e32 vcc_lo, s[12:13], v[20:21]
	s_and_b32 s35, vcc_lo, s1
	s_delay_alu instid0(SALU_CYCLE_1)
	s_and_saveexec_b32 s34, s35
	s_cbranch_execz .LBB234_8
; %bb.14:                               ;   in Loop: Header=BB234_9 Depth=2
	v_lshl_add_u64 v[0:1], v[20:21], 3, v[24:25]
	global_load_b64 v[2:3], v[0:1], off
	s_branch .LBB234_8
.LBB234_15:                             ;   in Loop: Header=BB234_6 Depth=1
	s_mul_u64 s[10:11], s[16:17], s[26:27]
	s_delay_alu instid0(SALU_CYCLE_1) | instskip(NEXT) | instid1(SALU_CYCLE_1)
	s_lshl_b64 s[10:11], s[10:11], 3
	s_add_nc_u64 s[10:11], s[20:21], s[10:11]
	s_delay_alu instid0(SALU_CYCLE_1)
	v_lshl_add_u64 v[0:1], v[10:11], 3, s[10:11]
	s_and_saveexec_b32 s34, s23
	s_cbranch_execz .LBB234_20
; %bb.16:                               ;   in Loop: Header=BB234_6 Depth=1
	v_mov_b64_e32 v[2:3], s[4:5]
	v_mov_b64_e32 v[22:23], s[14:15]
	s_and_b32 vcc_lo, exec_lo, s22
	s_mov_b32 s35, -1
	s_delay_alu instid0(VALU_DEP_2) | instskip(NEXT) | instid1(VALU_DEP_1)
	v_pk_mul_f32 v[2:3], v[40:41], v[2:3] op_sel_hi:[0,1]
	v_pk_fma_f32 v[24:25], v[38:39], v[22:23], v[2:3] op_sel_hi:[0,1,1]
	v_pk_fma_f32 v[2:3], v[38:39], v[22:23], v[2:3] neg_lo:[0,0,1] neg_hi:[0,0,1]
	v_lshl_add_u64 v[22:23], v[8:9], 3, v[0:1]
	s_delay_alu instid0(VALU_DEP_3)
	v_mov_b32_e32 v3, v25
	s_cbranch_vccz .LBB234_18
; %bb.17:                               ;   in Loop: Header=BB234_6 Depth=1
	global_load_b64 v[24:25], v[22:23], off
	v_mov_b64_e32 v[38:39], s[24:25]
	v_mov_b64_e32 v[40:41], s[2:3]
	s_mov_b32 s35, 0
	s_wait_loadcnt 0x0
	s_delay_alu instid0(VALU_DEP_2) | instskip(NEXT) | instid1(VALU_DEP_1)
	v_pk_mul_f32 v[38:39], v[24:25], v[38:39]
	v_pk_fma_f32 v[42:43], v[24:25], v[40:41], v[38:39] op_sel:[0,0,1] op_sel_hi:[1,1,0]
	v_pk_fma_f32 v[24:25], v[24:25], v[40:41], v[38:39] op_sel:[0,0,1] op_sel_hi:[1,1,0] neg_lo:[0,0,1] neg_hi:[0,0,1]
	s_delay_alu instid0(VALU_DEP_2) | instskip(NEXT) | instid1(VALU_DEP_1)
	v_mov_b32_e32 v25, v43
	v_pk_add_f32 v[24:25], v[2:3], v[24:25]
	global_store_b64 v[22:23], v[24:25], off
.LBB234_18:                             ;   in Loop: Header=BB234_6 Depth=1
	s_and_not1_b32 vcc_lo, exec_lo, s35
	s_cbranch_vccnz .LBB234_20
; %bb.19:                               ;   in Loop: Header=BB234_6 Depth=1
	global_store_b64 v[22:23], v[2:3], off
.LBB234_20:                             ;   in Loop: Header=BB234_6 Depth=1
	s_wait_xcnt 0x0
	s_or_b32 exec_lo, exec_lo, s34
	s_and_saveexec_b32 s34, s29
	s_cbranch_execz .LBB234_25
; %bb.21:                               ;   in Loop: Header=BB234_6 Depth=1
	v_mov_b64_e32 v[2:3], s[4:5]
	v_mov_b64_e32 v[22:23], s[14:15]
	v_lshl_add_u64 v[0:1], v[18:19], 3, v[0:1]
	s_and_not1_b32 vcc_lo, exec_lo, s22
	s_mov_b32 s35, -1
	s_delay_alu instid0(VALU_DEP_3) | instskip(NEXT) | instid1(VALU_DEP_1)
	v_pk_mul_f32 v[2:3], v[36:37], v[2:3] op_sel_hi:[0,1]
	v_pk_fma_f32 v[24:25], v[34:35], v[22:23], v[2:3] op_sel_hi:[0,1,1]
	v_pk_fma_f32 v[2:3], v[34:35], v[22:23], v[2:3] neg_lo:[0,0,1] neg_hi:[0,0,1]
	s_delay_alu instid0(VALU_DEP_2)
	v_mov_b32_e32 v3, v25
	s_cbranch_vccnz .LBB234_23
; %bb.22:                               ;   in Loop: Header=BB234_6 Depth=1
	global_load_b64 v[22:23], v[0:1], off
	v_mov_b64_e32 v[24:25], s[24:25]
	v_mov_b64_e32 v[34:35], s[2:3]
	s_mov_b32 s35, 0
	s_wait_loadcnt 0x0
	s_delay_alu instid0(VALU_DEP_2) | instskip(NEXT) | instid1(VALU_DEP_1)
	v_pk_mul_f32 v[24:25], v[22:23], v[24:25]
	v_pk_fma_f32 v[36:37], v[22:23], v[34:35], v[24:25] op_sel:[0,0,1] op_sel_hi:[1,1,0]
	v_pk_fma_f32 v[22:23], v[22:23], v[34:35], v[24:25] op_sel:[0,0,1] op_sel_hi:[1,1,0] neg_lo:[0,0,1] neg_hi:[0,0,1]
	s_delay_alu instid0(VALU_DEP_2) | instskip(NEXT) | instid1(VALU_DEP_1)
	v_mov_b32_e32 v23, v37
	v_pk_add_f32 v[22:23], v[2:3], v[22:23]
	global_store_b64 v[0:1], v[22:23], off
.LBB234_23:                             ;   in Loop: Header=BB234_6 Depth=1
	s_and_not1_b32 vcc_lo, exec_lo, s35
	s_cbranch_vccnz .LBB234_25
; %bb.24:                               ;   in Loop: Header=BB234_6 Depth=1
	global_store_b64 v[0:1], v[2:3], off
.LBB234_25:                             ;   in Loop: Header=BB234_6 Depth=1
	s_wait_xcnt 0x0
	s_or_b32 exec_lo, exec_lo, s34
	v_lshl_add_u64 v[0:1], v[12:13], 3, s[10:11]
	s_and_saveexec_b32 s10, s30
	s_cbranch_execz .LBB234_30
; %bb.26:                               ;   in Loop: Header=BB234_6 Depth=1
	v_mov_b64_e32 v[2:3], s[4:5]
	v_mov_b64_e32 v[22:23], s[14:15]
	s_and_not1_b32 vcc_lo, exec_lo, s22
	s_mov_b32 s11, -1
	s_delay_alu instid0(VALU_DEP_2) | instskip(NEXT) | instid1(VALU_DEP_1)
	v_pk_mul_f32 v[2:3], v[32:33], v[2:3] op_sel_hi:[0,1]
	v_pk_fma_f32 v[24:25], v[30:31], v[22:23], v[2:3] op_sel_hi:[0,1,1]
	v_pk_fma_f32 v[2:3], v[30:31], v[22:23], v[2:3] neg_lo:[0,0,1] neg_hi:[0,0,1]
	v_lshl_add_u64 v[22:23], v[8:9], 3, v[0:1]
	s_delay_alu instid0(VALU_DEP_3)
	v_mov_b32_e32 v3, v25
	s_cbranch_vccnz .LBB234_28
; %bb.27:                               ;   in Loop: Header=BB234_6 Depth=1
	global_load_b64 v[24:25], v[22:23], off
	v_mov_b64_e32 v[30:31], s[24:25]
	v_mov_b64_e32 v[32:33], s[2:3]
	s_mov_b32 s11, 0
	s_wait_loadcnt 0x0
	s_delay_alu instid0(VALU_DEP_2) | instskip(NEXT) | instid1(VALU_DEP_1)
	v_pk_mul_f32 v[30:31], v[24:25], v[30:31]
	v_pk_fma_f32 v[34:35], v[24:25], v[32:33], v[30:31] op_sel:[0,0,1] op_sel_hi:[1,1,0]
	v_pk_fma_f32 v[24:25], v[24:25], v[32:33], v[30:31] op_sel:[0,0,1] op_sel_hi:[1,1,0] neg_lo:[0,0,1] neg_hi:[0,0,1]
	s_delay_alu instid0(VALU_DEP_2) | instskip(NEXT) | instid1(VALU_DEP_1)
	v_mov_b32_e32 v25, v35
	v_pk_add_f32 v[24:25], v[2:3], v[24:25]
	global_store_b64 v[22:23], v[24:25], off
.LBB234_28:                             ;   in Loop: Header=BB234_6 Depth=1
	s_and_not1_b32 vcc_lo, exec_lo, s11
	s_cbranch_vccnz .LBB234_30
; %bb.29:                               ;   in Loop: Header=BB234_6 Depth=1
	global_store_b64 v[22:23], v[2:3], off
.LBB234_30:                             ;   in Loop: Header=BB234_6 Depth=1
	s_wait_xcnt 0x0
	s_or_b32 exec_lo, exec_lo, s10
	s_and_saveexec_b32 s10, s31
	s_cbranch_execz .LBB234_5
; %bb.31:                               ;   in Loop: Header=BB234_6 Depth=1
	v_mov_b64_e32 v[2:3], s[4:5]
	v_mov_b64_e32 v[22:23], s[14:15]
	v_lshl_add_u64 v[0:1], v[18:19], 3, v[0:1]
	s_and_not1_b32 vcc_lo, exec_lo, s22
	s_mov_b32 s11, -1
	s_delay_alu instid0(VALU_DEP_3) | instskip(NEXT) | instid1(VALU_DEP_1)
	v_pk_mul_f32 v[2:3], v[28:29], v[2:3] op_sel_hi:[0,1]
	v_pk_fma_f32 v[24:25], v[26:27], v[22:23], v[2:3] op_sel_hi:[0,1,1]
	v_pk_fma_f32 v[2:3], v[26:27], v[22:23], v[2:3] neg_lo:[0,0,1] neg_hi:[0,0,1]
	s_delay_alu instid0(VALU_DEP_2)
	v_mov_b32_e32 v3, v25
	s_cbranch_vccnz .LBB234_33
; %bb.32:                               ;   in Loop: Header=BB234_6 Depth=1
	global_load_b64 v[22:23], v[0:1], off
	v_mov_b64_e32 v[24:25], s[24:25]
	v_mov_b64_e32 v[30:31], s[2:3]
	s_mov_b32 s11, 0
	s_wait_loadcnt 0x0
	s_delay_alu instid0(VALU_DEP_2) | instskip(NEXT) | instid1(VALU_DEP_1)
	v_pk_mul_f32 v[24:25], v[22:23], v[24:25]
	v_pk_fma_f32 v[32:33], v[22:23], v[30:31], v[24:25] op_sel:[0,0,1] op_sel_hi:[1,1,0]
	v_pk_fma_f32 v[22:23], v[22:23], v[30:31], v[24:25] op_sel:[0,0,1] op_sel_hi:[1,1,0] neg_lo:[0,0,1] neg_hi:[0,0,1]
	s_delay_alu instid0(VALU_DEP_2) | instskip(NEXT) | instid1(VALU_DEP_1)
	v_mov_b32_e32 v23, v33
	v_pk_add_f32 v[22:23], v[2:3], v[22:23]
	global_store_b64 v[0:1], v[22:23], off
.LBB234_33:                             ;   in Loop: Header=BB234_6 Depth=1
	s_and_not1_b32 vcc_lo, exec_lo, s11
	s_cbranch_vccnz .LBB234_5
; %bb.34:                               ;   in Loop: Header=BB234_6 Depth=1
	global_store_b64 v[0:1], v[2:3], off
	s_branch .LBB234_5
.LBB234_35:
	s_endpgm
	.section	.rodata,"a",@progbits
	.p2align	6, 0x0
	.amdhsa_kernel _ZL29rocblas_internal_gemmt_kernelIlLi16ELi32ELi8ELc78ELc78ELc85ELb0ELb0E19rocblas_complex_numIfES1_PKS1_PS1_EviT_T9_T10_S5_lS7_S5_lS6_T11_S5_li
		.amdhsa_group_segment_fixed_size 4096
		.amdhsa_private_segment_fixed_size 0
		.amdhsa_kernarg_size 108
		.amdhsa_user_sgpr_count 2
		.amdhsa_user_sgpr_dispatch_ptr 0
		.amdhsa_user_sgpr_queue_ptr 0
		.amdhsa_user_sgpr_kernarg_segment_ptr 1
		.amdhsa_user_sgpr_dispatch_id 0
		.amdhsa_user_sgpr_kernarg_preload_length 0
		.amdhsa_user_sgpr_kernarg_preload_offset 0
		.amdhsa_user_sgpr_private_segment_size 0
		.amdhsa_wavefront_size32 1
		.amdhsa_uses_dynamic_stack 0
		.amdhsa_enable_private_segment 0
		.amdhsa_system_sgpr_workgroup_id_x 1
		.amdhsa_system_sgpr_workgroup_id_y 1
		.amdhsa_system_sgpr_workgroup_id_z 1
		.amdhsa_system_sgpr_workgroup_info 0
		.amdhsa_system_vgpr_workitem_id 1
		.amdhsa_next_free_vgpr 58
		.amdhsa_next_free_sgpr 36
		.amdhsa_named_barrier_count 0
		.amdhsa_reserve_vcc 1
		.amdhsa_float_round_mode_32 0
		.amdhsa_float_round_mode_16_64 0
		.amdhsa_float_denorm_mode_32 3
		.amdhsa_float_denorm_mode_16_64 3
		.amdhsa_fp16_overflow 0
		.amdhsa_memory_ordered 1
		.amdhsa_forward_progress 1
		.amdhsa_inst_pref_size 25
		.amdhsa_round_robin_scheduling 0
		.amdhsa_exception_fp_ieee_invalid_op 0
		.amdhsa_exception_fp_denorm_src 0
		.amdhsa_exception_fp_ieee_div_zero 0
		.amdhsa_exception_fp_ieee_overflow 0
		.amdhsa_exception_fp_ieee_underflow 0
		.amdhsa_exception_fp_ieee_inexact 0
		.amdhsa_exception_int_div_zero 0
	.end_amdhsa_kernel
	.section	.text._ZL29rocblas_internal_gemmt_kernelIlLi16ELi32ELi8ELc78ELc78ELc85ELb0ELb0E19rocblas_complex_numIfES1_PKS1_PS1_EviT_T9_T10_S5_lS7_S5_lS6_T11_S5_li,"axG",@progbits,_ZL29rocblas_internal_gemmt_kernelIlLi16ELi32ELi8ELc78ELc78ELc85ELb0ELb0E19rocblas_complex_numIfES1_PKS1_PS1_EviT_T9_T10_S5_lS7_S5_lS6_T11_S5_li,comdat
.Lfunc_end234:
	.size	_ZL29rocblas_internal_gemmt_kernelIlLi16ELi32ELi8ELc78ELc78ELc85ELb0ELb0E19rocblas_complex_numIfES1_PKS1_PS1_EviT_T9_T10_S5_lS7_S5_lS6_T11_S5_li, .Lfunc_end234-_ZL29rocblas_internal_gemmt_kernelIlLi16ELi32ELi8ELc78ELc78ELc85ELb0ELb0E19rocblas_complex_numIfES1_PKS1_PS1_EviT_T9_T10_S5_lS7_S5_lS6_T11_S5_li
                                        ; -- End function
	.set _ZL29rocblas_internal_gemmt_kernelIlLi16ELi32ELi8ELc78ELc78ELc85ELb0ELb0E19rocblas_complex_numIfES1_PKS1_PS1_EviT_T9_T10_S5_lS7_S5_lS6_T11_S5_li.num_vgpr, 58
	.set _ZL29rocblas_internal_gemmt_kernelIlLi16ELi32ELi8ELc78ELc78ELc85ELb0ELb0E19rocblas_complex_numIfES1_PKS1_PS1_EviT_T9_T10_S5_lS7_S5_lS6_T11_S5_li.num_agpr, 0
	.set _ZL29rocblas_internal_gemmt_kernelIlLi16ELi32ELi8ELc78ELc78ELc85ELb0ELb0E19rocblas_complex_numIfES1_PKS1_PS1_EviT_T9_T10_S5_lS7_S5_lS6_T11_S5_li.numbered_sgpr, 36
	.set _ZL29rocblas_internal_gemmt_kernelIlLi16ELi32ELi8ELc78ELc78ELc85ELb0ELb0E19rocblas_complex_numIfES1_PKS1_PS1_EviT_T9_T10_S5_lS7_S5_lS6_T11_S5_li.num_named_barrier, 0
	.set _ZL29rocblas_internal_gemmt_kernelIlLi16ELi32ELi8ELc78ELc78ELc85ELb0ELb0E19rocblas_complex_numIfES1_PKS1_PS1_EviT_T9_T10_S5_lS7_S5_lS6_T11_S5_li.private_seg_size, 0
	.set _ZL29rocblas_internal_gemmt_kernelIlLi16ELi32ELi8ELc78ELc78ELc85ELb0ELb0E19rocblas_complex_numIfES1_PKS1_PS1_EviT_T9_T10_S5_lS7_S5_lS6_T11_S5_li.uses_vcc, 1
	.set _ZL29rocblas_internal_gemmt_kernelIlLi16ELi32ELi8ELc78ELc78ELc85ELb0ELb0E19rocblas_complex_numIfES1_PKS1_PS1_EviT_T9_T10_S5_lS7_S5_lS6_T11_S5_li.uses_flat_scratch, 0
	.set _ZL29rocblas_internal_gemmt_kernelIlLi16ELi32ELi8ELc78ELc78ELc85ELb0ELb0E19rocblas_complex_numIfES1_PKS1_PS1_EviT_T9_T10_S5_lS7_S5_lS6_T11_S5_li.has_dyn_sized_stack, 0
	.set _ZL29rocblas_internal_gemmt_kernelIlLi16ELi32ELi8ELc78ELc78ELc85ELb0ELb0E19rocblas_complex_numIfES1_PKS1_PS1_EviT_T9_T10_S5_lS7_S5_lS6_T11_S5_li.has_recursion, 0
	.set _ZL29rocblas_internal_gemmt_kernelIlLi16ELi32ELi8ELc78ELc78ELc85ELb0ELb0E19rocblas_complex_numIfES1_PKS1_PS1_EviT_T9_T10_S5_lS7_S5_lS6_T11_S5_li.has_indirect_call, 0
	.section	.AMDGPU.csdata,"",@progbits
; Kernel info:
; codeLenInByte = 3196
; TotalNumSgprs: 38
; NumVgprs: 58
; ScratchSize: 0
; MemoryBound: 0
; FloatMode: 240
; IeeeMode: 1
; LDSByteSize: 4096 bytes/workgroup (compile time only)
; SGPRBlocks: 0
; VGPRBlocks: 3
; NumSGPRsForWavesPerEU: 38
; NumVGPRsForWavesPerEU: 58
; NamedBarCnt: 0
; Occupancy: 16
; WaveLimiterHint : 0
; COMPUTE_PGM_RSRC2:SCRATCH_EN: 0
; COMPUTE_PGM_RSRC2:USER_SGPR: 2
; COMPUTE_PGM_RSRC2:TRAP_HANDLER: 0
; COMPUTE_PGM_RSRC2:TGID_X_EN: 1
; COMPUTE_PGM_RSRC2:TGID_Y_EN: 1
; COMPUTE_PGM_RSRC2:TGID_Z_EN: 1
; COMPUTE_PGM_RSRC2:TIDIG_COMP_CNT: 1
	.section	.text._ZL29rocblas_internal_gemmt_kernelIlLi16ELi32ELi8ELc78ELc84ELc85ELb0ELb0E19rocblas_complex_numIfES1_PKS1_PS1_EviT_T9_T10_S5_lS7_S5_lS6_T11_S5_li,"axG",@progbits,_ZL29rocblas_internal_gemmt_kernelIlLi16ELi32ELi8ELc78ELc84ELc85ELb0ELb0E19rocblas_complex_numIfES1_PKS1_PS1_EviT_T9_T10_S5_lS7_S5_lS6_T11_S5_li,comdat
	.globl	_ZL29rocblas_internal_gemmt_kernelIlLi16ELi32ELi8ELc78ELc84ELc85ELb0ELb0E19rocblas_complex_numIfES1_PKS1_PS1_EviT_T9_T10_S5_lS7_S5_lS6_T11_S5_li ; -- Begin function _ZL29rocblas_internal_gemmt_kernelIlLi16ELi32ELi8ELc78ELc84ELc85ELb0ELb0E19rocblas_complex_numIfES1_PKS1_PS1_EviT_T9_T10_S5_lS7_S5_lS6_T11_S5_li
	.p2align	8
	.type	_ZL29rocblas_internal_gemmt_kernelIlLi16ELi32ELi8ELc78ELc84ELc85ELb0ELb0E19rocblas_complex_numIfES1_PKS1_PS1_EviT_T9_T10_S5_lS7_S5_lS6_T11_S5_li,@function
_ZL29rocblas_internal_gemmt_kernelIlLi16ELi32ELi8ELc78ELc84ELc85ELb0ELb0E19rocblas_complex_numIfES1_PKS1_PS1_EviT_T9_T10_S5_lS7_S5_lS6_T11_S5_li: ; @_ZL29rocblas_internal_gemmt_kernelIlLi16ELi32ELi8ELc78ELc84ELc85ELb0ELb0E19rocblas_complex_numIfES1_PKS1_PS1_EviT_T9_T10_S5_lS7_S5_lS6_T11_S5_li
; %bb.0:
	s_clause 0x1
	s_load_b64 s[24:25], s[0:1], 0x48
	s_load_b128 s[12:15], s[0:1], 0x8
	s_wait_kmcnt 0x0
	s_cmp_neq_f32 s24, 1.0
	s_cselect_b32 s2, -1, 0
	s_and_b32 s4, s25, 0x7fffffff
	s_delay_alu instid0(SALU_CYCLE_1) | instskip(SKIP_3) | instid1(SALU_CYCLE_1)
	s_cmp_eq_u32 s4, 0
	s_cselect_b32 s3, -1, 0
	s_cmp_lg_u32 s4, 0
	s_cselect_b32 s4, -1, 0
	s_or_b32 s2, s2, s4
	s_delay_alu instid0(SALU_CYCLE_1)
	s_and_b32 vcc_lo, exec_lo, s2
	s_cbranch_vccnz .LBB235_2
; %bb.1:
	s_cmp_lg_u64 s[12:13], 0
	s_cselect_b32 s2, -1, 0
	s_cmp_neq_f32 s14, 0
	s_cselect_b32 s4, -1, 0
	s_cmp_neq_f32 s15, 0
	s_cselect_b32 s5, -1, 0
	s_delay_alu instid0(SALU_CYCLE_1) | instskip(NEXT) | instid1(SALU_CYCLE_1)
	s_or_b32 s4, s4, s5
	s_and_b32 s2, s2, s4
.LBB235_2:
	s_delay_alu instid0(SALU_CYCLE_1)
	s_and_not1_b32 vcc_lo, exec_lo, s2
	s_cbranch_vccnz .LBB235_35
; %bb.3:
	s_load_b32 s30, s[0:1], 0x68
	s_bfe_u32 s2, ttmp6, 0x40014
	s_lshr_b32 s4, ttmp7, 16
	s_add_co_i32 s2, s2, 1
	s_bfe_u32 s6, ttmp6, 0x40008
	s_mul_i32 s5, s4, s2
	s_getreg_b32 s2, hwreg(HW_REG_IB_STS2, 6, 4)
	s_add_co_i32 s6, s6, s5
	s_cmp_eq_u32 s2, 0
	s_mov_b32 s27, 0
	s_cselect_b32 s26, s4, s6
	s_wait_kmcnt 0x0
	s_cmp_ge_u32 s26, s30
	s_cbranch_scc1 .LBB235_35
; %bb.4:
	s_bfe_u32 s5, ttmp6, 0x4000c
	s_bfe_u32 s7, ttmp6, 0x40010
	s_and_b32 s6, ttmp7, 0xffff
	s_add_co_i32 s5, s5, 1
	s_add_co_i32 s7, s7, 1
	v_and_b32_e32 v15, 0x3ff, v0
	v_bfe_u32 v19, v0, 10, 10
	s_and_b32 s4, ttmp6, 15
	s_mul_i32 s5, ttmp9, s5
	s_mul_i32 s7, s6, s7
	s_bfe_u32 s8, ttmp6, 0x40004
	s_add_co_i32 s4, s4, s5
	s_add_co_i32 s8, s8, s7
	s_cmp_eq_u32 s2, 0
	v_and_b32_e32 v4, 7, v0
	v_lshl_add_u32 v0, v19, 4, v15
	s_cselect_b32 s2, ttmp9, s4
	s_cselect_b32 s4, s6, s8
	s_clause 0x2
	s_load_b128 s[16:19], s[0:1], 0x38
	s_load_b128 s[20:23], s[0:1], 0x50
	s_load_b64 s[28:29], s[0:1], 0x60
	s_lshl_b32 s33, s4, 5
	v_dual_lshrrev_b32 v3, 3, v0 :: v_dual_bitop2_b32 v1, 31, v0 bitop3:0x40
	v_add_nc_u32_e32 v20, s33, v19
	s_lshl_b32 s2, s2, 5
	s_delay_alu instid0(VALU_DEP_2) | instskip(NEXT) | instid1(VALU_DEP_3)
	v_dual_lshrrev_b32 v6, 5, v0 :: v_dual_add_nc_u32 v2, s33, v3
	v_dual_lshlrev_b32 v5, 3, v1 :: v_dual_bitop2_b32 v0, s2, v1 bitop3:0x54
	s_delay_alu instid0(VALU_DEP_3) | instskip(SKIP_1) | instid1(VALU_DEP_2)
	v_dual_add_nc_u32 v22, 16, v20 :: v_dual_ashrrev_i32 v21, 31, v20
	s_load_b32 s31, s[0:1], 0x0
	v_ashrrev_i32_e32 v1, 31, v0
	s_load_b256 s[4:11], s[0:1], 0x18
	s_delay_alu instid0(VALU_DEP_2)
	v_ashrrev_i32_e32 v23, 31, v22
	s_cmp_neq_f32 s14, 0
	v_dual_add_nc_u32 v14, s2, v15 :: v_dual_lshlrev_b32 v27, 3, v15
	s_wait_kmcnt 0x0
	v_mul_u64_e32 v[10:11], s[22:23], v[20:21]
	v_mul_u64_e32 v[12:13], s[22:23], v[22:23]
	s_cselect_b32 s34, -1, 0
	s_cmp_neq_f32 s15, 0
	v_lshlrev_b32_e32 v7, 3, v4
	v_cmp_le_i32_e64 s2, v14, v20
	v_dual_add_nc_u32 v18, 16, v14 :: v_dual_ashrrev_i32 v15, 31, v14
	s_cselect_b32 s0, -1, 0
	v_cmp_gt_i64_e64 s36, s[12:13], 0
	s_or_b32 s35, s34, s0
	s_cmp_neq_f32 s24, 0
	v_lshl_or_b32 v5, v6, 8, v5
	v_cmp_gt_i32_e32 vcc_lo, s31, v20
	v_cmp_gt_i32_e64 s0, s31, v0
	v_lshl_add_u64 v[8:9], v[0:1], 3, s[4:5]
	v_lshl_or_b32 v0, v3, 6, v7
	v_ashrrev_i32_e32 v3, 31, v2
	s_cselect_b32 s4, -1, 0
	s_xor_b32 s3, s3, -1
	s_and_b32 s23, vcc_lo, s2
	s_or_b32 s22, s4, s3
	v_cmp_le_i32_e64 s2, v18, v20
	v_cmp_gt_i32_e64 s3, s31, v22
	v_cmp_le_i32_e64 s4, v14, v22
	v_cmp_le_i32_e64 s5, v18, v22
	v_cmp_gt_i32_e64 s1, s31, v2
	v_add_nc_u32_e32 v7, 0x800, v0
	v_lshl_add_u64 v[16:17], v[2:3], 3, s[10:11]
	v_lshl_add_u32 v29, v19, 6, 0x800
	v_dual_ashrrev_i32 v19, 31, v18 :: v_dual_mov_b32 v21, 0
	s_and_b32 s31, vcc_lo, s2
	s_and_b32 s33, s3, s4
	s_and_b32 s34, s3, s5
	s_mov_b32 s2, s24
	s_mov_b32 s3, s24
	s_and_b32 s35, s35, s36
	s_mov_b32 s24, s25
	s_mov_b32 s4, s15
	;; [unrolled: 1-line block ×3, first 2 shown]
	s_branch .LBB235_6
.LBB235_5:                              ;   in Loop: Header=BB235_6 Depth=1
	s_wait_xcnt 0x0
	s_or_b32 exec_lo, exec_lo, s10
	s_add_co_i32 s26, s26, 0x10000
	s_delay_alu instid0(SALU_CYCLE_1)
	s_cmp_lt_u32 s26, s30
	s_cbranch_scc0 .LBB235_35
.LBB235_6:                              ; =>This Loop Header: Depth=1
                                        ;     Child Loop BB235_9 Depth 2
	v_dual_mov_b32 v38, v21 :: v_dual_mov_b32 v40, v21
	v_dual_mov_b32 v34, v21 :: v_dual_mov_b32 v36, v21
	v_dual_mov_b32 v30, v21 :: v_dual_mov_b32 v32, v21
	v_dual_mov_b32 v26, v21 :: v_dual_mov_b32 v28, v21
	s_and_not1_b32 vcc_lo, exec_lo, s35
	s_cbranch_vccnz .LBB235_15
; %bb.7:                                ;   in Loop: Header=BB235_6 Depth=1
	s_mul_u64 s[10:11], s[8:9], s[26:27]
	s_mul_u64 s[36:37], s[18:19], s[26:27]
	v_lshl_add_u64 v[22:23], s[10:11], 3, v[8:9]
	v_lshl_add_u64 v[24:25], s[36:37], 3, v[16:17]
	v_dual_mov_b32 v28, 0 :: v_dual_mov_b32 v26, 0
	v_dual_mov_b32 v32, 0 :: v_dual_mov_b32 v30, 0
	;; [unrolled: 1-line block ×4, first 2 shown]
	s_mov_b64 s[10:11], 0
	s_branch .LBB235_9
.LBB235_8:                              ;   in Loop: Header=BB235_9 Depth=2
	s_wait_xcnt 0x0
	s_or_b32 exec_lo, exec_lo, s36
	s_wait_loadcnt 0x0
	ds_store_b64 v7, v[2:3]
	s_wait_dscnt 0x0
	s_barrier_signal -1
	s_barrier_wait -1
	ds_load_b128 v[42:45], v29
	ds_load_b128 v[46:49], v29 offset:16
	ds_load_b128 v[50:53], v29 offset:32
	;; [unrolled: 1-line block ×3, first 2 shown]
	ds_load_2addr_b64 v[54:57], v27 offset1:16
	s_add_nc_u64 s[10:11], s[10:11], 8
	s_delay_alu instid0(SALU_CYCLE_1) | instskip(SKIP_3) | instid1(VALU_DEP_1)
	v_cmp_gt_i64_e64 s36, s[12:13], s[10:11]
	s_and_b32 vcc_lo, exec_lo, s36
	s_wait_dscnt 0x0
	v_dual_mul_f32 v20, v43, v55 :: v_dual_mul_f32 v31, v42, v55
	v_dual_mul_f32 v33, v42, v57 :: v_dual_fma_f32 v20, v42, v54, -v20
	s_delay_alu instid0(VALU_DEP_1) | instskip(NEXT) | instid1(VALU_DEP_1)
	v_dual_fmac_f32 v31, v43, v54 :: v_dual_fmac_f32 v33, v43, v56
	v_dual_add_f32 v20, v38, v20 :: v_dual_add_f32 v38, v40, v31
	v_mul_f32_e32 v31, v43, v57
	s_delay_alu instid0(VALU_DEP_1) | instskip(NEXT) | instid1(VALU_DEP_1)
	v_dual_add_f32 v40, v36, v33 :: v_dual_fma_f32 v31, v42, v56, -v31
	v_add_f32_e32 v39, v34, v31
	ds_load_b128 v[34:37], v29 offset:1024
	s_wait_dscnt 0x0
	v_dual_mul_f32 v31, v35, v55 :: v_dual_mul_f32 v33, v34, v55
	s_delay_alu instid0(VALU_DEP_1) | instskip(NEXT) | instid1(VALU_DEP_1)
	v_dual_fma_f32 v31, v34, v54, -v31 :: v_dual_fmac_f32 v33, v35, v54
	v_dual_add_f32 v41, v30, v31 :: v_dual_add_f32 v42, v32, v33
	v_dual_mul_f32 v30, v35, v57 :: v_dual_mul_f32 v31, v34, v57
	s_delay_alu instid0(VALU_DEP_1) | instskip(NEXT) | instid1(VALU_DEP_1)
	v_dual_fma_f32 v30, v34, v56, -v30 :: v_dual_fmac_f32 v31, v35, v56
	v_dual_add_f32 v26, v26, v30 :: v_dual_add_f32 v28, v28, v31
	ds_load_2addr_b64 v[30:33], v27 offset0:32 offset1:48
	s_wait_dscnt 0x0
	v_dual_mul_f32 v34, v45, v31 :: v_dual_mul_f32 v35, v44, v31
	s_delay_alu instid0(VALU_DEP_1) | instskip(NEXT) | instid1(VALU_DEP_1)
	v_dual_fma_f32 v34, v44, v30, -v34 :: v_dual_fmac_f32 v35, v45, v30
	v_dual_add_f32 v20, v20, v34 :: v_dual_add_f32 v34, v38, v35
	v_dual_mul_f32 v35, v45, v33 :: v_dual_mul_f32 v38, v44, v33
	s_delay_alu instid0(VALU_DEP_1) | instskip(NEXT) | instid1(VALU_DEP_1)
	v_dual_fma_f32 v35, v44, v32, -v35 :: v_dual_fmac_f32 v38, v45, v32
	v_dual_add_f32 v35, v39, v35 :: v_dual_add_f32 v38, v40, v38
	v_dual_mul_f32 v39, v37, v31 :: v_dual_mul_f32 v31, v36, v31
	s_delay_alu instid0(VALU_DEP_1) | instskip(NEXT) | instid1(VALU_DEP_2)
	v_fmac_f32_e32 v31, v37, v30
	v_dual_fma_f32 v39, v36, v30, -v39 :: v_dual_mul_f32 v30, v37, v33
	s_delay_alu instid0(VALU_DEP_2) | instskip(NEXT) | instid1(VALU_DEP_2)
	v_add_f32_e32 v40, v42, v31
	v_dual_add_f32 v39, v41, v39 :: v_dual_fma_f32 v30, v36, v32, -v30
	s_delay_alu instid0(VALU_DEP_1) | instskip(NEXT) | instid1(VALU_DEP_1)
	v_dual_mul_f32 v31, v36, v33 :: v_dual_add_f32 v26, v26, v30
	v_fmac_f32_e32 v31, v37, v32
	s_delay_alu instid0(VALU_DEP_1) | instskip(SKIP_3) | instid1(VALU_DEP_1)
	v_add_f32_e32 v28, v28, v31
	ds_load_2addr_b64 v[30:33], v27 offset0:64 offset1:80
	s_wait_dscnt 0x0
	v_mul_f32_e32 v36, v47, v31
	v_dual_fma_f32 v36, v46, v30, -v36 :: v_dual_mul_f32 v37, v46, v31
	s_delay_alu instid0(VALU_DEP_1) | instskip(SKIP_1) | instid1(VALU_DEP_2)
	v_dual_add_f32 v20, v20, v36 :: v_dual_fmac_f32 v37, v47, v30
	v_mul_f32_e32 v36, v46, v33
	v_add_f32_e32 v41, v34, v37
	v_mul_f32_e32 v34, v47, v33
	s_delay_alu instid0(VALU_DEP_1) | instskip(NEXT) | instid1(VALU_DEP_1)
	v_fma_f32 v34, v46, v32, -v34
	v_add_f32_e32 v42, v35, v34
	v_fmac_f32_e32 v36, v47, v32
	s_delay_alu instid0(VALU_DEP_1) | instskip(SKIP_3) | instid1(VALU_DEP_1)
	v_add_f32_e32 v38, v38, v36
	ds_load_b128 v[34:37], v29 offset:1040
	s_wait_dscnt 0x0
	v_dual_mul_f32 v43, v35, v31 :: v_dual_mul_f32 v31, v34, v31
	v_fma_f32 v43, v34, v30, -v43
	s_delay_alu instid0(VALU_DEP_2) | instskip(NEXT) | instid1(VALU_DEP_2)
	v_dual_fmac_f32 v31, v35, v30 :: v_dual_mul_f32 v30, v35, v33
	v_add_f32_e32 v39, v39, v43
	s_delay_alu instid0(VALU_DEP_2) | instskip(NEXT) | instid1(VALU_DEP_1)
	v_dual_add_f32 v40, v40, v31 :: v_dual_mul_f32 v31, v34, v33
	v_dual_fma_f32 v30, v34, v32, -v30 :: v_dual_fmac_f32 v31, v35, v32
	s_delay_alu instid0(VALU_DEP_1) | instskip(SKIP_3) | instid1(VALU_DEP_1)
	v_dual_add_f32 v26, v26, v30 :: v_dual_add_f32 v28, v28, v31
	ds_load_2addr_b64 v[30:33], v27 offset0:96 offset1:112
	s_wait_dscnt 0x0
	v_dual_mul_f32 v34, v49, v31 :: v_dual_mul_f32 v35, v48, v31
	v_dual_fma_f32 v34, v48, v30, -v34 :: v_dual_fmac_f32 v35, v49, v30
	s_delay_alu instid0(VALU_DEP_1) | instskip(SKIP_1) | instid1(VALU_DEP_1)
	v_dual_add_f32 v20, v20, v34 :: v_dual_add_f32 v34, v41, v35
	v_mul_f32_e32 v41, v48, v33
	v_fmac_f32_e32 v41, v49, v32
	s_delay_alu instid0(VALU_DEP_1) | instskip(SKIP_1) | instid1(VALU_DEP_2)
	v_dual_add_f32 v38, v38, v41 :: v_dual_mul_f32 v41, v37, v31
	v_dual_mul_f32 v35, v49, v33 :: v_dual_mul_f32 v31, v36, v31
	v_fma_f32 v41, v36, v30, -v41
	s_delay_alu instid0(VALU_DEP_2) | instskip(NEXT) | instid1(VALU_DEP_3)
	v_fma_f32 v35, v48, v32, -v35
	v_dual_fmac_f32 v31, v37, v30 :: v_dual_mul_f32 v30, v37, v33
	s_delay_alu instid0(VALU_DEP_2) | instskip(NEXT) | instid1(VALU_DEP_2)
	v_dual_add_f32 v39, v39, v41 :: v_dual_add_f32 v35, v42, v35
	v_add_f32_e32 v40, v40, v31
	s_delay_alu instid0(VALU_DEP_3) | instskip(NEXT) | instid1(VALU_DEP_1)
	v_dual_fma_f32 v30, v36, v32, -v30 :: v_dual_mul_f32 v31, v36, v33
	v_dual_fmac_f32 v31, v37, v32 :: v_dual_add_f32 v26, v26, v30
	s_delay_alu instid0(VALU_DEP_1) | instskip(SKIP_3) | instid1(VALU_DEP_1)
	v_add_f32_e32 v28, v28, v31
	ds_load_2addr_b64 v[30:33], v27 offset0:128 offset1:144
	s_wait_dscnt 0x0
	v_dual_mul_f32 v36, v51, v31 :: v_dual_mul_f32 v37, v50, v31
	v_dual_fma_f32 v36, v50, v30, -v36 :: v_dual_fmac_f32 v37, v51, v30
	s_delay_alu instid0(VALU_DEP_1) | instskip(SKIP_1) | instid1(VALU_DEP_1)
	v_dual_add_f32 v20, v20, v36 :: v_dual_add_f32 v41, v34, v37
	v_dual_mul_f32 v34, v51, v33 :: v_dual_mul_f32 v36, v50, v33
	v_dual_fma_f32 v34, v50, v32, -v34 :: v_dual_fmac_f32 v36, v51, v32
	s_delay_alu instid0(VALU_DEP_1) | instskip(SKIP_3) | instid1(VALU_DEP_1)
	v_dual_add_f32 v42, v35, v34 :: v_dual_add_f32 v38, v38, v36
	ds_load_b128 v[34:37], v29 offset:1056
	s_wait_dscnt 0x0
	v_dual_mul_f32 v43, v35, v31 :: v_dual_mul_f32 v31, v34, v31
	v_fmac_f32_e32 v31, v35, v30
	s_delay_alu instid0(VALU_DEP_2) | instskip(NEXT) | instid1(VALU_DEP_2)
	v_dual_fma_f32 v43, v34, v30, -v43 :: v_dual_mul_f32 v30, v35, v33
	v_dual_add_f32 v40, v40, v31 :: v_dual_mul_f32 v31, v34, v33
	s_delay_alu instid0(VALU_DEP_2) | instskip(NEXT) | instid1(VALU_DEP_1)
	v_dual_add_f32 v39, v39, v43 :: v_dual_fma_f32 v30, v34, v32, -v30
	v_dual_fmac_f32 v31, v35, v32 :: v_dual_add_f32 v26, v26, v30
	s_delay_alu instid0(VALU_DEP_1) | instskip(SKIP_3) | instid1(VALU_DEP_1)
	v_add_f32_e32 v28, v28, v31
	ds_load_2addr_b64 v[30:33], v27 offset0:160 offset1:176
	s_wait_dscnt 0x0
	v_dual_mul_f32 v34, v53, v31 :: v_dual_mul_f32 v35, v52, v31
	v_dual_fma_f32 v34, v52, v30, -v34 :: v_dual_fmac_f32 v35, v53, v30
	s_delay_alu instid0(VALU_DEP_1) | instskip(SKIP_1) | instid1(VALU_DEP_1)
	v_dual_add_f32 v20, v20, v34 :: v_dual_add_f32 v34, v41, v35
	v_mul_f32_e32 v41, v52, v33
	v_fmac_f32_e32 v41, v53, v32
	s_delay_alu instid0(VALU_DEP_1) | instskip(SKIP_1) | instid1(VALU_DEP_2)
	v_dual_add_f32 v38, v38, v41 :: v_dual_mul_f32 v41, v37, v31
	v_dual_mul_f32 v35, v53, v33 :: v_dual_mul_f32 v31, v36, v31
	v_fma_f32 v41, v36, v30, -v41
	s_delay_alu instid0(VALU_DEP_2) | instskip(NEXT) | instid1(VALU_DEP_3)
	v_fma_f32 v35, v52, v32, -v35
	v_dual_fmac_f32 v31, v37, v30 :: v_dual_mul_f32 v30, v37, v33
	s_delay_alu instid0(VALU_DEP_2) | instskip(NEXT) | instid1(VALU_DEP_2)
	v_dual_add_f32 v39, v39, v41 :: v_dual_add_f32 v35, v42, v35
	v_add_f32_e32 v44, v40, v31
	s_delay_alu instid0(VALU_DEP_3) | instskip(SKIP_2) | instid1(VALU_DEP_1)
	v_dual_fma_f32 v30, v36, v32, -v30 :: v_dual_mul_f32 v31, v36, v33
	ds_load_b128 v[40:43], v29 offset:1072
	v_dual_fmac_f32 v31, v37, v32 :: v_dual_add_f32 v26, v26, v30
	v_add_f32_e32 v28, v28, v31
	ds_load_2addr_b64 v[30:33], v27 offset0:192 offset1:208
	s_wait_dscnt 0x0
	v_dual_mul_f32 v36, v1, v31 :: v_dual_mul_f32 v37, v0, v31
	s_delay_alu instid0(VALU_DEP_1) | instskip(NEXT) | instid1(VALU_DEP_1)
	v_dual_fma_f32 v36, v0, v30, -v36 :: v_dual_fmac_f32 v37, v1, v30
	v_dual_add_f32 v20, v20, v36 :: v_dual_add_f32 v34, v34, v37
	v_mul_f32_e32 v36, v1, v33
	s_delay_alu instid0(VALU_DEP_1) | instskip(NEXT) | instid1(VALU_DEP_1)
	v_dual_fma_f32 v36, v0, v32, -v36 :: v_dual_mul_f32 v0, v0, v33
	v_fmac_f32_e32 v0, v1, v32
	s_delay_alu instid0(VALU_DEP_2) | instskip(NEXT) | instid1(VALU_DEP_1)
	v_dual_add_f32 v1, v35, v36 :: v_dual_mul_f32 v35, v41, v31
	v_dual_mul_f32 v31, v40, v31 :: v_dual_fma_f32 v35, v40, v30, -v35
	s_delay_alu instid0(VALU_DEP_1) | instskip(NEXT) | instid1(VALU_DEP_2)
	v_dual_add_f32 v0, v38, v0 :: v_dual_fmac_f32 v31, v41, v30
	v_dual_add_f32 v30, v39, v35 :: v_dual_mul_f32 v35, v41, v33
	v_mul_f32_e32 v33, v40, v33
	s_delay_alu instid0(VALU_DEP_3)
	v_add_f32_e32 v31, v44, v31
	ds_load_2addr_b64 v[44:47], v27 offset0:224 offset1:240
	s_wait_dscnt 0x0
	v_dual_fma_f32 v35, v40, v32, -v35 :: v_dual_fmac_f32 v33, v41, v32
	s_barrier_signal -1
	s_barrier_wait -1
	s_delay_alu instid0(VALU_DEP_1) | instskip(SKIP_1) | instid1(VALU_DEP_1)
	v_dual_add_f32 v26, v26, v35 :: v_dual_add_f32 v28, v28, v33
	v_dual_mul_f32 v32, v3, v45 :: v_dual_mul_f32 v33, v2, v45
	v_dual_fma_f32 v32, v2, v44, -v32 :: v_dual_fmac_f32 v33, v3, v44
	s_delay_alu instid0(VALU_DEP_1) | instskip(SKIP_1) | instid1(VALU_DEP_1)
	v_dual_add_f32 v38, v20, v32 :: v_dual_add_f32 v40, v34, v33
	v_mul_f32_e32 v20, v3, v47
	v_dual_fma_f32 v20, v2, v46, -v20 :: v_dual_mul_f32 v2, v2, v47
	s_delay_alu instid0(VALU_DEP_1) | instskip(NEXT) | instid1(VALU_DEP_1)
	v_dual_fmac_f32 v2, v3, v46 :: v_dual_add_f32 v34, v1, v20
	v_dual_mul_f32 v1, v42, v45 :: v_dual_add_f32 v36, v0, v2
	s_delay_alu instid0(VALU_DEP_1) | instskip(NEXT) | instid1(VALU_DEP_1)
	v_dual_mul_f32 v0, v43, v45 :: v_dual_fmac_f32 v1, v43, v44
	v_dual_fma_f32 v0, v42, v44, -v0 :: v_dual_add_f32 v32, v31, v1
	v_mul_f32_e32 v1, v42, v47
	s_delay_alu instid0(VALU_DEP_2) | instskip(NEXT) | instid1(VALU_DEP_1)
	v_dual_add_f32 v30, v30, v0 :: v_dual_mul_f32 v0, v43, v47
	v_dual_fmac_f32 v1, v43, v46 :: v_dual_fma_f32 v0, v42, v46, -v0
	s_delay_alu instid0(VALU_DEP_1)
	v_dual_add_f32 v28, v28, v1 :: v_dual_add_f32 v26, v26, v0
	s_cbranch_vccz .LBB235_15
.LBB235_9:                              ;   Parent Loop BB235_6 Depth=1
                                        ; =>  This Inner Loop Header: Depth=2
	v_dual_mov_b32 v0, 0 :: v_dual_mov_b32 v1, 0
	s_and_saveexec_b32 s36, s0
	s_cbranch_execz .LBB235_13
; %bb.10:                               ;   in Loop: Header=BB235_9 Depth=2
	v_dual_mov_b32 v1, 0 :: v_dual_add_nc_u32 v20, s10, v6
	v_mov_b32_e32 v0, 0
	s_mov_b32 s37, exec_lo
	s_delay_alu instid0(VALU_DEP_2)
	v_cmpx_gt_u64_e64 s[12:13], v[20:21]
	s_cbranch_execz .LBB235_12
; %bb.11:                               ;   in Loop: Header=BB235_9 Depth=2
	v_mul_u64_e32 v[0:1], s[6:7], v[20:21]
	s_delay_alu instid0(VALU_DEP_1)
	v_lshl_add_u64 v[0:1], v[0:1], 3, v[22:23]
	global_load_b64 v[0:1], v[0:1], off
.LBB235_12:                             ;   in Loop: Header=BB235_9 Depth=2
	s_wait_xcnt 0x0
	s_or_b32 exec_lo, exec_lo, s37
.LBB235_13:                             ;   in Loop: Header=BB235_9 Depth=2
	s_delay_alu instid0(SALU_CYCLE_1)
	s_or_b32 exec_lo, exec_lo, s36
	v_dual_add_nc_u32 v20, s10, v4 :: v_dual_mov_b32 v2, 0
	v_mov_b32_e32 v3, 0
	s_wait_loadcnt 0x0
	ds_store_b64 v5, v[0:1]
	v_cmp_gt_u64_e32 vcc_lo, s[12:13], v[20:21]
	s_and_b32 s37, vcc_lo, s1
	s_delay_alu instid0(SALU_CYCLE_1)
	s_and_saveexec_b32 s36, s37
	s_cbranch_execz .LBB235_8
; %bb.14:                               ;   in Loop: Header=BB235_9 Depth=2
	v_mul_u64_e32 v[0:1], s[16:17], v[20:21]
	s_delay_alu instid0(VALU_DEP_1)
	v_lshl_add_u64 v[0:1], v[0:1], 3, v[24:25]
	global_load_b64 v[2:3], v[0:1], off
	s_branch .LBB235_8
.LBB235_15:                             ;   in Loop: Header=BB235_6 Depth=1
	s_mul_u64 s[10:11], s[28:29], s[26:27]
	s_delay_alu instid0(SALU_CYCLE_1) | instskip(NEXT) | instid1(SALU_CYCLE_1)
	s_lshl_b64 s[10:11], s[10:11], 3
	s_add_nc_u64 s[10:11], s[20:21], s[10:11]
	s_delay_alu instid0(SALU_CYCLE_1)
	v_lshl_add_u64 v[0:1], v[10:11], 3, s[10:11]
	s_and_saveexec_b32 s36, s23
	s_cbranch_execz .LBB235_20
; %bb.16:                               ;   in Loop: Header=BB235_6 Depth=1
	v_mov_b64_e32 v[2:3], s[4:5]
	v_mov_b64_e32 v[22:23], s[14:15]
	s_and_b32 vcc_lo, exec_lo, s22
	s_mov_b32 s37, -1
	s_delay_alu instid0(VALU_DEP_2) | instskip(NEXT) | instid1(VALU_DEP_1)
	v_pk_mul_f32 v[2:3], v[40:41], v[2:3] op_sel_hi:[0,1]
	v_pk_fma_f32 v[24:25], v[38:39], v[22:23], v[2:3] op_sel_hi:[0,1,1]
	v_pk_fma_f32 v[2:3], v[38:39], v[22:23], v[2:3] neg_lo:[0,0,1] neg_hi:[0,0,1]
	v_lshl_add_u64 v[22:23], v[14:15], 3, v[0:1]
	s_delay_alu instid0(VALU_DEP_3)
	v_mov_b32_e32 v3, v25
	s_cbranch_vccz .LBB235_18
; %bb.17:                               ;   in Loop: Header=BB235_6 Depth=1
	global_load_b64 v[24:25], v[22:23], off
	v_mov_b64_e32 v[38:39], s[24:25]
	v_mov_b64_e32 v[40:41], s[2:3]
	s_mov_b32 s37, 0
	s_wait_loadcnt 0x0
	s_delay_alu instid0(VALU_DEP_2) | instskip(NEXT) | instid1(VALU_DEP_1)
	v_pk_mul_f32 v[38:39], v[24:25], v[38:39]
	v_pk_fma_f32 v[42:43], v[24:25], v[40:41], v[38:39] op_sel:[0,0,1] op_sel_hi:[1,1,0]
	v_pk_fma_f32 v[24:25], v[24:25], v[40:41], v[38:39] op_sel:[0,0,1] op_sel_hi:[1,1,0] neg_lo:[0,0,1] neg_hi:[0,0,1]
	s_delay_alu instid0(VALU_DEP_2) | instskip(NEXT) | instid1(VALU_DEP_1)
	v_mov_b32_e32 v25, v43
	v_pk_add_f32 v[24:25], v[2:3], v[24:25]
	global_store_b64 v[22:23], v[24:25], off
.LBB235_18:                             ;   in Loop: Header=BB235_6 Depth=1
	s_and_not1_b32 vcc_lo, exec_lo, s37
	s_cbranch_vccnz .LBB235_20
; %bb.19:                               ;   in Loop: Header=BB235_6 Depth=1
	global_store_b64 v[22:23], v[2:3], off
.LBB235_20:                             ;   in Loop: Header=BB235_6 Depth=1
	s_wait_xcnt 0x0
	s_or_b32 exec_lo, exec_lo, s36
	s_and_saveexec_b32 s36, s31
	s_cbranch_execz .LBB235_25
; %bb.21:                               ;   in Loop: Header=BB235_6 Depth=1
	v_mov_b64_e32 v[2:3], s[4:5]
	v_mov_b64_e32 v[22:23], s[14:15]
	v_lshl_add_u64 v[0:1], v[18:19], 3, v[0:1]
	s_and_not1_b32 vcc_lo, exec_lo, s22
	s_mov_b32 s37, -1
	s_delay_alu instid0(VALU_DEP_3) | instskip(NEXT) | instid1(VALU_DEP_1)
	v_pk_mul_f32 v[2:3], v[36:37], v[2:3] op_sel_hi:[0,1]
	v_pk_fma_f32 v[24:25], v[34:35], v[22:23], v[2:3] op_sel_hi:[0,1,1]
	v_pk_fma_f32 v[2:3], v[34:35], v[22:23], v[2:3] neg_lo:[0,0,1] neg_hi:[0,0,1]
	s_delay_alu instid0(VALU_DEP_2)
	v_mov_b32_e32 v3, v25
	s_cbranch_vccnz .LBB235_23
; %bb.22:                               ;   in Loop: Header=BB235_6 Depth=1
	global_load_b64 v[22:23], v[0:1], off
	v_mov_b64_e32 v[24:25], s[24:25]
	v_mov_b64_e32 v[34:35], s[2:3]
	s_mov_b32 s37, 0
	s_wait_loadcnt 0x0
	s_delay_alu instid0(VALU_DEP_2) | instskip(NEXT) | instid1(VALU_DEP_1)
	v_pk_mul_f32 v[24:25], v[22:23], v[24:25]
	v_pk_fma_f32 v[36:37], v[22:23], v[34:35], v[24:25] op_sel:[0,0,1] op_sel_hi:[1,1,0]
	v_pk_fma_f32 v[22:23], v[22:23], v[34:35], v[24:25] op_sel:[0,0,1] op_sel_hi:[1,1,0] neg_lo:[0,0,1] neg_hi:[0,0,1]
	s_delay_alu instid0(VALU_DEP_2) | instskip(NEXT) | instid1(VALU_DEP_1)
	v_mov_b32_e32 v23, v37
	v_pk_add_f32 v[22:23], v[2:3], v[22:23]
	global_store_b64 v[0:1], v[22:23], off
.LBB235_23:                             ;   in Loop: Header=BB235_6 Depth=1
	s_and_not1_b32 vcc_lo, exec_lo, s37
	s_cbranch_vccnz .LBB235_25
; %bb.24:                               ;   in Loop: Header=BB235_6 Depth=1
	global_store_b64 v[0:1], v[2:3], off
.LBB235_25:                             ;   in Loop: Header=BB235_6 Depth=1
	s_wait_xcnt 0x0
	s_or_b32 exec_lo, exec_lo, s36
	v_lshl_add_u64 v[0:1], v[12:13], 3, s[10:11]
	s_and_saveexec_b32 s10, s33
	s_cbranch_execz .LBB235_30
; %bb.26:                               ;   in Loop: Header=BB235_6 Depth=1
	v_mov_b64_e32 v[2:3], s[4:5]
	v_mov_b64_e32 v[22:23], s[14:15]
	s_and_not1_b32 vcc_lo, exec_lo, s22
	s_mov_b32 s11, -1
	s_delay_alu instid0(VALU_DEP_2) | instskip(NEXT) | instid1(VALU_DEP_1)
	v_pk_mul_f32 v[2:3], v[32:33], v[2:3] op_sel_hi:[0,1]
	v_pk_fma_f32 v[24:25], v[30:31], v[22:23], v[2:3] op_sel_hi:[0,1,1]
	v_pk_fma_f32 v[2:3], v[30:31], v[22:23], v[2:3] neg_lo:[0,0,1] neg_hi:[0,0,1]
	v_lshl_add_u64 v[22:23], v[14:15], 3, v[0:1]
	s_delay_alu instid0(VALU_DEP_3)
	v_mov_b32_e32 v3, v25
	s_cbranch_vccnz .LBB235_28
; %bb.27:                               ;   in Loop: Header=BB235_6 Depth=1
	global_load_b64 v[24:25], v[22:23], off
	v_mov_b64_e32 v[30:31], s[24:25]
	v_mov_b64_e32 v[32:33], s[2:3]
	s_mov_b32 s11, 0
	s_wait_loadcnt 0x0
	s_delay_alu instid0(VALU_DEP_2) | instskip(NEXT) | instid1(VALU_DEP_1)
	v_pk_mul_f32 v[30:31], v[24:25], v[30:31]
	v_pk_fma_f32 v[34:35], v[24:25], v[32:33], v[30:31] op_sel:[0,0,1] op_sel_hi:[1,1,0]
	v_pk_fma_f32 v[24:25], v[24:25], v[32:33], v[30:31] op_sel:[0,0,1] op_sel_hi:[1,1,0] neg_lo:[0,0,1] neg_hi:[0,0,1]
	s_delay_alu instid0(VALU_DEP_2) | instskip(NEXT) | instid1(VALU_DEP_1)
	v_mov_b32_e32 v25, v35
	v_pk_add_f32 v[24:25], v[2:3], v[24:25]
	global_store_b64 v[22:23], v[24:25], off
.LBB235_28:                             ;   in Loop: Header=BB235_6 Depth=1
	s_and_not1_b32 vcc_lo, exec_lo, s11
	s_cbranch_vccnz .LBB235_30
; %bb.29:                               ;   in Loop: Header=BB235_6 Depth=1
	global_store_b64 v[22:23], v[2:3], off
.LBB235_30:                             ;   in Loop: Header=BB235_6 Depth=1
	s_wait_xcnt 0x0
	s_or_b32 exec_lo, exec_lo, s10
	s_and_saveexec_b32 s10, s34
	s_cbranch_execz .LBB235_5
; %bb.31:                               ;   in Loop: Header=BB235_6 Depth=1
	v_mov_b64_e32 v[2:3], s[4:5]
	v_mov_b64_e32 v[22:23], s[14:15]
	v_lshl_add_u64 v[0:1], v[18:19], 3, v[0:1]
	s_and_not1_b32 vcc_lo, exec_lo, s22
	s_mov_b32 s11, -1
	s_delay_alu instid0(VALU_DEP_3) | instskip(NEXT) | instid1(VALU_DEP_1)
	v_pk_mul_f32 v[2:3], v[28:29], v[2:3] op_sel_hi:[0,1]
	v_pk_fma_f32 v[24:25], v[26:27], v[22:23], v[2:3] op_sel_hi:[0,1,1]
	v_pk_fma_f32 v[2:3], v[26:27], v[22:23], v[2:3] neg_lo:[0,0,1] neg_hi:[0,0,1]
	s_delay_alu instid0(VALU_DEP_2)
	v_mov_b32_e32 v3, v25
	s_cbranch_vccnz .LBB235_33
; %bb.32:                               ;   in Loop: Header=BB235_6 Depth=1
	global_load_b64 v[22:23], v[0:1], off
	v_mov_b64_e32 v[24:25], s[24:25]
	v_mov_b64_e32 v[30:31], s[2:3]
	s_mov_b32 s11, 0
	s_wait_loadcnt 0x0
	s_delay_alu instid0(VALU_DEP_2) | instskip(NEXT) | instid1(VALU_DEP_1)
	v_pk_mul_f32 v[24:25], v[22:23], v[24:25]
	v_pk_fma_f32 v[32:33], v[22:23], v[30:31], v[24:25] op_sel:[0,0,1] op_sel_hi:[1,1,0]
	v_pk_fma_f32 v[22:23], v[22:23], v[30:31], v[24:25] op_sel:[0,0,1] op_sel_hi:[1,1,0] neg_lo:[0,0,1] neg_hi:[0,0,1]
	s_delay_alu instid0(VALU_DEP_2) | instskip(NEXT) | instid1(VALU_DEP_1)
	v_mov_b32_e32 v23, v33
	v_pk_add_f32 v[22:23], v[2:3], v[22:23]
	global_store_b64 v[0:1], v[22:23], off
.LBB235_33:                             ;   in Loop: Header=BB235_6 Depth=1
	s_and_not1_b32 vcc_lo, exec_lo, s11
	s_cbranch_vccnz .LBB235_5
; %bb.34:                               ;   in Loop: Header=BB235_6 Depth=1
	global_store_b64 v[0:1], v[2:3], off
	s_branch .LBB235_5
.LBB235_35:
	s_endpgm
	.section	.rodata,"a",@progbits
	.p2align	6, 0x0
	.amdhsa_kernel _ZL29rocblas_internal_gemmt_kernelIlLi16ELi32ELi8ELc78ELc84ELc85ELb0ELb0E19rocblas_complex_numIfES1_PKS1_PS1_EviT_T9_T10_S5_lS7_S5_lS6_T11_S5_li
		.amdhsa_group_segment_fixed_size 4096
		.amdhsa_private_segment_fixed_size 0
		.amdhsa_kernarg_size 108
		.amdhsa_user_sgpr_count 2
		.amdhsa_user_sgpr_dispatch_ptr 0
		.amdhsa_user_sgpr_queue_ptr 0
		.amdhsa_user_sgpr_kernarg_segment_ptr 1
		.amdhsa_user_sgpr_dispatch_id 0
		.amdhsa_user_sgpr_kernarg_preload_length 0
		.amdhsa_user_sgpr_kernarg_preload_offset 0
		.amdhsa_user_sgpr_private_segment_size 0
		.amdhsa_wavefront_size32 1
		.amdhsa_uses_dynamic_stack 0
		.amdhsa_enable_private_segment 0
		.amdhsa_system_sgpr_workgroup_id_x 1
		.amdhsa_system_sgpr_workgroup_id_y 1
		.amdhsa_system_sgpr_workgroup_id_z 1
		.amdhsa_system_sgpr_workgroup_info 0
		.amdhsa_system_vgpr_workitem_id 1
		.amdhsa_next_free_vgpr 58
		.amdhsa_next_free_sgpr 38
		.amdhsa_named_barrier_count 0
		.amdhsa_reserve_vcc 1
		.amdhsa_float_round_mode_32 0
		.amdhsa_float_round_mode_16_64 0
		.amdhsa_float_denorm_mode_32 3
		.amdhsa_float_denorm_mode_16_64 3
		.amdhsa_fp16_overflow 0
		.amdhsa_memory_ordered 1
		.amdhsa_forward_progress 1
		.amdhsa_inst_pref_size 25
		.amdhsa_round_robin_scheduling 0
		.amdhsa_exception_fp_ieee_invalid_op 0
		.amdhsa_exception_fp_denorm_src 0
		.amdhsa_exception_fp_ieee_div_zero 0
		.amdhsa_exception_fp_ieee_overflow 0
		.amdhsa_exception_fp_ieee_underflow 0
		.amdhsa_exception_fp_ieee_inexact 0
		.amdhsa_exception_int_div_zero 0
	.end_amdhsa_kernel
	.section	.text._ZL29rocblas_internal_gemmt_kernelIlLi16ELi32ELi8ELc78ELc84ELc85ELb0ELb0E19rocblas_complex_numIfES1_PKS1_PS1_EviT_T9_T10_S5_lS7_S5_lS6_T11_S5_li,"axG",@progbits,_ZL29rocblas_internal_gemmt_kernelIlLi16ELi32ELi8ELc78ELc84ELc85ELb0ELb0E19rocblas_complex_numIfES1_PKS1_PS1_EviT_T9_T10_S5_lS7_S5_lS6_T11_S5_li,comdat
.Lfunc_end235:
	.size	_ZL29rocblas_internal_gemmt_kernelIlLi16ELi32ELi8ELc78ELc84ELc85ELb0ELb0E19rocblas_complex_numIfES1_PKS1_PS1_EviT_T9_T10_S5_lS7_S5_lS6_T11_S5_li, .Lfunc_end235-_ZL29rocblas_internal_gemmt_kernelIlLi16ELi32ELi8ELc78ELc84ELc85ELb0ELb0E19rocblas_complex_numIfES1_PKS1_PS1_EviT_T9_T10_S5_lS7_S5_lS6_T11_S5_li
                                        ; -- End function
	.set _ZL29rocblas_internal_gemmt_kernelIlLi16ELi32ELi8ELc78ELc84ELc85ELb0ELb0E19rocblas_complex_numIfES1_PKS1_PS1_EviT_T9_T10_S5_lS7_S5_lS6_T11_S5_li.num_vgpr, 58
	.set _ZL29rocblas_internal_gemmt_kernelIlLi16ELi32ELi8ELc78ELc84ELc85ELb0ELb0E19rocblas_complex_numIfES1_PKS1_PS1_EviT_T9_T10_S5_lS7_S5_lS6_T11_S5_li.num_agpr, 0
	.set _ZL29rocblas_internal_gemmt_kernelIlLi16ELi32ELi8ELc78ELc84ELc85ELb0ELb0E19rocblas_complex_numIfES1_PKS1_PS1_EviT_T9_T10_S5_lS7_S5_lS6_T11_S5_li.numbered_sgpr, 38
	.set _ZL29rocblas_internal_gemmt_kernelIlLi16ELi32ELi8ELc78ELc84ELc85ELb0ELb0E19rocblas_complex_numIfES1_PKS1_PS1_EviT_T9_T10_S5_lS7_S5_lS6_T11_S5_li.num_named_barrier, 0
	.set _ZL29rocblas_internal_gemmt_kernelIlLi16ELi32ELi8ELc78ELc84ELc85ELb0ELb0E19rocblas_complex_numIfES1_PKS1_PS1_EviT_T9_T10_S5_lS7_S5_lS6_T11_S5_li.private_seg_size, 0
	.set _ZL29rocblas_internal_gemmt_kernelIlLi16ELi32ELi8ELc78ELc84ELc85ELb0ELb0E19rocblas_complex_numIfES1_PKS1_PS1_EviT_T9_T10_S5_lS7_S5_lS6_T11_S5_li.uses_vcc, 1
	.set _ZL29rocblas_internal_gemmt_kernelIlLi16ELi32ELi8ELc78ELc84ELc85ELb0ELb0E19rocblas_complex_numIfES1_PKS1_PS1_EviT_T9_T10_S5_lS7_S5_lS6_T11_S5_li.uses_flat_scratch, 0
	.set _ZL29rocblas_internal_gemmt_kernelIlLi16ELi32ELi8ELc78ELc84ELc85ELb0ELb0E19rocblas_complex_numIfES1_PKS1_PS1_EviT_T9_T10_S5_lS7_S5_lS6_T11_S5_li.has_dyn_sized_stack, 0
	.set _ZL29rocblas_internal_gemmt_kernelIlLi16ELi32ELi8ELc78ELc84ELc85ELb0ELb0E19rocblas_complex_numIfES1_PKS1_PS1_EviT_T9_T10_S5_lS7_S5_lS6_T11_S5_li.has_recursion, 0
	.set _ZL29rocblas_internal_gemmt_kernelIlLi16ELi32ELi8ELc78ELc84ELc85ELb0ELb0E19rocblas_complex_numIfES1_PKS1_PS1_EviT_T9_T10_S5_lS7_S5_lS6_T11_S5_li.has_indirect_call, 0
	.section	.AMDGPU.csdata,"",@progbits
; Kernel info:
; codeLenInByte = 3180
; TotalNumSgprs: 40
; NumVgprs: 58
; ScratchSize: 0
; MemoryBound: 0
; FloatMode: 240
; IeeeMode: 1
; LDSByteSize: 4096 bytes/workgroup (compile time only)
; SGPRBlocks: 0
; VGPRBlocks: 3
; NumSGPRsForWavesPerEU: 40
; NumVGPRsForWavesPerEU: 58
; NamedBarCnt: 0
; Occupancy: 16
; WaveLimiterHint : 0
; COMPUTE_PGM_RSRC2:SCRATCH_EN: 0
; COMPUTE_PGM_RSRC2:USER_SGPR: 2
; COMPUTE_PGM_RSRC2:TRAP_HANDLER: 0
; COMPUTE_PGM_RSRC2:TGID_X_EN: 1
; COMPUTE_PGM_RSRC2:TGID_Y_EN: 1
; COMPUTE_PGM_RSRC2:TGID_Z_EN: 1
; COMPUTE_PGM_RSRC2:TIDIG_COMP_CNT: 1
	.section	.text._ZL29rocblas_internal_gemmt_kernelIlLi16ELi32ELi8ELc78ELc67ELc85ELb0ELb1E19rocblas_complex_numIfES1_PKS1_PS1_EviT_T9_T10_S5_lS7_S5_lS6_T11_S5_li,"axG",@progbits,_ZL29rocblas_internal_gemmt_kernelIlLi16ELi32ELi8ELc78ELc67ELc85ELb0ELb1E19rocblas_complex_numIfES1_PKS1_PS1_EviT_T9_T10_S5_lS7_S5_lS6_T11_S5_li,comdat
	.globl	_ZL29rocblas_internal_gemmt_kernelIlLi16ELi32ELi8ELc78ELc67ELc85ELb0ELb1E19rocblas_complex_numIfES1_PKS1_PS1_EviT_T9_T10_S5_lS7_S5_lS6_T11_S5_li ; -- Begin function _ZL29rocblas_internal_gemmt_kernelIlLi16ELi32ELi8ELc78ELc67ELc85ELb0ELb1E19rocblas_complex_numIfES1_PKS1_PS1_EviT_T9_T10_S5_lS7_S5_lS6_T11_S5_li
	.p2align	8
	.type	_ZL29rocblas_internal_gemmt_kernelIlLi16ELi32ELi8ELc78ELc67ELc85ELb0ELb1E19rocblas_complex_numIfES1_PKS1_PS1_EviT_T9_T10_S5_lS7_S5_lS6_T11_S5_li,@function
_ZL29rocblas_internal_gemmt_kernelIlLi16ELi32ELi8ELc78ELc67ELc85ELb0ELb1E19rocblas_complex_numIfES1_PKS1_PS1_EviT_T9_T10_S5_lS7_S5_lS6_T11_S5_li: ; @_ZL29rocblas_internal_gemmt_kernelIlLi16ELi32ELi8ELc78ELc67ELc85ELb0ELb1E19rocblas_complex_numIfES1_PKS1_PS1_EviT_T9_T10_S5_lS7_S5_lS6_T11_S5_li
; %bb.0:
	s_clause 0x1
	s_load_b64 s[24:25], s[0:1], 0x48
	s_load_b128 s[12:15], s[0:1], 0x8
	s_wait_kmcnt 0x0
	s_cmp_neq_f32 s24, 1.0
	s_cselect_b32 s2, -1, 0
	s_and_b32 s4, s25, 0x7fffffff
	s_delay_alu instid0(SALU_CYCLE_1) | instskip(SKIP_3) | instid1(SALU_CYCLE_1)
	s_cmp_eq_u32 s4, 0
	s_cselect_b32 s3, -1, 0
	s_cmp_lg_u32 s4, 0
	s_cselect_b32 s4, -1, 0
	s_or_b32 s2, s2, s4
	s_delay_alu instid0(SALU_CYCLE_1)
	s_and_b32 vcc_lo, exec_lo, s2
	s_cbranch_vccnz .LBB236_2
; %bb.1:
	s_cmp_lg_u64 s[12:13], 0
	s_cselect_b32 s2, -1, 0
	s_cmp_neq_f32 s14, 0
	s_cselect_b32 s4, -1, 0
	s_cmp_neq_f32 s15, 0
	s_cselect_b32 s5, -1, 0
	s_delay_alu instid0(SALU_CYCLE_1) | instskip(NEXT) | instid1(SALU_CYCLE_1)
	s_or_b32 s4, s4, s5
	s_and_b32 s2, s2, s4
.LBB236_2:
	s_delay_alu instid0(SALU_CYCLE_1)
	s_and_not1_b32 vcc_lo, exec_lo, s2
	s_cbranch_vccnz .LBB236_37
; %bb.3:
	s_load_b32 s30, s[0:1], 0x68
	s_bfe_u32 s2, ttmp6, 0x40014
	s_lshr_b32 s4, ttmp7, 16
	s_add_co_i32 s2, s2, 1
	s_bfe_u32 s6, ttmp6, 0x40008
	s_mul_i32 s5, s4, s2
	s_getreg_b32 s2, hwreg(HW_REG_IB_STS2, 6, 4)
	s_add_co_i32 s6, s6, s5
	s_cmp_eq_u32 s2, 0
	s_mov_b32 s27, 0
	s_cselect_b32 s26, s4, s6
	s_wait_kmcnt 0x0
	s_cmp_ge_u32 s26, s30
	s_cbranch_scc1 .LBB236_37
; %bb.4:
	s_bfe_u32 s5, ttmp6, 0x4000c
	s_bfe_u32 s6, ttmp6, 0x40010
	s_and_b32 s16, ttmp7, 0xffff
	s_add_co_i32 s5, s5, 1
	s_add_co_i32 s6, s6, 1
	s_and_b32 s4, ttmp6, 15
	s_mul_i32 s5, ttmp9, s5
	s_mul_i32 s6, s16, s6
	s_bfe_u32 s7, ttmp6, 0x40004
	v_and_b32_e32 v15, 0x3ff, v0
	v_bfe_u32 v19, v0, 10, 10
	s_add_co_i32 s17, s4, s5
	s_add_co_i32 s18, s7, s6
	s_cmp_eq_u32 s2, 0
	v_and_b32_e32 v4, 7, v0
	s_cselect_b32 s16, s16, s18
	v_lshl_add_u32 v0, v19, 4, v15
	s_cselect_b32 s2, ttmp9, s17
	s_lshl_b32 s33, s16, 5
	s_clause 0x2
	s_load_b128 s[16:19], s[0:1], 0x38
	s_load_b128 s[20:23], s[0:1], 0x50
	s_load_b32 s31, s[0:1], 0x0
	v_dual_lshrrev_b32 v3, 3, v0 :: v_dual_bitop2_b32 v1, 31, v0 bitop3:0x40
	v_dual_add_nc_u32 v20, s33, v19 :: v_dual_lshrrev_b32 v6, 5, v0
	s_load_b256 s[4:11], s[0:1], 0x18
	s_lshl_b32 s2, s2, 5
	s_delay_alu instid0(VALU_DEP_1)
	v_dual_lshlrev_b32 v5, 3, v1 :: v_dual_add_nc_u32 v22, 16, v20
	v_ashrrev_i32_e32 v21, 31, v20
	v_lshlrev_b32_e32 v7, 3, v4
	s_cmp_neq_f32 s14, 0
	s_load_b64 s[28:29], s[0:1], 0x60
	v_dual_ashrrev_i32 v23, 31, v22 :: v_dual_bitop2_b32 v0, s2, v1 bitop3:0x54
	v_add_nc_u32_e32 v2, s33, v3
	s_cselect_b32 s34, -1, 0
	s_cmp_neq_f32 s15, 0
	v_dual_add_nc_u32 v14, s2, v15 :: v_dual_lshlrev_b32 v27, 3, v15
	s_wait_kmcnt 0x0
	v_mul_u64_e32 v[10:11], s[22:23], v[20:21]
	v_mul_u64_e32 v[12:13], s[22:23], v[22:23]
	s_cselect_b32 s0, -1, 0
	v_lshl_or_b32 v3, v3, 6, v7
	s_or_b32 s34, s34, s0
	v_ashrrev_i32_e32 v1, 31, v0
	s_cmp_neq_f32 s24, 0
	v_cmp_gt_i32_e64 s1, s31, v20
	v_cmp_le_i32_e64 s2, v14, v20
	v_dual_add_nc_u32 v18, 16, v14 :: v_dual_ashrrev_i32 v15, 31, v14
	v_add_nc_u32_e32 v7, 0x800, v3
	v_ashrrev_i32_e32 v3, 31, v2
	v_cmp_gt_i64_e64 s35, s[12:13], 0
	v_lshl_add_u64 v[8:9], v[0:1], 3, s[4:5]
	s_cselect_b32 s4, -1, 0
	s_xor_b32 s3, s3, -1
	v_cmp_gt_i32_e32 vcc_lo, s31, v2
	s_or_b32 s22, s4, s3
	s_and_b32 s23, s1, s2
	v_cmp_le_i32_e64 s2, v18, v20
	v_cmp_gt_i32_e64 s3, s31, v22
	v_cmp_le_i32_e64 s4, v14, v22
	v_cmp_le_i32_e64 s5, v18, v22
	v_cmp_gt_i32_e64 s0, s31, v0
	v_lshl_or_b32 v5, v6, 8, v5
	v_lshl_add_u64 v[16:17], v[2:3], 3, s[10:11]
	v_lshl_add_u32 v29, v19, 6, 0x800
	v_dual_ashrrev_i32 v19, 31, v18 :: v_dual_mov_b32 v21, 0
	s_and_b32 s1, s1, s2
	s_and_b32 s31, s3, s4
	;; [unrolled: 1-line block ×3, first 2 shown]
	s_mov_b32 s2, s24
	s_mov_b32 s3, s24
	;; [unrolled: 1-line block ×3, first 2 shown]
	s_and_b32 s34, s34, s35
	s_mov_b32 s4, s15
	s_mov_b32 s5, s14
	s_xor_b32 s35, vcc_lo, -1
	s_branch .LBB236_6
.LBB236_5:                              ;   in Loop: Header=BB236_6 Depth=1
	s_wait_xcnt 0x0
	s_or_b32 exec_lo, exec_lo, s10
	s_add_co_i32 s26, s26, 0x10000
	s_delay_alu instid0(SALU_CYCLE_1)
	s_cmp_lt_u32 s26, s30
	s_cbranch_scc0 .LBB236_37
.LBB236_6:                              ; =>This Loop Header: Depth=1
                                        ;     Child Loop BB236_9 Depth 2
	v_dual_mov_b32 v38, v21 :: v_dual_mov_b32 v40, v21
	v_dual_mov_b32 v34, v21 :: v_dual_mov_b32 v36, v21
	;; [unrolled: 1-line block ×4, first 2 shown]
	s_and_not1_b32 vcc_lo, exec_lo, s34
	s_cbranch_vccnz .LBB236_17
; %bb.7:                                ;   in Loop: Header=BB236_6 Depth=1
	s_mul_u64 s[10:11], s[8:9], s[26:27]
	s_mul_u64 s[36:37], s[18:19], s[26:27]
	v_lshl_add_u64 v[22:23], s[10:11], 3, v[8:9]
	v_lshl_add_u64 v[24:25], s[36:37], 3, v[16:17]
	v_dual_mov_b32 v28, 0 :: v_dual_mov_b32 v26, 0
	v_dual_mov_b32 v32, 0 :: v_dual_mov_b32 v30, 0
	;; [unrolled: 1-line block ×4, first 2 shown]
	s_mov_b64 s[10:11], 0
	s_branch .LBB236_9
.LBB236_8:                              ;   in Loop: Header=BB236_9 Depth=2
	s_or_b32 exec_lo, exec_lo, s36
	ds_store_b32 v7, v0 offset:4
	s_wait_dscnt 0x0
	s_barrier_signal -1
	s_barrier_wait -1
	ds_load_b128 v[42:45], v29
	ds_load_b128 v[46:49], v29 offset:16
	ds_load_b128 v[50:53], v29 offset:32
	;; [unrolled: 1-line block ×3, first 2 shown]
	ds_load_2addr_b64 v[54:57], v27 offset1:16
	s_add_nc_u64 s[10:11], s[10:11], 8
	s_delay_alu instid0(SALU_CYCLE_1) | instskip(SKIP_3) | instid1(VALU_DEP_1)
	v_cmp_gt_i64_e64 s36, s[12:13], s[10:11]
	s_and_b32 vcc_lo, exec_lo, s36
	s_wait_dscnt 0x0
	v_dual_mul_f32 v20, v43, v55 :: v_dual_mul_f32 v31, v42, v55
	v_dual_mul_f32 v33, v42, v57 :: v_dual_fma_f32 v20, v42, v54, -v20
	s_delay_alu instid0(VALU_DEP_1) | instskip(NEXT) | instid1(VALU_DEP_1)
	v_dual_fmac_f32 v31, v43, v54 :: v_dual_fmac_f32 v33, v43, v56
	v_dual_add_f32 v20, v38, v20 :: v_dual_add_f32 v38, v40, v31
	v_mul_f32_e32 v31, v43, v57
	s_delay_alu instid0(VALU_DEP_1) | instskip(NEXT) | instid1(VALU_DEP_1)
	v_dual_add_f32 v40, v36, v33 :: v_dual_fma_f32 v31, v42, v56, -v31
	v_add_f32_e32 v39, v34, v31
	ds_load_b128 v[34:37], v29 offset:1024
	s_wait_dscnt 0x0
	v_dual_mul_f32 v31, v35, v55 :: v_dual_mul_f32 v33, v34, v55
	s_delay_alu instid0(VALU_DEP_1) | instskip(NEXT) | instid1(VALU_DEP_1)
	v_dual_fma_f32 v31, v34, v54, -v31 :: v_dual_fmac_f32 v33, v35, v54
	v_dual_add_f32 v41, v30, v31 :: v_dual_add_f32 v42, v32, v33
	v_dual_mul_f32 v30, v35, v57 :: v_dual_mul_f32 v31, v34, v57
	s_delay_alu instid0(VALU_DEP_1) | instskip(NEXT) | instid1(VALU_DEP_1)
	v_dual_fma_f32 v30, v34, v56, -v30 :: v_dual_fmac_f32 v31, v35, v56
	v_dual_add_f32 v26, v26, v30 :: v_dual_add_f32 v28, v28, v31
	ds_load_2addr_b64 v[30:33], v27 offset0:32 offset1:48
	s_wait_dscnt 0x0
	v_dual_mul_f32 v34, v45, v31 :: v_dual_mul_f32 v35, v44, v31
	s_delay_alu instid0(VALU_DEP_1) | instskip(NEXT) | instid1(VALU_DEP_1)
	v_dual_fma_f32 v34, v44, v30, -v34 :: v_dual_fmac_f32 v35, v45, v30
	v_dual_add_f32 v20, v20, v34 :: v_dual_add_f32 v34, v38, v35
	v_dual_mul_f32 v35, v45, v33 :: v_dual_mul_f32 v38, v44, v33
	s_delay_alu instid0(VALU_DEP_1) | instskip(NEXT) | instid1(VALU_DEP_1)
	v_dual_fma_f32 v35, v44, v32, -v35 :: v_dual_fmac_f32 v38, v45, v32
	v_dual_add_f32 v35, v39, v35 :: v_dual_add_f32 v38, v40, v38
	v_dual_mul_f32 v39, v37, v31 :: v_dual_mul_f32 v31, v36, v31
	s_delay_alu instid0(VALU_DEP_1) | instskip(NEXT) | instid1(VALU_DEP_2)
	v_fmac_f32_e32 v31, v37, v30
	v_dual_fma_f32 v39, v36, v30, -v39 :: v_dual_mul_f32 v30, v37, v33
	s_delay_alu instid0(VALU_DEP_2) | instskip(NEXT) | instid1(VALU_DEP_2)
	v_add_f32_e32 v40, v42, v31
	v_dual_add_f32 v39, v41, v39 :: v_dual_fma_f32 v30, v36, v32, -v30
	s_delay_alu instid0(VALU_DEP_1) | instskip(NEXT) | instid1(VALU_DEP_1)
	v_dual_mul_f32 v31, v36, v33 :: v_dual_add_f32 v26, v26, v30
	v_fmac_f32_e32 v31, v37, v32
	s_delay_alu instid0(VALU_DEP_1) | instskip(SKIP_3) | instid1(VALU_DEP_1)
	v_add_f32_e32 v28, v28, v31
	ds_load_2addr_b64 v[30:33], v27 offset0:64 offset1:80
	s_wait_dscnt 0x0
	v_mul_f32_e32 v36, v47, v31
	v_dual_fma_f32 v36, v46, v30, -v36 :: v_dual_mul_f32 v37, v46, v31
	s_delay_alu instid0(VALU_DEP_1) | instskip(SKIP_1) | instid1(VALU_DEP_2)
	v_dual_add_f32 v20, v20, v36 :: v_dual_fmac_f32 v37, v47, v30
	v_mul_f32_e32 v36, v46, v33
	v_add_f32_e32 v41, v34, v37
	v_mul_f32_e32 v34, v47, v33
	s_delay_alu instid0(VALU_DEP_1) | instskip(NEXT) | instid1(VALU_DEP_1)
	v_fma_f32 v34, v46, v32, -v34
	v_add_f32_e32 v42, v35, v34
	v_fmac_f32_e32 v36, v47, v32
	s_delay_alu instid0(VALU_DEP_1) | instskip(SKIP_3) | instid1(VALU_DEP_1)
	v_add_f32_e32 v38, v38, v36
	ds_load_b128 v[34:37], v29 offset:1040
	s_wait_dscnt 0x0
	v_dual_mul_f32 v43, v35, v31 :: v_dual_mul_f32 v31, v34, v31
	v_fma_f32 v43, v34, v30, -v43
	s_delay_alu instid0(VALU_DEP_2) | instskip(NEXT) | instid1(VALU_DEP_2)
	v_dual_fmac_f32 v31, v35, v30 :: v_dual_mul_f32 v30, v35, v33
	v_add_f32_e32 v39, v39, v43
	s_delay_alu instid0(VALU_DEP_2) | instskip(NEXT) | instid1(VALU_DEP_1)
	v_dual_add_f32 v40, v40, v31 :: v_dual_mul_f32 v31, v34, v33
	v_dual_fma_f32 v30, v34, v32, -v30 :: v_dual_fmac_f32 v31, v35, v32
	s_delay_alu instid0(VALU_DEP_1) | instskip(SKIP_3) | instid1(VALU_DEP_1)
	v_dual_add_f32 v26, v26, v30 :: v_dual_add_f32 v28, v28, v31
	ds_load_2addr_b64 v[30:33], v27 offset0:96 offset1:112
	s_wait_dscnt 0x0
	v_dual_mul_f32 v34, v49, v31 :: v_dual_mul_f32 v35, v48, v31
	v_dual_fma_f32 v34, v48, v30, -v34 :: v_dual_fmac_f32 v35, v49, v30
	s_delay_alu instid0(VALU_DEP_1) | instskip(SKIP_1) | instid1(VALU_DEP_1)
	v_dual_add_f32 v20, v20, v34 :: v_dual_add_f32 v34, v41, v35
	v_mul_f32_e32 v41, v48, v33
	v_fmac_f32_e32 v41, v49, v32
	s_delay_alu instid0(VALU_DEP_1) | instskip(SKIP_1) | instid1(VALU_DEP_2)
	v_dual_add_f32 v38, v38, v41 :: v_dual_mul_f32 v41, v37, v31
	v_dual_mul_f32 v35, v49, v33 :: v_dual_mul_f32 v31, v36, v31
	v_fma_f32 v41, v36, v30, -v41
	s_delay_alu instid0(VALU_DEP_2) | instskip(NEXT) | instid1(VALU_DEP_3)
	v_fma_f32 v35, v48, v32, -v35
	v_dual_fmac_f32 v31, v37, v30 :: v_dual_mul_f32 v30, v37, v33
	s_delay_alu instid0(VALU_DEP_2) | instskip(NEXT) | instid1(VALU_DEP_2)
	v_dual_add_f32 v39, v39, v41 :: v_dual_add_f32 v35, v42, v35
	v_add_f32_e32 v40, v40, v31
	s_delay_alu instid0(VALU_DEP_3) | instskip(NEXT) | instid1(VALU_DEP_1)
	v_dual_fma_f32 v30, v36, v32, -v30 :: v_dual_mul_f32 v31, v36, v33
	v_dual_fmac_f32 v31, v37, v32 :: v_dual_add_f32 v26, v26, v30
	s_delay_alu instid0(VALU_DEP_1) | instskip(SKIP_3) | instid1(VALU_DEP_1)
	v_add_f32_e32 v28, v28, v31
	ds_load_2addr_b64 v[30:33], v27 offset0:128 offset1:144
	s_wait_dscnt 0x0
	v_dual_mul_f32 v36, v51, v31 :: v_dual_mul_f32 v37, v50, v31
	v_dual_fma_f32 v36, v50, v30, -v36 :: v_dual_fmac_f32 v37, v51, v30
	s_delay_alu instid0(VALU_DEP_1) | instskip(SKIP_1) | instid1(VALU_DEP_1)
	v_dual_add_f32 v20, v20, v36 :: v_dual_add_f32 v41, v34, v37
	v_dual_mul_f32 v34, v51, v33 :: v_dual_mul_f32 v36, v50, v33
	v_dual_fma_f32 v34, v50, v32, -v34 :: v_dual_fmac_f32 v36, v51, v32
	s_delay_alu instid0(VALU_DEP_1) | instskip(SKIP_3) | instid1(VALU_DEP_1)
	v_dual_add_f32 v42, v35, v34 :: v_dual_add_f32 v38, v38, v36
	ds_load_b128 v[34:37], v29 offset:1056
	s_wait_dscnt 0x0
	v_dual_mul_f32 v43, v35, v31 :: v_dual_mul_f32 v31, v34, v31
	v_fmac_f32_e32 v31, v35, v30
	s_delay_alu instid0(VALU_DEP_2) | instskip(NEXT) | instid1(VALU_DEP_2)
	v_dual_fma_f32 v43, v34, v30, -v43 :: v_dual_mul_f32 v30, v35, v33
	v_dual_add_f32 v40, v40, v31 :: v_dual_mul_f32 v31, v34, v33
	s_delay_alu instid0(VALU_DEP_2) | instskip(NEXT) | instid1(VALU_DEP_1)
	v_dual_add_f32 v39, v39, v43 :: v_dual_fma_f32 v30, v34, v32, -v30
	v_dual_fmac_f32 v31, v35, v32 :: v_dual_add_f32 v26, v26, v30
	s_delay_alu instid0(VALU_DEP_1) | instskip(SKIP_3) | instid1(VALU_DEP_1)
	v_add_f32_e32 v28, v28, v31
	ds_load_2addr_b64 v[30:33], v27 offset0:160 offset1:176
	s_wait_dscnt 0x0
	v_dual_mul_f32 v34, v53, v31 :: v_dual_mul_f32 v35, v52, v31
	v_dual_fma_f32 v34, v52, v30, -v34 :: v_dual_fmac_f32 v35, v53, v30
	s_delay_alu instid0(VALU_DEP_1) | instskip(SKIP_1) | instid1(VALU_DEP_1)
	v_dual_add_f32 v20, v20, v34 :: v_dual_add_f32 v34, v41, v35
	v_mul_f32_e32 v41, v52, v33
	v_fmac_f32_e32 v41, v53, v32
	s_delay_alu instid0(VALU_DEP_1) | instskip(SKIP_1) | instid1(VALU_DEP_2)
	v_dual_add_f32 v38, v38, v41 :: v_dual_mul_f32 v41, v37, v31
	v_dual_mul_f32 v35, v53, v33 :: v_dual_mul_f32 v31, v36, v31
	v_fma_f32 v41, v36, v30, -v41
	s_delay_alu instid0(VALU_DEP_2) | instskip(NEXT) | instid1(VALU_DEP_3)
	v_fma_f32 v35, v52, v32, -v35
	v_dual_fmac_f32 v31, v37, v30 :: v_dual_mul_f32 v30, v37, v33
	s_delay_alu instid0(VALU_DEP_2) | instskip(NEXT) | instid1(VALU_DEP_2)
	v_dual_add_f32 v39, v39, v41 :: v_dual_add_f32 v35, v42, v35
	v_add_f32_e32 v44, v40, v31
	s_delay_alu instid0(VALU_DEP_3) | instskip(SKIP_2) | instid1(VALU_DEP_1)
	v_dual_fma_f32 v30, v36, v32, -v30 :: v_dual_mul_f32 v31, v36, v33
	ds_load_b128 v[40:43], v29 offset:1072
	v_dual_fmac_f32 v31, v37, v32 :: v_dual_add_f32 v26, v26, v30
	v_add_f32_e32 v28, v28, v31
	ds_load_2addr_b64 v[30:33], v27 offset0:192 offset1:208
	s_wait_dscnt 0x0
	v_dual_mul_f32 v36, v1, v31 :: v_dual_mul_f32 v37, v0, v31
	s_delay_alu instid0(VALU_DEP_1) | instskip(NEXT) | instid1(VALU_DEP_1)
	v_dual_fma_f32 v36, v0, v30, -v36 :: v_dual_fmac_f32 v37, v1, v30
	v_dual_add_f32 v20, v20, v36 :: v_dual_add_f32 v34, v34, v37
	v_mul_f32_e32 v36, v1, v33
	s_delay_alu instid0(VALU_DEP_1) | instskip(NEXT) | instid1(VALU_DEP_1)
	v_dual_fma_f32 v36, v0, v32, -v36 :: v_dual_mul_f32 v0, v0, v33
	v_fmac_f32_e32 v0, v1, v32
	s_delay_alu instid0(VALU_DEP_2) | instskip(NEXT) | instid1(VALU_DEP_1)
	v_dual_add_f32 v1, v35, v36 :: v_dual_mul_f32 v35, v41, v31
	v_dual_mul_f32 v31, v40, v31 :: v_dual_fma_f32 v35, v40, v30, -v35
	s_delay_alu instid0(VALU_DEP_1) | instskip(NEXT) | instid1(VALU_DEP_2)
	v_dual_add_f32 v0, v38, v0 :: v_dual_fmac_f32 v31, v41, v30
	v_dual_add_f32 v30, v39, v35 :: v_dual_mul_f32 v35, v41, v33
	v_mul_f32_e32 v33, v40, v33
	s_delay_alu instid0(VALU_DEP_3)
	v_add_f32_e32 v31, v44, v31
	ds_load_2addr_b64 v[44:47], v27 offset0:224 offset1:240
	s_wait_dscnt 0x0
	v_dual_fma_f32 v35, v40, v32, -v35 :: v_dual_fmac_f32 v33, v41, v32
	s_barrier_signal -1
	s_barrier_wait -1
	s_delay_alu instid0(VALU_DEP_1) | instskip(SKIP_1) | instid1(VALU_DEP_1)
	v_dual_add_f32 v26, v26, v35 :: v_dual_add_f32 v28, v28, v33
	v_dual_mul_f32 v32, v3, v45 :: v_dual_mul_f32 v33, v2, v45
	v_dual_fma_f32 v32, v2, v44, -v32 :: v_dual_fmac_f32 v33, v3, v44
	s_delay_alu instid0(VALU_DEP_1) | instskip(SKIP_1) | instid1(VALU_DEP_1)
	v_dual_add_f32 v38, v20, v32 :: v_dual_add_f32 v40, v34, v33
	v_mul_f32_e32 v20, v3, v47
	v_dual_fma_f32 v20, v2, v46, -v20 :: v_dual_mul_f32 v2, v2, v47
	s_delay_alu instid0(VALU_DEP_1) | instskip(NEXT) | instid1(VALU_DEP_1)
	v_dual_fmac_f32 v2, v3, v46 :: v_dual_add_f32 v34, v1, v20
	v_dual_mul_f32 v1, v42, v45 :: v_dual_add_f32 v36, v0, v2
	s_delay_alu instid0(VALU_DEP_1) | instskip(NEXT) | instid1(VALU_DEP_1)
	v_dual_mul_f32 v0, v43, v45 :: v_dual_fmac_f32 v1, v43, v44
	v_dual_fma_f32 v0, v42, v44, -v0 :: v_dual_add_f32 v32, v31, v1
	v_mul_f32_e32 v1, v42, v47
	s_delay_alu instid0(VALU_DEP_2) | instskip(NEXT) | instid1(VALU_DEP_1)
	v_dual_add_f32 v30, v30, v0 :: v_dual_mul_f32 v0, v43, v47
	v_dual_fmac_f32 v1, v43, v46 :: v_dual_fma_f32 v0, v42, v46, -v0
	s_delay_alu instid0(VALU_DEP_1)
	v_dual_add_f32 v28, v28, v1 :: v_dual_add_f32 v26, v26, v0
	s_cbranch_vccz .LBB236_17
.LBB236_9:                              ;   Parent Loop BB236_6 Depth=1
                                        ; =>  This Inner Loop Header: Depth=2
	v_dual_mov_b32 v0, 0 :: v_dual_mov_b32 v1, 0
	s_and_saveexec_b32 s36, s0
	s_cbranch_execz .LBB236_13
; %bb.10:                               ;   in Loop: Header=BB236_9 Depth=2
	v_dual_mov_b32 v1, 0 :: v_dual_add_nc_u32 v20, s10, v6
	v_mov_b32_e32 v0, 0
	s_mov_b32 s37, exec_lo
	s_delay_alu instid0(VALU_DEP_2)
	v_cmpx_gt_u64_e64 s[12:13], v[20:21]
	s_cbranch_execz .LBB236_12
; %bb.11:                               ;   in Loop: Header=BB236_9 Depth=2
	v_mul_u64_e32 v[0:1], s[6:7], v[20:21]
	s_delay_alu instid0(VALU_DEP_1)
	v_lshl_add_u64 v[0:1], v[0:1], 3, v[22:23]
	global_load_b64 v[0:1], v[0:1], off
.LBB236_12:                             ;   in Loop: Header=BB236_9 Depth=2
	s_wait_xcnt 0x0
	s_or_b32 exec_lo, exec_lo, s37
.LBB236_13:                             ;   in Loop: Header=BB236_9 Depth=2
	s_delay_alu instid0(SALU_CYCLE_1)
	s_or_b32 exec_lo, exec_lo, s36
	v_add_nc_u32_e32 v20, s10, v4
	s_wait_loadcnt 0x0
	ds_store_b64 v5, v[0:1]
	v_cmp_le_u64_e32 vcc_lo, s[12:13], v[20:21]
	s_or_b32 s36, vcc_lo, s35
	s_delay_alu instid0(SALU_CYCLE_1) | instskip(NEXT) | instid1(SALU_CYCLE_1)
	s_and_saveexec_b32 s37, s36
	s_xor_b32 s36, exec_lo, s37
; %bb.14:                               ;   in Loop: Header=BB236_9 Depth=2
	ds_store_b32 v7, v21
; %bb.15:                               ;   in Loop: Header=BB236_9 Depth=2
	s_or_saveexec_b32 s36, s36
	v_mov_b32_e32 v0, 0
	s_xor_b32 exec_lo, exec_lo, s36
	s_cbranch_execz .LBB236_8
; %bb.16:                               ;   in Loop: Header=BB236_9 Depth=2
	v_mul_u64_e32 v[0:1], s[16:17], v[20:21]
	s_delay_alu instid0(VALU_DEP_1)
	v_lshl_add_u64 v[0:1], v[0:1], 3, v[24:25]
	global_load_b64 v[2:3], v[0:1], off
	s_wait_loadcnt 0x0
	s_wait_xcnt 0x0
	v_xor_b32_e32 v0, 0x80000000, v3
	ds_store_b32 v7, v2
	s_branch .LBB236_8
.LBB236_17:                             ;   in Loop: Header=BB236_6 Depth=1
	s_mul_u64 s[10:11], s[28:29], s[26:27]
	s_delay_alu instid0(SALU_CYCLE_1) | instskip(NEXT) | instid1(SALU_CYCLE_1)
	s_lshl_b64 s[10:11], s[10:11], 3
	s_add_nc_u64 s[10:11], s[20:21], s[10:11]
	s_delay_alu instid0(SALU_CYCLE_1)
	v_lshl_add_u64 v[0:1], v[10:11], 3, s[10:11]
	s_and_saveexec_b32 s36, s23
	s_cbranch_execz .LBB236_22
; %bb.18:                               ;   in Loop: Header=BB236_6 Depth=1
	v_mov_b64_e32 v[2:3], s[4:5]
	v_mov_b64_e32 v[22:23], s[14:15]
	s_and_b32 vcc_lo, exec_lo, s22
	s_mov_b32 s37, -1
	s_delay_alu instid0(VALU_DEP_2) | instskip(NEXT) | instid1(VALU_DEP_1)
	v_pk_mul_f32 v[2:3], v[40:41], v[2:3] op_sel_hi:[0,1]
	v_pk_fma_f32 v[24:25], v[38:39], v[22:23], v[2:3] op_sel_hi:[0,1,1]
	v_pk_fma_f32 v[2:3], v[38:39], v[22:23], v[2:3] neg_lo:[0,0,1] neg_hi:[0,0,1]
	v_lshl_add_u64 v[22:23], v[14:15], 3, v[0:1]
	s_delay_alu instid0(VALU_DEP_3)
	v_mov_b32_e32 v3, v25
	s_cbranch_vccz .LBB236_20
; %bb.19:                               ;   in Loop: Header=BB236_6 Depth=1
	global_load_b64 v[24:25], v[22:23], off
	v_mov_b64_e32 v[38:39], s[24:25]
	v_mov_b64_e32 v[40:41], s[2:3]
	s_mov_b32 s37, 0
	s_wait_loadcnt 0x0
	s_delay_alu instid0(VALU_DEP_2) | instskip(NEXT) | instid1(VALU_DEP_1)
	v_pk_mul_f32 v[38:39], v[24:25], v[38:39]
	v_pk_fma_f32 v[42:43], v[24:25], v[40:41], v[38:39] op_sel:[0,0,1] op_sel_hi:[1,1,0]
	v_pk_fma_f32 v[24:25], v[24:25], v[40:41], v[38:39] op_sel:[0,0,1] op_sel_hi:[1,1,0] neg_lo:[0,0,1] neg_hi:[0,0,1]
	s_delay_alu instid0(VALU_DEP_2) | instskip(NEXT) | instid1(VALU_DEP_1)
	v_mov_b32_e32 v25, v43
	v_pk_add_f32 v[24:25], v[2:3], v[24:25]
	global_store_b64 v[22:23], v[24:25], off
.LBB236_20:                             ;   in Loop: Header=BB236_6 Depth=1
	s_and_not1_b32 vcc_lo, exec_lo, s37
	s_cbranch_vccnz .LBB236_22
; %bb.21:                               ;   in Loop: Header=BB236_6 Depth=1
	global_store_b64 v[22:23], v[2:3], off
.LBB236_22:                             ;   in Loop: Header=BB236_6 Depth=1
	s_wait_xcnt 0x0
	s_or_b32 exec_lo, exec_lo, s36
	s_and_saveexec_b32 s36, s1
	s_cbranch_execz .LBB236_27
; %bb.23:                               ;   in Loop: Header=BB236_6 Depth=1
	v_mov_b64_e32 v[2:3], s[4:5]
	v_mov_b64_e32 v[22:23], s[14:15]
	v_lshl_add_u64 v[0:1], v[18:19], 3, v[0:1]
	s_and_not1_b32 vcc_lo, exec_lo, s22
	s_mov_b32 s37, -1
	s_delay_alu instid0(VALU_DEP_3) | instskip(NEXT) | instid1(VALU_DEP_1)
	v_pk_mul_f32 v[2:3], v[36:37], v[2:3] op_sel_hi:[0,1]
	v_pk_fma_f32 v[24:25], v[34:35], v[22:23], v[2:3] op_sel_hi:[0,1,1]
	v_pk_fma_f32 v[2:3], v[34:35], v[22:23], v[2:3] neg_lo:[0,0,1] neg_hi:[0,0,1]
	s_delay_alu instid0(VALU_DEP_2)
	v_mov_b32_e32 v3, v25
	s_cbranch_vccnz .LBB236_25
; %bb.24:                               ;   in Loop: Header=BB236_6 Depth=1
	global_load_b64 v[22:23], v[0:1], off
	v_mov_b64_e32 v[24:25], s[24:25]
	v_mov_b64_e32 v[34:35], s[2:3]
	s_mov_b32 s37, 0
	s_wait_loadcnt 0x0
	s_delay_alu instid0(VALU_DEP_2) | instskip(NEXT) | instid1(VALU_DEP_1)
	v_pk_mul_f32 v[24:25], v[22:23], v[24:25]
	v_pk_fma_f32 v[36:37], v[22:23], v[34:35], v[24:25] op_sel:[0,0,1] op_sel_hi:[1,1,0]
	v_pk_fma_f32 v[22:23], v[22:23], v[34:35], v[24:25] op_sel:[0,0,1] op_sel_hi:[1,1,0] neg_lo:[0,0,1] neg_hi:[0,0,1]
	s_delay_alu instid0(VALU_DEP_2) | instskip(NEXT) | instid1(VALU_DEP_1)
	v_mov_b32_e32 v23, v37
	v_pk_add_f32 v[22:23], v[2:3], v[22:23]
	global_store_b64 v[0:1], v[22:23], off
.LBB236_25:                             ;   in Loop: Header=BB236_6 Depth=1
	s_and_not1_b32 vcc_lo, exec_lo, s37
	s_cbranch_vccnz .LBB236_27
; %bb.26:                               ;   in Loop: Header=BB236_6 Depth=1
	global_store_b64 v[0:1], v[2:3], off
.LBB236_27:                             ;   in Loop: Header=BB236_6 Depth=1
	s_wait_xcnt 0x0
	s_or_b32 exec_lo, exec_lo, s36
	v_lshl_add_u64 v[0:1], v[12:13], 3, s[10:11]
	s_and_saveexec_b32 s10, s31
	s_cbranch_execz .LBB236_32
; %bb.28:                               ;   in Loop: Header=BB236_6 Depth=1
	v_mov_b64_e32 v[2:3], s[4:5]
	v_mov_b64_e32 v[22:23], s[14:15]
	s_and_not1_b32 vcc_lo, exec_lo, s22
	s_mov_b32 s11, -1
	s_delay_alu instid0(VALU_DEP_2) | instskip(NEXT) | instid1(VALU_DEP_1)
	v_pk_mul_f32 v[2:3], v[32:33], v[2:3] op_sel_hi:[0,1]
	v_pk_fma_f32 v[24:25], v[30:31], v[22:23], v[2:3] op_sel_hi:[0,1,1]
	v_pk_fma_f32 v[2:3], v[30:31], v[22:23], v[2:3] neg_lo:[0,0,1] neg_hi:[0,0,1]
	v_lshl_add_u64 v[22:23], v[14:15], 3, v[0:1]
	s_delay_alu instid0(VALU_DEP_3)
	v_mov_b32_e32 v3, v25
	s_cbranch_vccnz .LBB236_30
; %bb.29:                               ;   in Loop: Header=BB236_6 Depth=1
	global_load_b64 v[24:25], v[22:23], off
	v_mov_b64_e32 v[30:31], s[24:25]
	v_mov_b64_e32 v[32:33], s[2:3]
	s_mov_b32 s11, 0
	s_wait_loadcnt 0x0
	s_delay_alu instid0(VALU_DEP_2) | instskip(NEXT) | instid1(VALU_DEP_1)
	v_pk_mul_f32 v[30:31], v[24:25], v[30:31]
	v_pk_fma_f32 v[34:35], v[24:25], v[32:33], v[30:31] op_sel:[0,0,1] op_sel_hi:[1,1,0]
	v_pk_fma_f32 v[24:25], v[24:25], v[32:33], v[30:31] op_sel:[0,0,1] op_sel_hi:[1,1,0] neg_lo:[0,0,1] neg_hi:[0,0,1]
	s_delay_alu instid0(VALU_DEP_2) | instskip(NEXT) | instid1(VALU_DEP_1)
	v_mov_b32_e32 v25, v35
	v_pk_add_f32 v[24:25], v[2:3], v[24:25]
	global_store_b64 v[22:23], v[24:25], off
.LBB236_30:                             ;   in Loop: Header=BB236_6 Depth=1
	s_and_not1_b32 vcc_lo, exec_lo, s11
	s_cbranch_vccnz .LBB236_32
; %bb.31:                               ;   in Loop: Header=BB236_6 Depth=1
	global_store_b64 v[22:23], v[2:3], off
.LBB236_32:                             ;   in Loop: Header=BB236_6 Depth=1
	s_wait_xcnt 0x0
	s_or_b32 exec_lo, exec_lo, s10
	s_and_saveexec_b32 s10, s33
	s_cbranch_execz .LBB236_5
; %bb.33:                               ;   in Loop: Header=BB236_6 Depth=1
	v_mov_b64_e32 v[2:3], s[4:5]
	v_mov_b64_e32 v[22:23], s[14:15]
	v_lshl_add_u64 v[0:1], v[18:19], 3, v[0:1]
	s_and_not1_b32 vcc_lo, exec_lo, s22
	s_mov_b32 s11, -1
	s_delay_alu instid0(VALU_DEP_3) | instskip(NEXT) | instid1(VALU_DEP_1)
	v_pk_mul_f32 v[2:3], v[28:29], v[2:3] op_sel_hi:[0,1]
	v_pk_fma_f32 v[24:25], v[26:27], v[22:23], v[2:3] op_sel_hi:[0,1,1]
	v_pk_fma_f32 v[2:3], v[26:27], v[22:23], v[2:3] neg_lo:[0,0,1] neg_hi:[0,0,1]
	s_delay_alu instid0(VALU_DEP_2)
	v_mov_b32_e32 v3, v25
	s_cbranch_vccnz .LBB236_35
; %bb.34:                               ;   in Loop: Header=BB236_6 Depth=1
	global_load_b64 v[22:23], v[0:1], off
	v_mov_b64_e32 v[24:25], s[24:25]
	v_mov_b64_e32 v[30:31], s[2:3]
	s_mov_b32 s11, 0
	s_wait_loadcnt 0x0
	s_delay_alu instid0(VALU_DEP_2) | instskip(NEXT) | instid1(VALU_DEP_1)
	v_pk_mul_f32 v[24:25], v[22:23], v[24:25]
	v_pk_fma_f32 v[32:33], v[22:23], v[30:31], v[24:25] op_sel:[0,0,1] op_sel_hi:[1,1,0]
	v_pk_fma_f32 v[22:23], v[22:23], v[30:31], v[24:25] op_sel:[0,0,1] op_sel_hi:[1,1,0] neg_lo:[0,0,1] neg_hi:[0,0,1]
	s_delay_alu instid0(VALU_DEP_2) | instskip(NEXT) | instid1(VALU_DEP_1)
	v_mov_b32_e32 v23, v33
	v_pk_add_f32 v[22:23], v[2:3], v[22:23]
	global_store_b64 v[0:1], v[22:23], off
.LBB236_35:                             ;   in Loop: Header=BB236_6 Depth=1
	s_and_not1_b32 vcc_lo, exec_lo, s11
	s_cbranch_vccnz .LBB236_5
; %bb.36:                               ;   in Loop: Header=BB236_6 Depth=1
	global_store_b64 v[0:1], v[2:3], off
	s_branch .LBB236_5
.LBB236_37:
	s_endpgm
	.section	.rodata,"a",@progbits
	.p2align	6, 0x0
	.amdhsa_kernel _ZL29rocblas_internal_gemmt_kernelIlLi16ELi32ELi8ELc78ELc67ELc85ELb0ELb1E19rocblas_complex_numIfES1_PKS1_PS1_EviT_T9_T10_S5_lS7_S5_lS6_T11_S5_li
		.amdhsa_group_segment_fixed_size 4096
		.amdhsa_private_segment_fixed_size 0
		.amdhsa_kernarg_size 108
		.amdhsa_user_sgpr_count 2
		.amdhsa_user_sgpr_dispatch_ptr 0
		.amdhsa_user_sgpr_queue_ptr 0
		.amdhsa_user_sgpr_kernarg_segment_ptr 1
		.amdhsa_user_sgpr_dispatch_id 0
		.amdhsa_user_sgpr_kernarg_preload_length 0
		.amdhsa_user_sgpr_kernarg_preload_offset 0
		.amdhsa_user_sgpr_private_segment_size 0
		.amdhsa_wavefront_size32 1
		.amdhsa_uses_dynamic_stack 0
		.amdhsa_enable_private_segment 0
		.amdhsa_system_sgpr_workgroup_id_x 1
		.amdhsa_system_sgpr_workgroup_id_y 1
		.amdhsa_system_sgpr_workgroup_id_z 1
		.amdhsa_system_sgpr_workgroup_info 0
		.amdhsa_system_vgpr_workitem_id 1
		.amdhsa_next_free_vgpr 58
		.amdhsa_next_free_sgpr 38
		.amdhsa_named_barrier_count 0
		.amdhsa_reserve_vcc 1
		.amdhsa_float_round_mode_32 0
		.amdhsa_float_round_mode_16_64 0
		.amdhsa_float_denorm_mode_32 3
		.amdhsa_float_denorm_mode_16_64 3
		.amdhsa_fp16_overflow 0
		.amdhsa_memory_ordered 1
		.amdhsa_forward_progress 1
		.amdhsa_inst_pref_size 26
		.amdhsa_round_robin_scheduling 0
		.amdhsa_exception_fp_ieee_invalid_op 0
		.amdhsa_exception_fp_denorm_src 0
		.amdhsa_exception_fp_ieee_div_zero 0
		.amdhsa_exception_fp_ieee_overflow 0
		.amdhsa_exception_fp_ieee_underflow 0
		.amdhsa_exception_fp_ieee_inexact 0
		.amdhsa_exception_int_div_zero 0
	.end_amdhsa_kernel
	.section	.text._ZL29rocblas_internal_gemmt_kernelIlLi16ELi32ELi8ELc78ELc67ELc85ELb0ELb1E19rocblas_complex_numIfES1_PKS1_PS1_EviT_T9_T10_S5_lS7_S5_lS6_T11_S5_li,"axG",@progbits,_ZL29rocblas_internal_gemmt_kernelIlLi16ELi32ELi8ELc78ELc67ELc85ELb0ELb1E19rocblas_complex_numIfES1_PKS1_PS1_EviT_T9_T10_S5_lS7_S5_lS6_T11_S5_li,comdat
.Lfunc_end236:
	.size	_ZL29rocblas_internal_gemmt_kernelIlLi16ELi32ELi8ELc78ELc67ELc85ELb0ELb1E19rocblas_complex_numIfES1_PKS1_PS1_EviT_T9_T10_S5_lS7_S5_lS6_T11_S5_li, .Lfunc_end236-_ZL29rocblas_internal_gemmt_kernelIlLi16ELi32ELi8ELc78ELc67ELc85ELb0ELb1E19rocblas_complex_numIfES1_PKS1_PS1_EviT_T9_T10_S5_lS7_S5_lS6_T11_S5_li
                                        ; -- End function
	.set _ZL29rocblas_internal_gemmt_kernelIlLi16ELi32ELi8ELc78ELc67ELc85ELb0ELb1E19rocblas_complex_numIfES1_PKS1_PS1_EviT_T9_T10_S5_lS7_S5_lS6_T11_S5_li.num_vgpr, 58
	.set _ZL29rocblas_internal_gemmt_kernelIlLi16ELi32ELi8ELc78ELc67ELc85ELb0ELb1E19rocblas_complex_numIfES1_PKS1_PS1_EviT_T9_T10_S5_lS7_S5_lS6_T11_S5_li.num_agpr, 0
	.set _ZL29rocblas_internal_gemmt_kernelIlLi16ELi32ELi8ELc78ELc67ELc85ELb0ELb1E19rocblas_complex_numIfES1_PKS1_PS1_EviT_T9_T10_S5_lS7_S5_lS6_T11_S5_li.numbered_sgpr, 38
	.set _ZL29rocblas_internal_gemmt_kernelIlLi16ELi32ELi8ELc78ELc67ELc85ELb0ELb1E19rocblas_complex_numIfES1_PKS1_PS1_EviT_T9_T10_S5_lS7_S5_lS6_T11_S5_li.num_named_barrier, 0
	.set _ZL29rocblas_internal_gemmt_kernelIlLi16ELi32ELi8ELc78ELc67ELc85ELb0ELb1E19rocblas_complex_numIfES1_PKS1_PS1_EviT_T9_T10_S5_lS7_S5_lS6_T11_S5_li.private_seg_size, 0
	.set _ZL29rocblas_internal_gemmt_kernelIlLi16ELi32ELi8ELc78ELc67ELc85ELb0ELb1E19rocblas_complex_numIfES1_PKS1_PS1_EviT_T9_T10_S5_lS7_S5_lS6_T11_S5_li.uses_vcc, 1
	.set _ZL29rocblas_internal_gemmt_kernelIlLi16ELi32ELi8ELc78ELc67ELc85ELb0ELb1E19rocblas_complex_numIfES1_PKS1_PS1_EviT_T9_T10_S5_lS7_S5_lS6_T11_S5_li.uses_flat_scratch, 0
	.set _ZL29rocblas_internal_gemmt_kernelIlLi16ELi32ELi8ELc78ELc67ELc85ELb0ELb1E19rocblas_complex_numIfES1_PKS1_PS1_EviT_T9_T10_S5_lS7_S5_lS6_T11_S5_li.has_dyn_sized_stack, 0
	.set _ZL29rocblas_internal_gemmt_kernelIlLi16ELi32ELi8ELc78ELc67ELc85ELb0ELb1E19rocblas_complex_numIfES1_PKS1_PS1_EviT_T9_T10_S5_lS7_S5_lS6_T11_S5_li.has_recursion, 0
	.set _ZL29rocblas_internal_gemmt_kernelIlLi16ELi32ELi8ELc78ELc67ELc85ELb0ELb1E19rocblas_complex_numIfES1_PKS1_PS1_EviT_T9_T10_S5_lS7_S5_lS6_T11_S5_li.has_indirect_call, 0
	.section	.AMDGPU.csdata,"",@progbits
; Kernel info:
; codeLenInByte = 3204
; TotalNumSgprs: 40
; NumVgprs: 58
; ScratchSize: 0
; MemoryBound: 0
; FloatMode: 240
; IeeeMode: 1
; LDSByteSize: 4096 bytes/workgroup (compile time only)
; SGPRBlocks: 0
; VGPRBlocks: 3
; NumSGPRsForWavesPerEU: 40
; NumVGPRsForWavesPerEU: 58
; NamedBarCnt: 0
; Occupancy: 16
; WaveLimiterHint : 0
; COMPUTE_PGM_RSRC2:SCRATCH_EN: 0
; COMPUTE_PGM_RSRC2:USER_SGPR: 2
; COMPUTE_PGM_RSRC2:TRAP_HANDLER: 0
; COMPUTE_PGM_RSRC2:TGID_X_EN: 1
; COMPUTE_PGM_RSRC2:TGID_Y_EN: 1
; COMPUTE_PGM_RSRC2:TGID_Z_EN: 1
; COMPUTE_PGM_RSRC2:TIDIG_COMP_CNT: 1
	.section	.text._ZL29rocblas_internal_gemmt_kernelIlLi16ELi32ELi8ELc84ELc78ELc85ELb0ELb0E19rocblas_complex_numIfES1_PKS1_PS1_EviT_T9_T10_S5_lS7_S5_lS6_T11_S5_li,"axG",@progbits,_ZL29rocblas_internal_gemmt_kernelIlLi16ELi32ELi8ELc84ELc78ELc85ELb0ELb0E19rocblas_complex_numIfES1_PKS1_PS1_EviT_T9_T10_S5_lS7_S5_lS6_T11_S5_li,comdat
	.globl	_ZL29rocblas_internal_gemmt_kernelIlLi16ELi32ELi8ELc84ELc78ELc85ELb0ELb0E19rocblas_complex_numIfES1_PKS1_PS1_EviT_T9_T10_S5_lS7_S5_lS6_T11_S5_li ; -- Begin function _ZL29rocblas_internal_gemmt_kernelIlLi16ELi32ELi8ELc84ELc78ELc85ELb0ELb0E19rocblas_complex_numIfES1_PKS1_PS1_EviT_T9_T10_S5_lS7_S5_lS6_T11_S5_li
	.p2align	8
	.type	_ZL29rocblas_internal_gemmt_kernelIlLi16ELi32ELi8ELc84ELc78ELc85ELb0ELb0E19rocblas_complex_numIfES1_PKS1_PS1_EviT_T9_T10_S5_lS7_S5_lS6_T11_S5_li,@function
_ZL29rocblas_internal_gemmt_kernelIlLi16ELi32ELi8ELc84ELc78ELc85ELb0ELb0E19rocblas_complex_numIfES1_PKS1_PS1_EviT_T9_T10_S5_lS7_S5_lS6_T11_S5_li: ; @_ZL29rocblas_internal_gemmt_kernelIlLi16ELi32ELi8ELc84ELc78ELc85ELb0ELb0E19rocblas_complex_numIfES1_PKS1_PS1_EviT_T9_T10_S5_lS7_S5_lS6_T11_S5_li
; %bb.0:
	s_clause 0x1
	s_load_b64 s[24:25], s[0:1], 0x48
	s_load_b128 s[12:15], s[0:1], 0x8
	s_wait_kmcnt 0x0
	s_cmp_neq_f32 s24, 1.0
	s_cselect_b32 s2, -1, 0
	s_and_b32 s4, s25, 0x7fffffff
	s_delay_alu instid0(SALU_CYCLE_1) | instskip(SKIP_3) | instid1(SALU_CYCLE_1)
	s_cmp_eq_u32 s4, 0
	s_cselect_b32 s3, -1, 0
	s_cmp_lg_u32 s4, 0
	s_cselect_b32 s4, -1, 0
	s_or_b32 s2, s2, s4
	s_delay_alu instid0(SALU_CYCLE_1)
	s_and_b32 vcc_lo, exec_lo, s2
	s_cbranch_vccnz .LBB237_2
; %bb.1:
	s_cmp_lg_u64 s[12:13], 0
	s_cselect_b32 s2, -1, 0
	s_cmp_neq_f32 s14, 0
	s_cselect_b32 s4, -1, 0
	s_cmp_neq_f32 s15, 0
	s_cselect_b32 s5, -1, 0
	s_delay_alu instid0(SALU_CYCLE_1) | instskip(NEXT) | instid1(SALU_CYCLE_1)
	s_or_b32 s4, s4, s5
	s_and_b32 s2, s2, s4
.LBB237_2:
	s_delay_alu instid0(SALU_CYCLE_1)
	s_and_not1_b32 vcc_lo, exec_lo, s2
	s_cbranch_vccnz .LBB237_35
; %bb.3:
	s_load_b32 s28, s[0:1], 0x68
	s_bfe_u32 s2, ttmp6, 0x40014
	s_lshr_b32 s4, ttmp7, 16
	s_add_co_i32 s2, s2, 1
	s_bfe_u32 s6, ttmp6, 0x40008
	s_mul_i32 s5, s4, s2
	s_getreg_b32 s2, hwreg(HW_REG_IB_STS2, 6, 4)
	s_add_co_i32 s6, s6, s5
	s_cmp_eq_u32 s2, 0
	s_mov_b32 s27, 0
	s_cselect_b32 s26, s4, s6
	s_wait_kmcnt 0x0
	s_cmp_ge_u32 s26, s28
	s_cbranch_scc1 .LBB237_35
; %bb.4:
	v_and_b32_e32 v1, 0x3ff, v0
	v_bfe_u32 v9, v0, 10, 10
	s_bfe_u32 s21, ttmp6, 0x4000c
	s_bfe_u32 s23, ttmp6, 0x40010
	s_and_b32 s22, ttmp7, 0xffff
	s_add_co_i32 s21, s21, 1
	s_add_co_i32 s23, s23, 1
	s_clause 0x1
	s_load_b256 s[4:11], s[0:1], 0x18
	s_load_b128 s[16:19], s[0:1], 0x38
	v_lshl_add_u32 v6, v9, 4, v1
	s_and_b32 s20, ttmp6, 15
	s_mul_i32 s21, ttmp9, s21
	s_mul_i32 s23, s22, s23
	s_bfe_u32 s29, ttmp6, 0x40004
	s_add_co_i32 s20, s20, s21
	s_add_co_i32 s29, s29, s23
	s_cmp_eq_u32 s2, 0
	v_dual_lshrrev_b32 v7, 3, v6 :: v_dual_bitop2_b32 v12, 31, v6 bitop3:0x40
	s_cselect_b32 s2, ttmp9, s20
	s_cselect_b32 s20, s22, s29
	s_lshl_b32 s2, s2, 5
	s_lshl_b32 s29, s20, 5
	s_delay_alu instid0(SALU_CYCLE_1) | instskip(SKIP_3) | instid1(VALU_DEP_1)
	v_dual_add_nc_u32 v10, s29, v7 :: v_dual_bitop2_b32 v2, s2, v12 bitop3:0x54
	s_clause 0x1
	s_load_b128 s[20:23], s[0:1], 0x50
	s_load_b32 s30, s[0:1], 0x0
	v_dual_ashrrev_i32 v3, 31, v2 :: v_dual_bitop2_b32 v4, 7, v0 bitop3:0x40
	v_dual_ashrrev_i32 v11, 31, v10 :: v_dual_add_nc_u32 v0, s29, v9
	v_dual_lshlrev_b32 v5, 3, v1 :: v_dual_lshrrev_b32 v6, 5, v6
	s_wait_kmcnt 0x0
	s_delay_alu instid0(VALU_DEP_3)
	v_mul_u64_e32 v[14:15], s[6:7], v[2:3]
	v_lshlrev_b32_e32 v3, 3, v4
	v_mul_u64_e32 v[16:17], s[16:17], v[10:11]
	v_dual_lshlrev_b32 v11, 3, v12 :: v_dual_add_nc_u32 v8, s2, v1
	v_add_nc_u32_e32 v20, 16, v0
	v_lshl_add_u32 v29, v9, 6, 0x800
	s_load_b64 s[6:7], s[0:1], 0x60
	v_lshl_or_b32 v3, v7, 6, v3
	v_dual_add_nc_u32 v18, 16, v8 :: v_dual_ashrrev_i32 v9, 31, v8
	v_ashrrev_i32_e32 v1, 31, v0
	v_ashrrev_i32_e32 v21, 31, v20
	v_lshl_or_b32 v7, v6, 8, v11
	s_wait_xcnt 0x0
	v_cmp_gt_i32_e64 s1, s30, v10
	v_ashrrev_i32_e32 v19, 31, v18
	v_mul_u64_e32 v[10:11], s[22:23], v[0:1]
	v_mul_u64_e32 v[12:13], s[22:23], v[20:21]
	s_cmp_neq_f32 s14, 0
	v_cmp_gt_i32_e32 vcc_lo, s30, v0
	v_cmp_gt_i64_e64 s31, s[12:13], 0
	v_cmp_gt_i32_e64 s0, s30, v2
	s_cselect_b32 s2, -1, 0
	s_cmp_neq_f32 s15, 0
	v_add_nc_u32_e32 v27, 0x800, v3
	v_mov_b32_e32 v21, 0
	s_cselect_b32 s16, -1, 0
	s_delay_alu instid0(SALU_CYCLE_1)
	s_or_b32 s33, s2, s16
	s_cmp_neq_f32 s24, 0
	v_cmp_le_i32_e64 s2, v8, v0
	v_lshl_add_u64 v[14:15], v[14:15], 3, s[4:5]
	v_cmp_le_i32_e64 s5, v18, v20
	s_cselect_b32 s4, -1, 0
	s_xor_b32 s3, s3, -1
	s_and_b32 s17, vcc_lo, s2
	s_or_b32 s16, s4, s3
	v_cmp_le_i32_e64 s2, v18, v0
	v_cmp_gt_i32_e64 s3, s30, v20
	v_cmp_le_i32_e64 s4, v8, v20
	v_lshl_add_u64 v[16:17], v[16:17], 3, s[10:11]
	s_and_b32 s30, s33, s31
	s_and_b32 s22, vcc_lo, s2
	s_and_b32 s29, s3, s5
	s_and_b32 s23, s3, s4
	s_mov_b32 s2, s24
	s_mov_b32 s3, s24
	;; [unrolled: 1-line block ×5, first 2 shown]
	s_branch .LBB237_6
.LBB237_5:                              ;   in Loop: Header=BB237_6 Depth=1
	s_wait_xcnt 0x0
	s_or_b32 exec_lo, exec_lo, s10
	s_add_co_i32 s26, s26, 0x10000
	s_delay_alu instid0(SALU_CYCLE_1)
	s_cmp_lt_u32 s26, s28
	s_cbranch_scc0 .LBB237_35
.LBB237_6:                              ; =>This Loop Header: Depth=1
                                        ;     Child Loop BB237_9 Depth 2
	v_dual_mov_b32 v38, v21 :: v_dual_mov_b32 v40, v21
	v_dual_mov_b32 v34, v21 :: v_dual_mov_b32 v36, v21
	;; [unrolled: 1-line block ×4, first 2 shown]
	s_and_not1_b32 vcc_lo, exec_lo, s30
	s_cbranch_vccnz .LBB237_15
; %bb.7:                                ;   in Loop: Header=BB237_6 Depth=1
	s_mul_u64 s[10:11], s[8:9], s[26:27]
	s_mul_u64 s[34:35], s[18:19], s[26:27]
	v_lshl_add_u64 v[22:23], s[10:11], 3, v[14:15]
	v_lshl_add_u64 v[24:25], s[34:35], 3, v[16:17]
	v_dual_mov_b32 v28, 0 :: v_dual_mov_b32 v26, 0
	v_dual_mov_b32 v32, 0 :: v_dual_mov_b32 v30, 0
	;; [unrolled: 1-line block ×4, first 2 shown]
	s_mov_b64 s[10:11], 0
	s_branch .LBB237_9
.LBB237_8:                              ;   in Loop: Header=BB237_9 Depth=2
	s_wait_xcnt 0x0
	s_or_b32 exec_lo, exec_lo, s31
	s_wait_loadcnt 0x0
	ds_store_b64 v27, v[2:3]
	s_wait_dscnt 0x0
	s_barrier_signal -1
	s_barrier_wait -1
	ds_load_b128 v[42:45], v29
	ds_load_b128 v[46:49], v29 offset:16
	ds_load_b128 v[50:53], v29 offset:32
	;; [unrolled: 1-line block ×3, first 2 shown]
	ds_load_2addr_b64 v[54:57], v5 offset1:16
	s_add_nc_u64 s[10:11], s[10:11], 8
	s_delay_alu instid0(SALU_CYCLE_1) | instskip(SKIP_3) | instid1(VALU_DEP_1)
	v_cmp_gt_i64_e64 s31, s[12:13], s[10:11]
	s_and_b32 vcc_lo, exec_lo, s31
	s_wait_dscnt 0x0
	v_dual_mul_f32 v20, v43, v55 :: v_dual_mul_f32 v31, v42, v55
	v_dual_mul_f32 v33, v42, v57 :: v_dual_fma_f32 v20, v42, v54, -v20
	s_delay_alu instid0(VALU_DEP_1) | instskip(NEXT) | instid1(VALU_DEP_1)
	v_dual_fmac_f32 v31, v43, v54 :: v_dual_fmac_f32 v33, v43, v56
	v_dual_add_f32 v20, v38, v20 :: v_dual_add_f32 v38, v40, v31
	v_mul_f32_e32 v31, v43, v57
	s_delay_alu instid0(VALU_DEP_1) | instskip(NEXT) | instid1(VALU_DEP_1)
	v_dual_add_f32 v40, v36, v33 :: v_dual_fma_f32 v31, v42, v56, -v31
	v_add_f32_e32 v39, v34, v31
	ds_load_b128 v[34:37], v29 offset:1024
	s_wait_dscnt 0x0
	v_dual_mul_f32 v31, v35, v55 :: v_dual_mul_f32 v33, v34, v55
	s_delay_alu instid0(VALU_DEP_1) | instskip(NEXT) | instid1(VALU_DEP_1)
	v_dual_fma_f32 v31, v34, v54, -v31 :: v_dual_fmac_f32 v33, v35, v54
	v_dual_add_f32 v41, v30, v31 :: v_dual_add_f32 v42, v32, v33
	v_dual_mul_f32 v30, v35, v57 :: v_dual_mul_f32 v31, v34, v57
	s_delay_alu instid0(VALU_DEP_1) | instskip(NEXT) | instid1(VALU_DEP_1)
	v_dual_fma_f32 v30, v34, v56, -v30 :: v_dual_fmac_f32 v31, v35, v56
	v_dual_add_f32 v26, v26, v30 :: v_dual_add_f32 v28, v28, v31
	ds_load_2addr_b64 v[30:33], v5 offset0:32 offset1:48
	s_wait_dscnt 0x0
	v_dual_mul_f32 v34, v45, v31 :: v_dual_mul_f32 v35, v44, v31
	s_delay_alu instid0(VALU_DEP_1) | instskip(NEXT) | instid1(VALU_DEP_1)
	v_dual_fma_f32 v34, v44, v30, -v34 :: v_dual_fmac_f32 v35, v45, v30
	v_dual_add_f32 v20, v20, v34 :: v_dual_add_f32 v34, v38, v35
	v_dual_mul_f32 v35, v45, v33 :: v_dual_mul_f32 v38, v44, v33
	s_delay_alu instid0(VALU_DEP_1) | instskip(NEXT) | instid1(VALU_DEP_1)
	v_dual_fma_f32 v35, v44, v32, -v35 :: v_dual_fmac_f32 v38, v45, v32
	v_dual_add_f32 v35, v39, v35 :: v_dual_add_f32 v38, v40, v38
	v_dual_mul_f32 v39, v37, v31 :: v_dual_mul_f32 v31, v36, v31
	s_delay_alu instid0(VALU_DEP_1) | instskip(NEXT) | instid1(VALU_DEP_2)
	v_fmac_f32_e32 v31, v37, v30
	v_dual_fma_f32 v39, v36, v30, -v39 :: v_dual_mul_f32 v30, v37, v33
	s_delay_alu instid0(VALU_DEP_2) | instskip(NEXT) | instid1(VALU_DEP_2)
	v_add_f32_e32 v40, v42, v31
	v_dual_add_f32 v39, v41, v39 :: v_dual_fma_f32 v30, v36, v32, -v30
	s_delay_alu instid0(VALU_DEP_1) | instskip(NEXT) | instid1(VALU_DEP_1)
	v_dual_mul_f32 v31, v36, v33 :: v_dual_add_f32 v26, v26, v30
	v_fmac_f32_e32 v31, v37, v32
	s_delay_alu instid0(VALU_DEP_1) | instskip(SKIP_3) | instid1(VALU_DEP_1)
	v_add_f32_e32 v28, v28, v31
	ds_load_2addr_b64 v[30:33], v5 offset0:64 offset1:80
	s_wait_dscnt 0x0
	v_mul_f32_e32 v36, v47, v31
	v_dual_fma_f32 v36, v46, v30, -v36 :: v_dual_mul_f32 v37, v46, v31
	s_delay_alu instid0(VALU_DEP_1) | instskip(SKIP_1) | instid1(VALU_DEP_2)
	v_dual_add_f32 v20, v20, v36 :: v_dual_fmac_f32 v37, v47, v30
	v_mul_f32_e32 v36, v46, v33
	v_add_f32_e32 v41, v34, v37
	v_mul_f32_e32 v34, v47, v33
	s_delay_alu instid0(VALU_DEP_1) | instskip(NEXT) | instid1(VALU_DEP_1)
	v_fma_f32 v34, v46, v32, -v34
	v_add_f32_e32 v42, v35, v34
	v_fmac_f32_e32 v36, v47, v32
	s_delay_alu instid0(VALU_DEP_1) | instskip(SKIP_3) | instid1(VALU_DEP_1)
	v_add_f32_e32 v38, v38, v36
	ds_load_b128 v[34:37], v29 offset:1040
	s_wait_dscnt 0x0
	v_dual_mul_f32 v43, v35, v31 :: v_dual_mul_f32 v31, v34, v31
	v_fma_f32 v43, v34, v30, -v43
	s_delay_alu instid0(VALU_DEP_2) | instskip(NEXT) | instid1(VALU_DEP_2)
	v_dual_fmac_f32 v31, v35, v30 :: v_dual_mul_f32 v30, v35, v33
	v_add_f32_e32 v39, v39, v43
	s_delay_alu instid0(VALU_DEP_2) | instskip(NEXT) | instid1(VALU_DEP_1)
	v_dual_add_f32 v40, v40, v31 :: v_dual_mul_f32 v31, v34, v33
	v_dual_fma_f32 v30, v34, v32, -v30 :: v_dual_fmac_f32 v31, v35, v32
	s_delay_alu instid0(VALU_DEP_1) | instskip(SKIP_3) | instid1(VALU_DEP_1)
	v_dual_add_f32 v26, v26, v30 :: v_dual_add_f32 v28, v28, v31
	ds_load_2addr_b64 v[30:33], v5 offset0:96 offset1:112
	s_wait_dscnt 0x0
	v_dual_mul_f32 v34, v49, v31 :: v_dual_mul_f32 v35, v48, v31
	v_dual_fma_f32 v34, v48, v30, -v34 :: v_dual_fmac_f32 v35, v49, v30
	s_delay_alu instid0(VALU_DEP_1) | instskip(SKIP_1) | instid1(VALU_DEP_1)
	v_dual_add_f32 v20, v20, v34 :: v_dual_add_f32 v34, v41, v35
	v_mul_f32_e32 v41, v48, v33
	v_fmac_f32_e32 v41, v49, v32
	s_delay_alu instid0(VALU_DEP_1) | instskip(SKIP_1) | instid1(VALU_DEP_2)
	v_dual_add_f32 v38, v38, v41 :: v_dual_mul_f32 v41, v37, v31
	v_dual_mul_f32 v35, v49, v33 :: v_dual_mul_f32 v31, v36, v31
	v_fma_f32 v41, v36, v30, -v41
	s_delay_alu instid0(VALU_DEP_2) | instskip(NEXT) | instid1(VALU_DEP_3)
	v_fma_f32 v35, v48, v32, -v35
	v_dual_fmac_f32 v31, v37, v30 :: v_dual_mul_f32 v30, v37, v33
	s_delay_alu instid0(VALU_DEP_2) | instskip(NEXT) | instid1(VALU_DEP_2)
	v_dual_add_f32 v39, v39, v41 :: v_dual_add_f32 v35, v42, v35
	v_add_f32_e32 v40, v40, v31
	s_delay_alu instid0(VALU_DEP_3) | instskip(NEXT) | instid1(VALU_DEP_1)
	v_dual_fma_f32 v30, v36, v32, -v30 :: v_dual_mul_f32 v31, v36, v33
	v_dual_fmac_f32 v31, v37, v32 :: v_dual_add_f32 v26, v26, v30
	s_delay_alu instid0(VALU_DEP_1) | instskip(SKIP_3) | instid1(VALU_DEP_1)
	v_add_f32_e32 v28, v28, v31
	ds_load_2addr_b64 v[30:33], v5 offset0:128 offset1:144
	s_wait_dscnt 0x0
	v_dual_mul_f32 v36, v51, v31 :: v_dual_mul_f32 v37, v50, v31
	v_dual_fma_f32 v36, v50, v30, -v36 :: v_dual_fmac_f32 v37, v51, v30
	s_delay_alu instid0(VALU_DEP_1) | instskip(SKIP_1) | instid1(VALU_DEP_1)
	v_dual_add_f32 v20, v20, v36 :: v_dual_add_f32 v41, v34, v37
	v_dual_mul_f32 v34, v51, v33 :: v_dual_mul_f32 v36, v50, v33
	v_dual_fma_f32 v34, v50, v32, -v34 :: v_dual_fmac_f32 v36, v51, v32
	s_delay_alu instid0(VALU_DEP_1) | instskip(SKIP_3) | instid1(VALU_DEP_1)
	v_dual_add_f32 v42, v35, v34 :: v_dual_add_f32 v38, v38, v36
	ds_load_b128 v[34:37], v29 offset:1056
	s_wait_dscnt 0x0
	v_dual_mul_f32 v43, v35, v31 :: v_dual_mul_f32 v31, v34, v31
	v_fmac_f32_e32 v31, v35, v30
	s_delay_alu instid0(VALU_DEP_2) | instskip(NEXT) | instid1(VALU_DEP_2)
	v_dual_fma_f32 v43, v34, v30, -v43 :: v_dual_mul_f32 v30, v35, v33
	v_dual_add_f32 v40, v40, v31 :: v_dual_mul_f32 v31, v34, v33
	s_delay_alu instid0(VALU_DEP_2) | instskip(NEXT) | instid1(VALU_DEP_1)
	v_dual_add_f32 v39, v39, v43 :: v_dual_fma_f32 v30, v34, v32, -v30
	v_dual_fmac_f32 v31, v35, v32 :: v_dual_add_f32 v26, v26, v30
	s_delay_alu instid0(VALU_DEP_1) | instskip(SKIP_3) | instid1(VALU_DEP_1)
	v_add_f32_e32 v28, v28, v31
	ds_load_2addr_b64 v[30:33], v5 offset0:160 offset1:176
	s_wait_dscnt 0x0
	v_dual_mul_f32 v34, v53, v31 :: v_dual_mul_f32 v35, v52, v31
	v_dual_fma_f32 v34, v52, v30, -v34 :: v_dual_fmac_f32 v35, v53, v30
	s_delay_alu instid0(VALU_DEP_1) | instskip(SKIP_1) | instid1(VALU_DEP_1)
	v_dual_add_f32 v20, v20, v34 :: v_dual_add_f32 v34, v41, v35
	v_mul_f32_e32 v41, v52, v33
	v_fmac_f32_e32 v41, v53, v32
	s_delay_alu instid0(VALU_DEP_1) | instskip(SKIP_1) | instid1(VALU_DEP_2)
	v_dual_add_f32 v38, v38, v41 :: v_dual_mul_f32 v41, v37, v31
	v_dual_mul_f32 v35, v53, v33 :: v_dual_mul_f32 v31, v36, v31
	v_fma_f32 v41, v36, v30, -v41
	s_delay_alu instid0(VALU_DEP_2) | instskip(NEXT) | instid1(VALU_DEP_3)
	v_fma_f32 v35, v52, v32, -v35
	v_dual_fmac_f32 v31, v37, v30 :: v_dual_mul_f32 v30, v37, v33
	s_delay_alu instid0(VALU_DEP_2) | instskip(NEXT) | instid1(VALU_DEP_2)
	v_dual_add_f32 v39, v39, v41 :: v_dual_add_f32 v35, v42, v35
	v_add_f32_e32 v44, v40, v31
	s_delay_alu instid0(VALU_DEP_3) | instskip(SKIP_2) | instid1(VALU_DEP_1)
	v_dual_fma_f32 v30, v36, v32, -v30 :: v_dual_mul_f32 v31, v36, v33
	ds_load_b128 v[40:43], v29 offset:1072
	v_dual_fmac_f32 v31, v37, v32 :: v_dual_add_f32 v26, v26, v30
	v_add_f32_e32 v28, v28, v31
	ds_load_2addr_b64 v[30:33], v5 offset0:192 offset1:208
	s_wait_dscnt 0x0
	v_dual_mul_f32 v36, v1, v31 :: v_dual_mul_f32 v37, v0, v31
	s_delay_alu instid0(VALU_DEP_1) | instskip(NEXT) | instid1(VALU_DEP_1)
	v_dual_fma_f32 v36, v0, v30, -v36 :: v_dual_fmac_f32 v37, v1, v30
	v_dual_add_f32 v20, v20, v36 :: v_dual_add_f32 v34, v34, v37
	v_mul_f32_e32 v36, v1, v33
	s_delay_alu instid0(VALU_DEP_1) | instskip(NEXT) | instid1(VALU_DEP_1)
	v_dual_fma_f32 v36, v0, v32, -v36 :: v_dual_mul_f32 v0, v0, v33
	v_fmac_f32_e32 v0, v1, v32
	s_delay_alu instid0(VALU_DEP_2) | instskip(NEXT) | instid1(VALU_DEP_1)
	v_dual_add_f32 v1, v35, v36 :: v_dual_mul_f32 v35, v41, v31
	v_dual_mul_f32 v31, v40, v31 :: v_dual_fma_f32 v35, v40, v30, -v35
	s_delay_alu instid0(VALU_DEP_1) | instskip(NEXT) | instid1(VALU_DEP_2)
	v_dual_add_f32 v0, v38, v0 :: v_dual_fmac_f32 v31, v41, v30
	v_dual_add_f32 v30, v39, v35 :: v_dual_mul_f32 v35, v41, v33
	v_mul_f32_e32 v33, v40, v33
	s_delay_alu instid0(VALU_DEP_3)
	v_add_f32_e32 v31, v44, v31
	ds_load_2addr_b64 v[44:47], v5 offset0:224 offset1:240
	s_wait_dscnt 0x0
	v_dual_fma_f32 v35, v40, v32, -v35 :: v_dual_fmac_f32 v33, v41, v32
	s_barrier_signal -1
	s_barrier_wait -1
	s_delay_alu instid0(VALU_DEP_1) | instskip(SKIP_1) | instid1(VALU_DEP_1)
	v_dual_add_f32 v26, v26, v35 :: v_dual_add_f32 v28, v28, v33
	v_dual_mul_f32 v32, v3, v45 :: v_dual_mul_f32 v33, v2, v45
	v_dual_fma_f32 v32, v2, v44, -v32 :: v_dual_fmac_f32 v33, v3, v44
	s_delay_alu instid0(VALU_DEP_1) | instskip(SKIP_1) | instid1(VALU_DEP_1)
	v_dual_add_f32 v38, v20, v32 :: v_dual_add_f32 v40, v34, v33
	v_mul_f32_e32 v20, v3, v47
	v_dual_fma_f32 v20, v2, v46, -v20 :: v_dual_mul_f32 v2, v2, v47
	s_delay_alu instid0(VALU_DEP_1) | instskip(NEXT) | instid1(VALU_DEP_1)
	v_dual_fmac_f32 v2, v3, v46 :: v_dual_add_f32 v34, v1, v20
	v_dual_mul_f32 v1, v42, v45 :: v_dual_add_f32 v36, v0, v2
	s_delay_alu instid0(VALU_DEP_1) | instskip(NEXT) | instid1(VALU_DEP_1)
	v_dual_mul_f32 v0, v43, v45 :: v_dual_fmac_f32 v1, v43, v44
	v_dual_fma_f32 v0, v42, v44, -v0 :: v_dual_add_f32 v32, v31, v1
	v_mul_f32_e32 v1, v42, v47
	s_delay_alu instid0(VALU_DEP_2) | instskip(NEXT) | instid1(VALU_DEP_1)
	v_dual_add_f32 v30, v30, v0 :: v_dual_mul_f32 v0, v43, v47
	v_dual_fmac_f32 v1, v43, v46 :: v_dual_fma_f32 v0, v42, v46, -v0
	s_delay_alu instid0(VALU_DEP_1)
	v_dual_add_f32 v28, v28, v1 :: v_dual_add_f32 v26, v26, v0
	s_cbranch_vccz .LBB237_15
.LBB237_9:                              ;   Parent Loop BB237_6 Depth=1
                                        ; =>  This Inner Loop Header: Depth=2
	v_dual_mov_b32 v0, 0 :: v_dual_mov_b32 v1, 0
	s_and_saveexec_b32 s31, s0
	s_cbranch_execz .LBB237_13
; %bb.10:                               ;   in Loop: Header=BB237_9 Depth=2
	v_dual_mov_b32 v1, 0 :: v_dual_add_nc_u32 v20, s10, v6
	v_mov_b32_e32 v0, 0
	s_mov_b32 s33, exec_lo
	s_delay_alu instid0(VALU_DEP_2)
	v_cmpx_gt_u64_e64 s[12:13], v[20:21]
	s_cbranch_execz .LBB237_12
; %bb.11:                               ;   in Loop: Header=BB237_9 Depth=2
	v_lshl_add_u64 v[0:1], v[20:21], 3, v[22:23]
	global_load_b64 v[0:1], v[0:1], off
.LBB237_12:                             ;   in Loop: Header=BB237_9 Depth=2
	s_wait_xcnt 0x0
	s_or_b32 exec_lo, exec_lo, s33
.LBB237_13:                             ;   in Loop: Header=BB237_9 Depth=2
	s_delay_alu instid0(SALU_CYCLE_1)
	s_or_b32 exec_lo, exec_lo, s31
	v_dual_add_nc_u32 v20, s10, v4 :: v_dual_mov_b32 v2, 0
	v_mov_b32_e32 v3, 0
	s_wait_loadcnt 0x0
	ds_store_b64 v7, v[0:1]
	v_cmp_gt_u64_e32 vcc_lo, s[12:13], v[20:21]
	s_and_b32 s33, vcc_lo, s1
	s_delay_alu instid0(SALU_CYCLE_1)
	s_and_saveexec_b32 s31, s33
	s_cbranch_execz .LBB237_8
; %bb.14:                               ;   in Loop: Header=BB237_9 Depth=2
	v_lshl_add_u64 v[0:1], v[20:21], 3, v[24:25]
	global_load_b64 v[2:3], v[0:1], off
	s_branch .LBB237_8
.LBB237_15:                             ;   in Loop: Header=BB237_6 Depth=1
	s_wait_kmcnt 0x0
	s_mul_u64 s[10:11], s[6:7], s[26:27]
	s_delay_alu instid0(SALU_CYCLE_1) | instskip(NEXT) | instid1(SALU_CYCLE_1)
	s_lshl_b64 s[10:11], s[10:11], 3
	s_add_nc_u64 s[10:11], s[20:21], s[10:11]
	s_delay_alu instid0(SALU_CYCLE_1)
	v_lshl_add_u64 v[0:1], v[10:11], 3, s[10:11]
	s_and_saveexec_b32 s31, s17
	s_cbranch_execz .LBB237_20
; %bb.16:                               ;   in Loop: Header=BB237_6 Depth=1
	v_mov_b64_e32 v[2:3], s[4:5]
	v_mov_b64_e32 v[22:23], s[14:15]
	s_and_b32 vcc_lo, exec_lo, s16
	s_mov_b32 s33, -1
	s_delay_alu instid0(VALU_DEP_2) | instskip(NEXT) | instid1(VALU_DEP_1)
	v_pk_mul_f32 v[2:3], v[40:41], v[2:3] op_sel_hi:[0,1]
	v_pk_fma_f32 v[24:25], v[38:39], v[22:23], v[2:3] op_sel_hi:[0,1,1]
	v_pk_fma_f32 v[2:3], v[38:39], v[22:23], v[2:3] neg_lo:[0,0,1] neg_hi:[0,0,1]
	v_lshl_add_u64 v[22:23], v[8:9], 3, v[0:1]
	s_delay_alu instid0(VALU_DEP_3)
	v_mov_b32_e32 v3, v25
	s_cbranch_vccz .LBB237_18
; %bb.17:                               ;   in Loop: Header=BB237_6 Depth=1
	global_load_b64 v[24:25], v[22:23], off
	v_mov_b64_e32 v[38:39], s[24:25]
	v_mov_b64_e32 v[40:41], s[2:3]
	s_mov_b32 s33, 0
	s_wait_loadcnt 0x0
	s_delay_alu instid0(VALU_DEP_2) | instskip(NEXT) | instid1(VALU_DEP_1)
	v_pk_mul_f32 v[38:39], v[24:25], v[38:39]
	v_pk_fma_f32 v[42:43], v[24:25], v[40:41], v[38:39] op_sel:[0,0,1] op_sel_hi:[1,1,0]
	v_pk_fma_f32 v[24:25], v[24:25], v[40:41], v[38:39] op_sel:[0,0,1] op_sel_hi:[1,1,0] neg_lo:[0,0,1] neg_hi:[0,0,1]
	s_delay_alu instid0(VALU_DEP_2) | instskip(NEXT) | instid1(VALU_DEP_1)
	v_mov_b32_e32 v25, v43
	v_pk_add_f32 v[24:25], v[2:3], v[24:25]
	global_store_b64 v[22:23], v[24:25], off
.LBB237_18:                             ;   in Loop: Header=BB237_6 Depth=1
	s_and_not1_b32 vcc_lo, exec_lo, s33
	s_cbranch_vccnz .LBB237_20
; %bb.19:                               ;   in Loop: Header=BB237_6 Depth=1
	global_store_b64 v[22:23], v[2:3], off
.LBB237_20:                             ;   in Loop: Header=BB237_6 Depth=1
	s_wait_xcnt 0x0
	s_or_b32 exec_lo, exec_lo, s31
	s_and_saveexec_b32 s31, s22
	s_cbranch_execz .LBB237_25
; %bb.21:                               ;   in Loop: Header=BB237_6 Depth=1
	v_mov_b64_e32 v[2:3], s[4:5]
	v_mov_b64_e32 v[22:23], s[14:15]
	v_lshl_add_u64 v[0:1], v[18:19], 3, v[0:1]
	s_and_not1_b32 vcc_lo, exec_lo, s16
	s_mov_b32 s33, -1
	s_delay_alu instid0(VALU_DEP_3) | instskip(NEXT) | instid1(VALU_DEP_1)
	v_pk_mul_f32 v[2:3], v[36:37], v[2:3] op_sel_hi:[0,1]
	v_pk_fma_f32 v[24:25], v[34:35], v[22:23], v[2:3] op_sel_hi:[0,1,1]
	v_pk_fma_f32 v[2:3], v[34:35], v[22:23], v[2:3] neg_lo:[0,0,1] neg_hi:[0,0,1]
	s_delay_alu instid0(VALU_DEP_2)
	v_mov_b32_e32 v3, v25
	s_cbranch_vccnz .LBB237_23
; %bb.22:                               ;   in Loop: Header=BB237_6 Depth=1
	global_load_b64 v[22:23], v[0:1], off
	v_mov_b64_e32 v[24:25], s[24:25]
	v_mov_b64_e32 v[34:35], s[2:3]
	s_mov_b32 s33, 0
	s_wait_loadcnt 0x0
	s_delay_alu instid0(VALU_DEP_2) | instskip(NEXT) | instid1(VALU_DEP_1)
	v_pk_mul_f32 v[24:25], v[22:23], v[24:25]
	v_pk_fma_f32 v[36:37], v[22:23], v[34:35], v[24:25] op_sel:[0,0,1] op_sel_hi:[1,1,0]
	v_pk_fma_f32 v[22:23], v[22:23], v[34:35], v[24:25] op_sel:[0,0,1] op_sel_hi:[1,1,0] neg_lo:[0,0,1] neg_hi:[0,0,1]
	s_delay_alu instid0(VALU_DEP_2) | instskip(NEXT) | instid1(VALU_DEP_1)
	v_mov_b32_e32 v23, v37
	v_pk_add_f32 v[22:23], v[2:3], v[22:23]
	global_store_b64 v[0:1], v[22:23], off
.LBB237_23:                             ;   in Loop: Header=BB237_6 Depth=1
	s_and_not1_b32 vcc_lo, exec_lo, s33
	s_cbranch_vccnz .LBB237_25
; %bb.24:                               ;   in Loop: Header=BB237_6 Depth=1
	global_store_b64 v[0:1], v[2:3], off
.LBB237_25:                             ;   in Loop: Header=BB237_6 Depth=1
	s_wait_xcnt 0x0
	s_or_b32 exec_lo, exec_lo, s31
	v_lshl_add_u64 v[0:1], v[12:13], 3, s[10:11]
	s_and_saveexec_b32 s10, s23
	s_cbranch_execz .LBB237_30
; %bb.26:                               ;   in Loop: Header=BB237_6 Depth=1
	v_mov_b64_e32 v[2:3], s[4:5]
	v_mov_b64_e32 v[22:23], s[14:15]
	s_and_not1_b32 vcc_lo, exec_lo, s16
	s_mov_b32 s11, -1
	s_delay_alu instid0(VALU_DEP_2) | instskip(NEXT) | instid1(VALU_DEP_1)
	v_pk_mul_f32 v[2:3], v[32:33], v[2:3] op_sel_hi:[0,1]
	v_pk_fma_f32 v[24:25], v[30:31], v[22:23], v[2:3] op_sel_hi:[0,1,1]
	v_pk_fma_f32 v[2:3], v[30:31], v[22:23], v[2:3] neg_lo:[0,0,1] neg_hi:[0,0,1]
	v_lshl_add_u64 v[22:23], v[8:9], 3, v[0:1]
	s_delay_alu instid0(VALU_DEP_3)
	v_mov_b32_e32 v3, v25
	s_cbranch_vccnz .LBB237_28
; %bb.27:                               ;   in Loop: Header=BB237_6 Depth=1
	global_load_b64 v[24:25], v[22:23], off
	v_mov_b64_e32 v[30:31], s[24:25]
	v_mov_b64_e32 v[32:33], s[2:3]
	s_mov_b32 s11, 0
	s_wait_loadcnt 0x0
	s_delay_alu instid0(VALU_DEP_2) | instskip(NEXT) | instid1(VALU_DEP_1)
	v_pk_mul_f32 v[30:31], v[24:25], v[30:31]
	v_pk_fma_f32 v[34:35], v[24:25], v[32:33], v[30:31] op_sel:[0,0,1] op_sel_hi:[1,1,0]
	v_pk_fma_f32 v[24:25], v[24:25], v[32:33], v[30:31] op_sel:[0,0,1] op_sel_hi:[1,1,0] neg_lo:[0,0,1] neg_hi:[0,0,1]
	s_delay_alu instid0(VALU_DEP_2) | instskip(NEXT) | instid1(VALU_DEP_1)
	v_mov_b32_e32 v25, v35
	v_pk_add_f32 v[24:25], v[2:3], v[24:25]
	global_store_b64 v[22:23], v[24:25], off
.LBB237_28:                             ;   in Loop: Header=BB237_6 Depth=1
	s_and_not1_b32 vcc_lo, exec_lo, s11
	s_cbranch_vccnz .LBB237_30
; %bb.29:                               ;   in Loop: Header=BB237_6 Depth=1
	global_store_b64 v[22:23], v[2:3], off
.LBB237_30:                             ;   in Loop: Header=BB237_6 Depth=1
	s_wait_xcnt 0x0
	s_or_b32 exec_lo, exec_lo, s10
	s_and_saveexec_b32 s10, s29
	s_cbranch_execz .LBB237_5
; %bb.31:                               ;   in Loop: Header=BB237_6 Depth=1
	v_mov_b64_e32 v[2:3], s[4:5]
	v_mov_b64_e32 v[22:23], s[14:15]
	v_lshl_add_u64 v[0:1], v[18:19], 3, v[0:1]
	s_and_not1_b32 vcc_lo, exec_lo, s16
	s_mov_b32 s11, -1
	s_delay_alu instid0(VALU_DEP_3) | instskip(NEXT) | instid1(VALU_DEP_1)
	v_pk_mul_f32 v[2:3], v[28:29], v[2:3] op_sel_hi:[0,1]
	v_pk_fma_f32 v[24:25], v[26:27], v[22:23], v[2:3] op_sel_hi:[0,1,1]
	v_pk_fma_f32 v[2:3], v[26:27], v[22:23], v[2:3] neg_lo:[0,0,1] neg_hi:[0,0,1]
	s_delay_alu instid0(VALU_DEP_2)
	v_mov_b32_e32 v3, v25
	s_cbranch_vccnz .LBB237_33
; %bb.32:                               ;   in Loop: Header=BB237_6 Depth=1
	global_load_b64 v[22:23], v[0:1], off
	v_mov_b64_e32 v[24:25], s[24:25]
	v_mov_b64_e32 v[30:31], s[2:3]
	s_mov_b32 s11, 0
	s_wait_loadcnt 0x0
	s_delay_alu instid0(VALU_DEP_2) | instskip(NEXT) | instid1(VALU_DEP_1)
	v_pk_mul_f32 v[24:25], v[22:23], v[24:25]
	v_pk_fma_f32 v[32:33], v[22:23], v[30:31], v[24:25] op_sel:[0,0,1] op_sel_hi:[1,1,0]
	v_pk_fma_f32 v[22:23], v[22:23], v[30:31], v[24:25] op_sel:[0,0,1] op_sel_hi:[1,1,0] neg_lo:[0,0,1] neg_hi:[0,0,1]
	s_delay_alu instid0(VALU_DEP_2) | instskip(NEXT) | instid1(VALU_DEP_1)
	v_mov_b32_e32 v23, v33
	v_pk_add_f32 v[22:23], v[2:3], v[22:23]
	global_store_b64 v[0:1], v[22:23], off
.LBB237_33:                             ;   in Loop: Header=BB237_6 Depth=1
	s_and_not1_b32 vcc_lo, exec_lo, s11
	s_cbranch_vccnz .LBB237_5
; %bb.34:                               ;   in Loop: Header=BB237_6 Depth=1
	global_store_b64 v[0:1], v[2:3], off
	s_branch .LBB237_5
.LBB237_35:
	s_endpgm
	.section	.rodata,"a",@progbits
	.p2align	6, 0x0
	.amdhsa_kernel _ZL29rocblas_internal_gemmt_kernelIlLi16ELi32ELi8ELc84ELc78ELc85ELb0ELb0E19rocblas_complex_numIfES1_PKS1_PS1_EviT_T9_T10_S5_lS7_S5_lS6_T11_S5_li
		.amdhsa_group_segment_fixed_size 4096
		.amdhsa_private_segment_fixed_size 0
		.amdhsa_kernarg_size 108
		.amdhsa_user_sgpr_count 2
		.amdhsa_user_sgpr_dispatch_ptr 0
		.amdhsa_user_sgpr_queue_ptr 0
		.amdhsa_user_sgpr_kernarg_segment_ptr 1
		.amdhsa_user_sgpr_dispatch_id 0
		.amdhsa_user_sgpr_kernarg_preload_length 0
		.amdhsa_user_sgpr_kernarg_preload_offset 0
		.amdhsa_user_sgpr_private_segment_size 0
		.amdhsa_wavefront_size32 1
		.amdhsa_uses_dynamic_stack 0
		.amdhsa_enable_private_segment 0
		.amdhsa_system_sgpr_workgroup_id_x 1
		.amdhsa_system_sgpr_workgroup_id_y 1
		.amdhsa_system_sgpr_workgroup_id_z 1
		.amdhsa_system_sgpr_workgroup_info 0
		.amdhsa_system_vgpr_workitem_id 1
		.amdhsa_next_free_vgpr 58
		.amdhsa_next_free_sgpr 36
		.amdhsa_named_barrier_count 0
		.amdhsa_reserve_vcc 1
		.amdhsa_float_round_mode_32 0
		.amdhsa_float_round_mode_16_64 0
		.amdhsa_float_denorm_mode_32 3
		.amdhsa_float_denorm_mode_16_64 3
		.amdhsa_fp16_overflow 0
		.amdhsa_memory_ordered 1
		.amdhsa_forward_progress 1
		.amdhsa_inst_pref_size 25
		.amdhsa_round_robin_scheduling 0
		.amdhsa_exception_fp_ieee_invalid_op 0
		.amdhsa_exception_fp_denorm_src 0
		.amdhsa_exception_fp_ieee_div_zero 0
		.amdhsa_exception_fp_ieee_overflow 0
		.amdhsa_exception_fp_ieee_underflow 0
		.amdhsa_exception_fp_ieee_inexact 0
		.amdhsa_exception_int_div_zero 0
	.end_amdhsa_kernel
	.section	.text._ZL29rocblas_internal_gemmt_kernelIlLi16ELi32ELi8ELc84ELc78ELc85ELb0ELb0E19rocblas_complex_numIfES1_PKS1_PS1_EviT_T9_T10_S5_lS7_S5_lS6_T11_S5_li,"axG",@progbits,_ZL29rocblas_internal_gemmt_kernelIlLi16ELi32ELi8ELc84ELc78ELc85ELb0ELb0E19rocblas_complex_numIfES1_PKS1_PS1_EviT_T9_T10_S5_lS7_S5_lS6_T11_S5_li,comdat
.Lfunc_end237:
	.size	_ZL29rocblas_internal_gemmt_kernelIlLi16ELi32ELi8ELc84ELc78ELc85ELb0ELb0E19rocblas_complex_numIfES1_PKS1_PS1_EviT_T9_T10_S5_lS7_S5_lS6_T11_S5_li, .Lfunc_end237-_ZL29rocblas_internal_gemmt_kernelIlLi16ELi32ELi8ELc84ELc78ELc85ELb0ELb0E19rocblas_complex_numIfES1_PKS1_PS1_EviT_T9_T10_S5_lS7_S5_lS6_T11_S5_li
                                        ; -- End function
	.set _ZL29rocblas_internal_gemmt_kernelIlLi16ELi32ELi8ELc84ELc78ELc85ELb0ELb0E19rocblas_complex_numIfES1_PKS1_PS1_EviT_T9_T10_S5_lS7_S5_lS6_T11_S5_li.num_vgpr, 58
	.set _ZL29rocblas_internal_gemmt_kernelIlLi16ELi32ELi8ELc84ELc78ELc85ELb0ELb0E19rocblas_complex_numIfES1_PKS1_PS1_EviT_T9_T10_S5_lS7_S5_lS6_T11_S5_li.num_agpr, 0
	.set _ZL29rocblas_internal_gemmt_kernelIlLi16ELi32ELi8ELc84ELc78ELc85ELb0ELb0E19rocblas_complex_numIfES1_PKS1_PS1_EviT_T9_T10_S5_lS7_S5_lS6_T11_S5_li.numbered_sgpr, 36
	.set _ZL29rocblas_internal_gemmt_kernelIlLi16ELi32ELi8ELc84ELc78ELc85ELb0ELb0E19rocblas_complex_numIfES1_PKS1_PS1_EviT_T9_T10_S5_lS7_S5_lS6_T11_S5_li.num_named_barrier, 0
	.set _ZL29rocblas_internal_gemmt_kernelIlLi16ELi32ELi8ELc84ELc78ELc85ELb0ELb0E19rocblas_complex_numIfES1_PKS1_PS1_EviT_T9_T10_S5_lS7_S5_lS6_T11_S5_li.private_seg_size, 0
	.set _ZL29rocblas_internal_gemmt_kernelIlLi16ELi32ELi8ELc84ELc78ELc85ELb0ELb0E19rocblas_complex_numIfES1_PKS1_PS1_EviT_T9_T10_S5_lS7_S5_lS6_T11_S5_li.uses_vcc, 1
	.set _ZL29rocblas_internal_gemmt_kernelIlLi16ELi32ELi8ELc84ELc78ELc85ELb0ELb0E19rocblas_complex_numIfES1_PKS1_PS1_EviT_T9_T10_S5_lS7_S5_lS6_T11_S5_li.uses_flat_scratch, 0
	.set _ZL29rocblas_internal_gemmt_kernelIlLi16ELi32ELi8ELc84ELc78ELc85ELb0ELb0E19rocblas_complex_numIfES1_PKS1_PS1_EviT_T9_T10_S5_lS7_S5_lS6_T11_S5_li.has_dyn_sized_stack, 0
	.set _ZL29rocblas_internal_gemmt_kernelIlLi16ELi32ELi8ELc84ELc78ELc85ELb0ELb0E19rocblas_complex_numIfES1_PKS1_PS1_EviT_T9_T10_S5_lS7_S5_lS6_T11_S5_li.has_recursion, 0
	.set _ZL29rocblas_internal_gemmt_kernelIlLi16ELi32ELi8ELc84ELc78ELc85ELb0ELb0E19rocblas_complex_numIfES1_PKS1_PS1_EviT_T9_T10_S5_lS7_S5_lS6_T11_S5_li.has_indirect_call, 0
	.section	.AMDGPU.csdata,"",@progbits
; Kernel info:
; codeLenInByte = 3184
; TotalNumSgprs: 38
; NumVgprs: 58
; ScratchSize: 0
; MemoryBound: 0
; FloatMode: 240
; IeeeMode: 1
; LDSByteSize: 4096 bytes/workgroup (compile time only)
; SGPRBlocks: 0
; VGPRBlocks: 3
; NumSGPRsForWavesPerEU: 38
; NumVGPRsForWavesPerEU: 58
; NamedBarCnt: 0
; Occupancy: 16
; WaveLimiterHint : 0
; COMPUTE_PGM_RSRC2:SCRATCH_EN: 0
; COMPUTE_PGM_RSRC2:USER_SGPR: 2
; COMPUTE_PGM_RSRC2:TRAP_HANDLER: 0
; COMPUTE_PGM_RSRC2:TGID_X_EN: 1
; COMPUTE_PGM_RSRC2:TGID_Y_EN: 1
; COMPUTE_PGM_RSRC2:TGID_Z_EN: 1
; COMPUTE_PGM_RSRC2:TIDIG_COMP_CNT: 1
	.section	.text._ZL29rocblas_internal_gemmt_kernelIlLi16ELi32ELi8ELc84ELc84ELc85ELb0ELb0E19rocblas_complex_numIfES1_PKS1_PS1_EviT_T9_T10_S5_lS7_S5_lS6_T11_S5_li,"axG",@progbits,_ZL29rocblas_internal_gemmt_kernelIlLi16ELi32ELi8ELc84ELc84ELc85ELb0ELb0E19rocblas_complex_numIfES1_PKS1_PS1_EviT_T9_T10_S5_lS7_S5_lS6_T11_S5_li,comdat
	.globl	_ZL29rocblas_internal_gemmt_kernelIlLi16ELi32ELi8ELc84ELc84ELc85ELb0ELb0E19rocblas_complex_numIfES1_PKS1_PS1_EviT_T9_T10_S5_lS7_S5_lS6_T11_S5_li ; -- Begin function _ZL29rocblas_internal_gemmt_kernelIlLi16ELi32ELi8ELc84ELc84ELc85ELb0ELb0E19rocblas_complex_numIfES1_PKS1_PS1_EviT_T9_T10_S5_lS7_S5_lS6_T11_S5_li
	.p2align	8
	.type	_ZL29rocblas_internal_gemmt_kernelIlLi16ELi32ELi8ELc84ELc84ELc85ELb0ELb0E19rocblas_complex_numIfES1_PKS1_PS1_EviT_T9_T10_S5_lS7_S5_lS6_T11_S5_li,@function
_ZL29rocblas_internal_gemmt_kernelIlLi16ELi32ELi8ELc84ELc84ELc85ELb0ELb0E19rocblas_complex_numIfES1_PKS1_PS1_EviT_T9_T10_S5_lS7_S5_lS6_T11_S5_li: ; @_ZL29rocblas_internal_gemmt_kernelIlLi16ELi32ELi8ELc84ELc84ELc85ELb0ELb0E19rocblas_complex_numIfES1_PKS1_PS1_EviT_T9_T10_S5_lS7_S5_lS6_T11_S5_li
; %bb.0:
	s_clause 0x1
	s_load_b64 s[24:25], s[0:1], 0x48
	s_load_b128 s[12:15], s[0:1], 0x8
	s_wait_kmcnt 0x0
	s_cmp_neq_f32 s24, 1.0
	s_cselect_b32 s2, -1, 0
	s_and_b32 s4, s25, 0x7fffffff
	s_delay_alu instid0(SALU_CYCLE_1) | instskip(SKIP_3) | instid1(SALU_CYCLE_1)
	s_cmp_eq_u32 s4, 0
	s_cselect_b32 s3, -1, 0
	s_cmp_lg_u32 s4, 0
	s_cselect_b32 s4, -1, 0
	s_or_b32 s2, s2, s4
	s_delay_alu instid0(SALU_CYCLE_1)
	s_and_b32 vcc_lo, exec_lo, s2
	s_cbranch_vccnz .LBB238_2
; %bb.1:
	s_cmp_lg_u64 s[12:13], 0
	s_cselect_b32 s2, -1, 0
	s_cmp_neq_f32 s14, 0
	s_cselect_b32 s4, -1, 0
	s_cmp_neq_f32 s15, 0
	s_cselect_b32 s5, -1, 0
	s_delay_alu instid0(SALU_CYCLE_1) | instskip(NEXT) | instid1(SALU_CYCLE_1)
	s_or_b32 s4, s4, s5
	s_and_b32 s2, s2, s4
.LBB238_2:
	s_delay_alu instid0(SALU_CYCLE_1)
	s_and_not1_b32 vcc_lo, exec_lo, s2
	s_cbranch_vccnz .LBB238_35
; %bb.3:
	s_load_b32 s30, s[0:1], 0x68
	s_bfe_u32 s2, ttmp6, 0x40014
	s_lshr_b32 s4, ttmp7, 16
	s_add_co_i32 s2, s2, 1
	s_bfe_u32 s6, ttmp6, 0x40008
	s_mul_i32 s5, s4, s2
	s_getreg_b32 s2, hwreg(HW_REG_IB_STS2, 6, 4)
	s_add_co_i32 s6, s6, s5
	s_cmp_eq_u32 s2, 0
	s_mov_b32 s27, 0
	s_cselect_b32 s26, s4, s6
	s_wait_kmcnt 0x0
	s_cmp_ge_u32 s26, s30
	s_cbranch_scc1 .LBB238_35
; %bb.4:
	v_and_b32_e32 v7, 0x3ff, v0
	v_bfe_u32 v9, v0, 10, 10
	s_bfe_u32 s17, ttmp6, 0x4000c
	s_bfe_u32 s18, ttmp6, 0x40010
	s_add_co_i32 s17, s17, 1
	s_and_b32 s19, ttmp7, 0xffff
	s_add_co_i32 s18, s18, 1
	s_load_b256 s[4:11], s[0:1], 0x18
	v_lshl_add_u32 v8, v9, 4, v7
	s_and_b32 s16, ttmp6, 15
	s_mul_i32 s17, ttmp9, s17
	s_mul_i32 s18, s19, s18
	s_bfe_u32 s20, ttmp6, 0x40004
	s_add_co_i32 s16, s16, s17
	s_add_co_i32 s20, s20, s18
	s_cmp_eq_u32 s2, 0
	v_and_b32_e32 v10, 31, v8
	s_cselect_b32 s2, ttmp9, s16
	s_cselect_b32 s31, s19, s20
	s_clause 0x3
	s_load_b32 s33, s[0:1], 0x0
	s_load_b64 s[28:29], s[0:1], 0x60
	s_load_b128 s[16:19], s[0:1], 0x38
	s_load_b128 s[20:23], s[0:1], 0x50
	s_lshl_b32 s2, s2, 5
	v_dual_lshlrev_b32 v5, 3, v7 :: v_dual_bitop2_b32 v4, 7, v0 bitop3:0x40
	v_or_b32_e32 v2, s2, v10
	s_wait_xcnt 0x0
	s_lshl_b32 s0, s31, 5
	v_dual_lshrrev_b32 v6, 5, v8 :: v_dual_lshrrev_b32 v11, 3, v8
	v_dual_add_nc_u32 v8, s2, v7 :: v_dual_add_nc_u32 v20, s0, v9
	v_ashrrev_i32_e32 v3, 31, v2
	s_delay_alu instid0(VALU_DEP_3) | instskip(NEXT) | instid1(VALU_DEP_3)
	v_dual_lshlrev_b32 v7, 3, v10 :: v_dual_add_nc_u32 v14, s0, v11
	v_add_nc_u32_e32 v18, 16, v8
	s_delay_alu instid0(VALU_DEP_4)
	v_dual_add_nc_u32 v22, 16, v20 :: v_dual_ashrrev_i32 v21, 31, v20
	s_wait_kmcnt 0x0
	v_mul_u64_e32 v[0:1], s[6:7], v[2:3]
	v_lshlrev_b32_e32 v3, 3, v4
	s_cmp_neq_f32 s14, 0
	v_ashrrev_i32_e32 v23, 31, v22
	v_ashrrev_i32_e32 v15, 31, v14
	v_cmp_gt_i32_e32 vcc_lo, s33, v20
	v_lshl_or_b32 v3, v11, 6, v3
	v_mul_u64_e32 v[10:11], s[22:23], v[20:21]
	v_mul_u64_e32 v[12:13], s[22:23], v[22:23]
	s_cselect_b32 s1, -1, 0
	s_cmp_neq_f32 s15, 0
	v_cmp_gt_i64_e64 s6, s[12:13], 0
	v_lshl_add_u32 v29, v9, 6, 0x800
	v_ashrrev_i32_e32 v9, 31, v8
	s_cselect_b32 s2, -1, 0
	v_cmp_gt_i32_e64 s0, s33, v2
	s_or_b32 s7, s1, s2
	s_cmp_neq_f32 s24, 0
	v_cmp_le_i32_e64 s2, v8, v20
	v_cmp_gt_i32_e64 s1, s33, v14
	v_lshl_add_u64 v[14:15], v[14:15], 3, s[10:11]
	s_cselect_b32 s10, -1, 0
	s_xor_b32 s3, s3, -1
	s_and_b32 s11, vcc_lo, s2
	s_or_b32 s10, s10, s3
	v_cmp_le_i32_e64 s2, v18, v20
	v_cmp_gt_i32_e64 s3, s33, v22
	v_lshl_or_b32 v7, v6, 8, v7
	v_add_nc_u32_e32 v27, 0x800, v3
	v_dual_ashrrev_i32 v19, 31, v18 :: v_dual_mov_b32 v21, 0
	s_and_b32 s22, vcc_lo, s2
	v_lshl_add_u64 v[16:17], v[0:1], 3, s[4:5]
	v_cmp_le_i32_e64 s4, v8, v22
	v_cmp_le_i32_e64 s5, v18, v22
	s_mov_b32 s2, s24
	s_and_b32 s33, s7, s6
	s_and_b32 s23, s3, s4
	;; [unrolled: 1-line block ×3, first 2 shown]
	s_mov_b32 s3, s24
	s_mov_b32 s24, s25
	;; [unrolled: 1-line block ×4, first 2 shown]
	s_branch .LBB238_6
.LBB238_5:                              ;   in Loop: Header=BB238_6 Depth=1
	s_wait_xcnt 0x0
	s_or_b32 exec_lo, exec_lo, s6
	s_add_co_i32 s26, s26, 0x10000
	s_delay_alu instid0(SALU_CYCLE_1)
	s_cmp_lt_u32 s26, s30
	s_cbranch_scc0 .LBB238_35
.LBB238_6:                              ; =>This Loop Header: Depth=1
                                        ;     Child Loop BB238_9 Depth 2
	v_dual_mov_b32 v38, v21 :: v_dual_mov_b32 v40, v21
	v_dual_mov_b32 v34, v21 :: v_dual_mov_b32 v36, v21
	;; [unrolled: 1-line block ×4, first 2 shown]
	s_and_not1_b32 vcc_lo, exec_lo, s33
	s_cbranch_vccnz .LBB238_15
; %bb.7:                                ;   in Loop: Header=BB238_6 Depth=1
	s_mul_u64 s[6:7], s[8:9], s[26:27]
	s_mul_u64 s[34:35], s[18:19], s[26:27]
	v_lshl_add_u64 v[22:23], s[6:7], 3, v[16:17]
	v_lshl_add_u64 v[24:25], s[34:35], 3, v[14:15]
	v_dual_mov_b32 v28, 0 :: v_dual_mov_b32 v26, 0
	v_dual_mov_b32 v32, 0 :: v_dual_mov_b32 v30, 0
	;; [unrolled: 1-line block ×4, first 2 shown]
	s_mov_b64 s[6:7], 0
	s_branch .LBB238_9
.LBB238_8:                              ;   in Loop: Header=BB238_9 Depth=2
	s_wait_xcnt 0x0
	s_or_b32 exec_lo, exec_lo, s34
	s_wait_loadcnt 0x0
	ds_store_b64 v27, v[2:3]
	s_wait_dscnt 0x0
	s_barrier_signal -1
	s_barrier_wait -1
	ds_load_b128 v[42:45], v29
	ds_load_b128 v[46:49], v29 offset:16
	ds_load_b128 v[50:53], v29 offset:32
	;; [unrolled: 1-line block ×3, first 2 shown]
	ds_load_2addr_b64 v[54:57], v5 offset1:16
	s_add_nc_u64 s[6:7], s[6:7], 8
	s_delay_alu instid0(SALU_CYCLE_1) | instskip(SKIP_3) | instid1(VALU_DEP_1)
	v_cmp_gt_i64_e64 s34, s[12:13], s[6:7]
	s_and_b32 vcc_lo, exec_lo, s34
	s_wait_dscnt 0x0
	v_dual_mul_f32 v20, v43, v55 :: v_dual_mul_f32 v31, v42, v55
	v_dual_mul_f32 v33, v42, v57 :: v_dual_fma_f32 v20, v42, v54, -v20
	s_delay_alu instid0(VALU_DEP_1) | instskip(NEXT) | instid1(VALU_DEP_1)
	v_dual_fmac_f32 v31, v43, v54 :: v_dual_fmac_f32 v33, v43, v56
	v_dual_add_f32 v20, v38, v20 :: v_dual_add_f32 v38, v40, v31
	v_mul_f32_e32 v31, v43, v57
	s_delay_alu instid0(VALU_DEP_1) | instskip(NEXT) | instid1(VALU_DEP_1)
	v_dual_add_f32 v40, v36, v33 :: v_dual_fma_f32 v31, v42, v56, -v31
	v_add_f32_e32 v39, v34, v31
	ds_load_b128 v[34:37], v29 offset:1024
	s_wait_dscnt 0x0
	v_dual_mul_f32 v31, v35, v55 :: v_dual_mul_f32 v33, v34, v55
	s_delay_alu instid0(VALU_DEP_1) | instskip(NEXT) | instid1(VALU_DEP_1)
	v_dual_fma_f32 v31, v34, v54, -v31 :: v_dual_fmac_f32 v33, v35, v54
	v_dual_add_f32 v41, v30, v31 :: v_dual_add_f32 v42, v32, v33
	v_dual_mul_f32 v30, v35, v57 :: v_dual_mul_f32 v31, v34, v57
	s_delay_alu instid0(VALU_DEP_1) | instskip(NEXT) | instid1(VALU_DEP_1)
	v_dual_fma_f32 v30, v34, v56, -v30 :: v_dual_fmac_f32 v31, v35, v56
	v_dual_add_f32 v26, v26, v30 :: v_dual_add_f32 v28, v28, v31
	ds_load_2addr_b64 v[30:33], v5 offset0:32 offset1:48
	s_wait_dscnt 0x0
	v_dual_mul_f32 v34, v45, v31 :: v_dual_mul_f32 v35, v44, v31
	s_delay_alu instid0(VALU_DEP_1) | instskip(NEXT) | instid1(VALU_DEP_1)
	v_dual_fma_f32 v34, v44, v30, -v34 :: v_dual_fmac_f32 v35, v45, v30
	v_dual_add_f32 v20, v20, v34 :: v_dual_add_f32 v34, v38, v35
	v_dual_mul_f32 v35, v45, v33 :: v_dual_mul_f32 v38, v44, v33
	s_delay_alu instid0(VALU_DEP_1) | instskip(NEXT) | instid1(VALU_DEP_1)
	v_dual_fma_f32 v35, v44, v32, -v35 :: v_dual_fmac_f32 v38, v45, v32
	v_dual_add_f32 v35, v39, v35 :: v_dual_add_f32 v38, v40, v38
	v_dual_mul_f32 v39, v37, v31 :: v_dual_mul_f32 v31, v36, v31
	s_delay_alu instid0(VALU_DEP_1) | instskip(NEXT) | instid1(VALU_DEP_2)
	v_fmac_f32_e32 v31, v37, v30
	v_dual_fma_f32 v39, v36, v30, -v39 :: v_dual_mul_f32 v30, v37, v33
	s_delay_alu instid0(VALU_DEP_2) | instskip(NEXT) | instid1(VALU_DEP_2)
	v_add_f32_e32 v40, v42, v31
	v_dual_add_f32 v39, v41, v39 :: v_dual_fma_f32 v30, v36, v32, -v30
	s_delay_alu instid0(VALU_DEP_1) | instskip(NEXT) | instid1(VALU_DEP_1)
	v_dual_mul_f32 v31, v36, v33 :: v_dual_add_f32 v26, v26, v30
	v_fmac_f32_e32 v31, v37, v32
	s_delay_alu instid0(VALU_DEP_1) | instskip(SKIP_3) | instid1(VALU_DEP_1)
	v_add_f32_e32 v28, v28, v31
	ds_load_2addr_b64 v[30:33], v5 offset0:64 offset1:80
	s_wait_dscnt 0x0
	v_mul_f32_e32 v36, v47, v31
	v_dual_fma_f32 v36, v46, v30, -v36 :: v_dual_mul_f32 v37, v46, v31
	s_delay_alu instid0(VALU_DEP_1) | instskip(SKIP_1) | instid1(VALU_DEP_2)
	v_dual_add_f32 v20, v20, v36 :: v_dual_fmac_f32 v37, v47, v30
	v_mul_f32_e32 v36, v46, v33
	v_add_f32_e32 v41, v34, v37
	v_mul_f32_e32 v34, v47, v33
	s_delay_alu instid0(VALU_DEP_1) | instskip(NEXT) | instid1(VALU_DEP_1)
	v_fma_f32 v34, v46, v32, -v34
	v_add_f32_e32 v42, v35, v34
	v_fmac_f32_e32 v36, v47, v32
	s_delay_alu instid0(VALU_DEP_1) | instskip(SKIP_3) | instid1(VALU_DEP_1)
	v_add_f32_e32 v38, v38, v36
	ds_load_b128 v[34:37], v29 offset:1040
	s_wait_dscnt 0x0
	v_dual_mul_f32 v43, v35, v31 :: v_dual_mul_f32 v31, v34, v31
	v_fma_f32 v43, v34, v30, -v43
	s_delay_alu instid0(VALU_DEP_2) | instskip(NEXT) | instid1(VALU_DEP_2)
	v_dual_fmac_f32 v31, v35, v30 :: v_dual_mul_f32 v30, v35, v33
	v_add_f32_e32 v39, v39, v43
	s_delay_alu instid0(VALU_DEP_2) | instskip(NEXT) | instid1(VALU_DEP_1)
	v_dual_add_f32 v40, v40, v31 :: v_dual_mul_f32 v31, v34, v33
	v_dual_fma_f32 v30, v34, v32, -v30 :: v_dual_fmac_f32 v31, v35, v32
	s_delay_alu instid0(VALU_DEP_1) | instskip(SKIP_3) | instid1(VALU_DEP_1)
	v_dual_add_f32 v26, v26, v30 :: v_dual_add_f32 v28, v28, v31
	ds_load_2addr_b64 v[30:33], v5 offset0:96 offset1:112
	s_wait_dscnt 0x0
	v_dual_mul_f32 v34, v49, v31 :: v_dual_mul_f32 v35, v48, v31
	v_dual_fma_f32 v34, v48, v30, -v34 :: v_dual_fmac_f32 v35, v49, v30
	s_delay_alu instid0(VALU_DEP_1) | instskip(SKIP_1) | instid1(VALU_DEP_1)
	v_dual_add_f32 v20, v20, v34 :: v_dual_add_f32 v34, v41, v35
	v_mul_f32_e32 v41, v48, v33
	v_fmac_f32_e32 v41, v49, v32
	s_delay_alu instid0(VALU_DEP_1) | instskip(SKIP_1) | instid1(VALU_DEP_2)
	v_dual_add_f32 v38, v38, v41 :: v_dual_mul_f32 v41, v37, v31
	v_dual_mul_f32 v35, v49, v33 :: v_dual_mul_f32 v31, v36, v31
	v_fma_f32 v41, v36, v30, -v41
	s_delay_alu instid0(VALU_DEP_2) | instskip(NEXT) | instid1(VALU_DEP_3)
	v_fma_f32 v35, v48, v32, -v35
	v_dual_fmac_f32 v31, v37, v30 :: v_dual_mul_f32 v30, v37, v33
	s_delay_alu instid0(VALU_DEP_2) | instskip(NEXT) | instid1(VALU_DEP_2)
	v_dual_add_f32 v39, v39, v41 :: v_dual_add_f32 v35, v42, v35
	v_add_f32_e32 v40, v40, v31
	s_delay_alu instid0(VALU_DEP_3) | instskip(NEXT) | instid1(VALU_DEP_1)
	v_dual_fma_f32 v30, v36, v32, -v30 :: v_dual_mul_f32 v31, v36, v33
	v_dual_fmac_f32 v31, v37, v32 :: v_dual_add_f32 v26, v26, v30
	s_delay_alu instid0(VALU_DEP_1) | instskip(SKIP_3) | instid1(VALU_DEP_1)
	v_add_f32_e32 v28, v28, v31
	ds_load_2addr_b64 v[30:33], v5 offset0:128 offset1:144
	s_wait_dscnt 0x0
	v_dual_mul_f32 v36, v51, v31 :: v_dual_mul_f32 v37, v50, v31
	v_dual_fma_f32 v36, v50, v30, -v36 :: v_dual_fmac_f32 v37, v51, v30
	s_delay_alu instid0(VALU_DEP_1) | instskip(SKIP_1) | instid1(VALU_DEP_1)
	v_dual_add_f32 v20, v20, v36 :: v_dual_add_f32 v41, v34, v37
	v_dual_mul_f32 v34, v51, v33 :: v_dual_mul_f32 v36, v50, v33
	v_dual_fma_f32 v34, v50, v32, -v34 :: v_dual_fmac_f32 v36, v51, v32
	s_delay_alu instid0(VALU_DEP_1) | instskip(SKIP_3) | instid1(VALU_DEP_1)
	v_dual_add_f32 v42, v35, v34 :: v_dual_add_f32 v38, v38, v36
	ds_load_b128 v[34:37], v29 offset:1056
	s_wait_dscnt 0x0
	v_dual_mul_f32 v43, v35, v31 :: v_dual_mul_f32 v31, v34, v31
	v_fmac_f32_e32 v31, v35, v30
	s_delay_alu instid0(VALU_DEP_2) | instskip(NEXT) | instid1(VALU_DEP_2)
	v_dual_fma_f32 v43, v34, v30, -v43 :: v_dual_mul_f32 v30, v35, v33
	v_dual_add_f32 v40, v40, v31 :: v_dual_mul_f32 v31, v34, v33
	s_delay_alu instid0(VALU_DEP_2) | instskip(NEXT) | instid1(VALU_DEP_1)
	v_dual_add_f32 v39, v39, v43 :: v_dual_fma_f32 v30, v34, v32, -v30
	v_dual_fmac_f32 v31, v35, v32 :: v_dual_add_f32 v26, v26, v30
	s_delay_alu instid0(VALU_DEP_1) | instskip(SKIP_3) | instid1(VALU_DEP_1)
	v_add_f32_e32 v28, v28, v31
	ds_load_2addr_b64 v[30:33], v5 offset0:160 offset1:176
	s_wait_dscnt 0x0
	v_dual_mul_f32 v34, v53, v31 :: v_dual_mul_f32 v35, v52, v31
	v_dual_fma_f32 v34, v52, v30, -v34 :: v_dual_fmac_f32 v35, v53, v30
	s_delay_alu instid0(VALU_DEP_1) | instskip(SKIP_1) | instid1(VALU_DEP_1)
	v_dual_add_f32 v20, v20, v34 :: v_dual_add_f32 v34, v41, v35
	v_mul_f32_e32 v41, v52, v33
	v_fmac_f32_e32 v41, v53, v32
	s_delay_alu instid0(VALU_DEP_1) | instskip(SKIP_1) | instid1(VALU_DEP_2)
	v_dual_add_f32 v38, v38, v41 :: v_dual_mul_f32 v41, v37, v31
	v_dual_mul_f32 v35, v53, v33 :: v_dual_mul_f32 v31, v36, v31
	v_fma_f32 v41, v36, v30, -v41
	s_delay_alu instid0(VALU_DEP_2) | instskip(NEXT) | instid1(VALU_DEP_3)
	v_fma_f32 v35, v52, v32, -v35
	v_dual_fmac_f32 v31, v37, v30 :: v_dual_mul_f32 v30, v37, v33
	s_delay_alu instid0(VALU_DEP_2) | instskip(NEXT) | instid1(VALU_DEP_2)
	v_dual_add_f32 v39, v39, v41 :: v_dual_add_f32 v35, v42, v35
	v_add_f32_e32 v44, v40, v31
	s_delay_alu instid0(VALU_DEP_3) | instskip(SKIP_2) | instid1(VALU_DEP_1)
	v_dual_fma_f32 v30, v36, v32, -v30 :: v_dual_mul_f32 v31, v36, v33
	ds_load_b128 v[40:43], v29 offset:1072
	v_dual_fmac_f32 v31, v37, v32 :: v_dual_add_f32 v26, v26, v30
	v_add_f32_e32 v28, v28, v31
	ds_load_2addr_b64 v[30:33], v5 offset0:192 offset1:208
	s_wait_dscnt 0x0
	v_dual_mul_f32 v36, v1, v31 :: v_dual_mul_f32 v37, v0, v31
	s_delay_alu instid0(VALU_DEP_1) | instskip(NEXT) | instid1(VALU_DEP_1)
	v_dual_fma_f32 v36, v0, v30, -v36 :: v_dual_fmac_f32 v37, v1, v30
	v_dual_add_f32 v20, v20, v36 :: v_dual_add_f32 v34, v34, v37
	v_mul_f32_e32 v36, v1, v33
	s_delay_alu instid0(VALU_DEP_1) | instskip(NEXT) | instid1(VALU_DEP_1)
	v_dual_fma_f32 v36, v0, v32, -v36 :: v_dual_mul_f32 v0, v0, v33
	v_fmac_f32_e32 v0, v1, v32
	s_delay_alu instid0(VALU_DEP_2) | instskip(NEXT) | instid1(VALU_DEP_1)
	v_dual_add_f32 v1, v35, v36 :: v_dual_mul_f32 v35, v41, v31
	v_dual_mul_f32 v31, v40, v31 :: v_dual_fma_f32 v35, v40, v30, -v35
	s_delay_alu instid0(VALU_DEP_1) | instskip(NEXT) | instid1(VALU_DEP_2)
	v_dual_add_f32 v0, v38, v0 :: v_dual_fmac_f32 v31, v41, v30
	v_dual_add_f32 v30, v39, v35 :: v_dual_mul_f32 v35, v41, v33
	v_mul_f32_e32 v33, v40, v33
	s_delay_alu instid0(VALU_DEP_3)
	v_add_f32_e32 v31, v44, v31
	ds_load_2addr_b64 v[44:47], v5 offset0:224 offset1:240
	s_wait_dscnt 0x0
	v_dual_fma_f32 v35, v40, v32, -v35 :: v_dual_fmac_f32 v33, v41, v32
	s_barrier_signal -1
	s_barrier_wait -1
	s_delay_alu instid0(VALU_DEP_1) | instskip(SKIP_1) | instid1(VALU_DEP_1)
	v_dual_add_f32 v26, v26, v35 :: v_dual_add_f32 v28, v28, v33
	v_dual_mul_f32 v32, v3, v45 :: v_dual_mul_f32 v33, v2, v45
	v_dual_fma_f32 v32, v2, v44, -v32 :: v_dual_fmac_f32 v33, v3, v44
	s_delay_alu instid0(VALU_DEP_1) | instskip(SKIP_1) | instid1(VALU_DEP_1)
	v_dual_add_f32 v38, v20, v32 :: v_dual_add_f32 v40, v34, v33
	v_mul_f32_e32 v20, v3, v47
	v_dual_fma_f32 v20, v2, v46, -v20 :: v_dual_mul_f32 v2, v2, v47
	s_delay_alu instid0(VALU_DEP_1) | instskip(NEXT) | instid1(VALU_DEP_1)
	v_dual_fmac_f32 v2, v3, v46 :: v_dual_add_f32 v34, v1, v20
	v_dual_mul_f32 v1, v42, v45 :: v_dual_add_f32 v36, v0, v2
	s_delay_alu instid0(VALU_DEP_1) | instskip(NEXT) | instid1(VALU_DEP_1)
	v_dual_mul_f32 v0, v43, v45 :: v_dual_fmac_f32 v1, v43, v44
	v_dual_fma_f32 v0, v42, v44, -v0 :: v_dual_add_f32 v32, v31, v1
	v_mul_f32_e32 v1, v42, v47
	s_delay_alu instid0(VALU_DEP_2) | instskip(NEXT) | instid1(VALU_DEP_1)
	v_dual_add_f32 v30, v30, v0 :: v_dual_mul_f32 v0, v43, v47
	v_dual_fmac_f32 v1, v43, v46 :: v_dual_fma_f32 v0, v42, v46, -v0
	s_delay_alu instid0(VALU_DEP_1)
	v_dual_add_f32 v28, v28, v1 :: v_dual_add_f32 v26, v26, v0
	s_cbranch_vccz .LBB238_15
.LBB238_9:                              ;   Parent Loop BB238_6 Depth=1
                                        ; =>  This Inner Loop Header: Depth=2
	v_dual_mov_b32 v0, 0 :: v_dual_mov_b32 v1, 0
	s_and_saveexec_b32 s34, s0
	s_cbranch_execz .LBB238_13
; %bb.10:                               ;   in Loop: Header=BB238_9 Depth=2
	v_dual_mov_b32 v1, 0 :: v_dual_add_nc_u32 v20, s6, v6
	v_mov_b32_e32 v0, 0
	s_mov_b32 s35, exec_lo
	s_delay_alu instid0(VALU_DEP_2)
	v_cmpx_gt_u64_e64 s[12:13], v[20:21]
	s_cbranch_execz .LBB238_12
; %bb.11:                               ;   in Loop: Header=BB238_9 Depth=2
	v_lshl_add_u64 v[0:1], v[20:21], 3, v[22:23]
	global_load_b64 v[0:1], v[0:1], off
.LBB238_12:                             ;   in Loop: Header=BB238_9 Depth=2
	s_wait_xcnt 0x0
	s_or_b32 exec_lo, exec_lo, s35
.LBB238_13:                             ;   in Loop: Header=BB238_9 Depth=2
	s_delay_alu instid0(SALU_CYCLE_1)
	s_or_b32 exec_lo, exec_lo, s34
	v_dual_add_nc_u32 v20, s6, v4 :: v_dual_mov_b32 v2, 0
	v_mov_b32_e32 v3, 0
	s_wait_loadcnt 0x0
	ds_store_b64 v7, v[0:1]
	v_cmp_gt_u64_e32 vcc_lo, s[12:13], v[20:21]
	s_and_b32 s35, vcc_lo, s1
	s_delay_alu instid0(SALU_CYCLE_1)
	s_and_saveexec_b32 s34, s35
	s_cbranch_execz .LBB238_8
; %bb.14:                               ;   in Loop: Header=BB238_9 Depth=2
	v_mul_u64_e32 v[0:1], s[16:17], v[20:21]
	s_delay_alu instid0(VALU_DEP_1)
	v_lshl_add_u64 v[0:1], v[0:1], 3, v[24:25]
	global_load_b64 v[2:3], v[0:1], off
	s_branch .LBB238_8
.LBB238_15:                             ;   in Loop: Header=BB238_6 Depth=1
	s_mul_u64 s[6:7], s[28:29], s[26:27]
	s_delay_alu instid0(SALU_CYCLE_1) | instskip(NEXT) | instid1(SALU_CYCLE_1)
	s_lshl_b64 s[6:7], s[6:7], 3
	s_add_nc_u64 s[6:7], s[20:21], s[6:7]
	s_delay_alu instid0(SALU_CYCLE_1)
	v_lshl_add_u64 v[0:1], v[10:11], 3, s[6:7]
	s_and_saveexec_b32 s34, s11
	s_cbranch_execz .LBB238_20
; %bb.16:                               ;   in Loop: Header=BB238_6 Depth=1
	v_mov_b64_e32 v[2:3], s[4:5]
	v_mov_b64_e32 v[22:23], s[14:15]
	s_and_b32 vcc_lo, exec_lo, s10
	s_mov_b32 s35, -1
	s_delay_alu instid0(VALU_DEP_2) | instskip(NEXT) | instid1(VALU_DEP_1)
	v_pk_mul_f32 v[2:3], v[40:41], v[2:3] op_sel_hi:[0,1]
	v_pk_fma_f32 v[24:25], v[38:39], v[22:23], v[2:3] op_sel_hi:[0,1,1]
	v_pk_fma_f32 v[2:3], v[38:39], v[22:23], v[2:3] neg_lo:[0,0,1] neg_hi:[0,0,1]
	v_lshl_add_u64 v[22:23], v[8:9], 3, v[0:1]
	s_delay_alu instid0(VALU_DEP_3)
	v_mov_b32_e32 v3, v25
	s_cbranch_vccz .LBB238_18
; %bb.17:                               ;   in Loop: Header=BB238_6 Depth=1
	global_load_b64 v[24:25], v[22:23], off
	v_mov_b64_e32 v[38:39], s[24:25]
	v_mov_b64_e32 v[40:41], s[2:3]
	s_mov_b32 s35, 0
	s_wait_loadcnt 0x0
	s_delay_alu instid0(VALU_DEP_2) | instskip(NEXT) | instid1(VALU_DEP_1)
	v_pk_mul_f32 v[38:39], v[24:25], v[38:39]
	v_pk_fma_f32 v[42:43], v[24:25], v[40:41], v[38:39] op_sel:[0,0,1] op_sel_hi:[1,1,0]
	v_pk_fma_f32 v[24:25], v[24:25], v[40:41], v[38:39] op_sel:[0,0,1] op_sel_hi:[1,1,0] neg_lo:[0,0,1] neg_hi:[0,0,1]
	s_delay_alu instid0(VALU_DEP_2) | instskip(NEXT) | instid1(VALU_DEP_1)
	v_mov_b32_e32 v25, v43
	v_pk_add_f32 v[24:25], v[2:3], v[24:25]
	global_store_b64 v[22:23], v[24:25], off
.LBB238_18:                             ;   in Loop: Header=BB238_6 Depth=1
	s_and_not1_b32 vcc_lo, exec_lo, s35
	s_cbranch_vccnz .LBB238_20
; %bb.19:                               ;   in Loop: Header=BB238_6 Depth=1
	global_store_b64 v[22:23], v[2:3], off
.LBB238_20:                             ;   in Loop: Header=BB238_6 Depth=1
	s_wait_xcnt 0x0
	s_or_b32 exec_lo, exec_lo, s34
	s_and_saveexec_b32 s34, s22
	s_cbranch_execz .LBB238_25
; %bb.21:                               ;   in Loop: Header=BB238_6 Depth=1
	v_mov_b64_e32 v[2:3], s[4:5]
	v_mov_b64_e32 v[22:23], s[14:15]
	v_lshl_add_u64 v[0:1], v[18:19], 3, v[0:1]
	s_and_not1_b32 vcc_lo, exec_lo, s10
	s_mov_b32 s35, -1
	s_delay_alu instid0(VALU_DEP_3) | instskip(NEXT) | instid1(VALU_DEP_1)
	v_pk_mul_f32 v[2:3], v[36:37], v[2:3] op_sel_hi:[0,1]
	v_pk_fma_f32 v[24:25], v[34:35], v[22:23], v[2:3] op_sel_hi:[0,1,1]
	v_pk_fma_f32 v[2:3], v[34:35], v[22:23], v[2:3] neg_lo:[0,0,1] neg_hi:[0,0,1]
	s_delay_alu instid0(VALU_DEP_2)
	v_mov_b32_e32 v3, v25
	s_cbranch_vccnz .LBB238_23
; %bb.22:                               ;   in Loop: Header=BB238_6 Depth=1
	global_load_b64 v[22:23], v[0:1], off
	v_mov_b64_e32 v[24:25], s[24:25]
	v_mov_b64_e32 v[34:35], s[2:3]
	s_mov_b32 s35, 0
	s_wait_loadcnt 0x0
	s_delay_alu instid0(VALU_DEP_2) | instskip(NEXT) | instid1(VALU_DEP_1)
	v_pk_mul_f32 v[24:25], v[22:23], v[24:25]
	v_pk_fma_f32 v[36:37], v[22:23], v[34:35], v[24:25] op_sel:[0,0,1] op_sel_hi:[1,1,0]
	v_pk_fma_f32 v[22:23], v[22:23], v[34:35], v[24:25] op_sel:[0,0,1] op_sel_hi:[1,1,0] neg_lo:[0,0,1] neg_hi:[0,0,1]
	s_delay_alu instid0(VALU_DEP_2) | instskip(NEXT) | instid1(VALU_DEP_1)
	v_mov_b32_e32 v23, v37
	v_pk_add_f32 v[22:23], v[2:3], v[22:23]
	global_store_b64 v[0:1], v[22:23], off
.LBB238_23:                             ;   in Loop: Header=BB238_6 Depth=1
	s_and_not1_b32 vcc_lo, exec_lo, s35
	s_cbranch_vccnz .LBB238_25
; %bb.24:                               ;   in Loop: Header=BB238_6 Depth=1
	global_store_b64 v[0:1], v[2:3], off
.LBB238_25:                             ;   in Loop: Header=BB238_6 Depth=1
	s_wait_xcnt 0x0
	s_or_b32 exec_lo, exec_lo, s34
	v_lshl_add_u64 v[0:1], v[12:13], 3, s[6:7]
	s_and_saveexec_b32 s6, s23
	s_cbranch_execz .LBB238_30
; %bb.26:                               ;   in Loop: Header=BB238_6 Depth=1
	v_mov_b64_e32 v[2:3], s[4:5]
	v_mov_b64_e32 v[22:23], s[14:15]
	s_and_not1_b32 vcc_lo, exec_lo, s10
	s_mov_b32 s7, -1
	s_delay_alu instid0(VALU_DEP_2) | instskip(NEXT) | instid1(VALU_DEP_1)
	v_pk_mul_f32 v[2:3], v[32:33], v[2:3] op_sel_hi:[0,1]
	v_pk_fma_f32 v[24:25], v[30:31], v[22:23], v[2:3] op_sel_hi:[0,1,1]
	v_pk_fma_f32 v[2:3], v[30:31], v[22:23], v[2:3] neg_lo:[0,0,1] neg_hi:[0,0,1]
	v_lshl_add_u64 v[22:23], v[8:9], 3, v[0:1]
	s_delay_alu instid0(VALU_DEP_3)
	v_mov_b32_e32 v3, v25
	s_cbranch_vccnz .LBB238_28
; %bb.27:                               ;   in Loop: Header=BB238_6 Depth=1
	global_load_b64 v[24:25], v[22:23], off
	v_mov_b64_e32 v[30:31], s[24:25]
	v_mov_b64_e32 v[32:33], s[2:3]
	s_mov_b32 s7, 0
	s_wait_loadcnt 0x0
	s_delay_alu instid0(VALU_DEP_2) | instskip(NEXT) | instid1(VALU_DEP_1)
	v_pk_mul_f32 v[30:31], v[24:25], v[30:31]
	v_pk_fma_f32 v[34:35], v[24:25], v[32:33], v[30:31] op_sel:[0,0,1] op_sel_hi:[1,1,0]
	v_pk_fma_f32 v[24:25], v[24:25], v[32:33], v[30:31] op_sel:[0,0,1] op_sel_hi:[1,1,0] neg_lo:[0,0,1] neg_hi:[0,0,1]
	s_delay_alu instid0(VALU_DEP_2) | instskip(NEXT) | instid1(VALU_DEP_1)
	v_mov_b32_e32 v25, v35
	v_pk_add_f32 v[24:25], v[2:3], v[24:25]
	global_store_b64 v[22:23], v[24:25], off
.LBB238_28:                             ;   in Loop: Header=BB238_6 Depth=1
	s_and_not1_b32 vcc_lo, exec_lo, s7
	s_cbranch_vccnz .LBB238_30
; %bb.29:                               ;   in Loop: Header=BB238_6 Depth=1
	global_store_b64 v[22:23], v[2:3], off
.LBB238_30:                             ;   in Loop: Header=BB238_6 Depth=1
	s_wait_xcnt 0x0
	s_or_b32 exec_lo, exec_lo, s6
	s_and_saveexec_b32 s6, s31
	s_cbranch_execz .LBB238_5
; %bb.31:                               ;   in Loop: Header=BB238_6 Depth=1
	v_mov_b64_e32 v[2:3], s[4:5]
	v_mov_b64_e32 v[22:23], s[14:15]
	v_lshl_add_u64 v[0:1], v[18:19], 3, v[0:1]
	s_and_not1_b32 vcc_lo, exec_lo, s10
	s_mov_b32 s7, -1
	s_delay_alu instid0(VALU_DEP_3) | instskip(NEXT) | instid1(VALU_DEP_1)
	v_pk_mul_f32 v[2:3], v[28:29], v[2:3] op_sel_hi:[0,1]
	v_pk_fma_f32 v[24:25], v[26:27], v[22:23], v[2:3] op_sel_hi:[0,1,1]
	v_pk_fma_f32 v[2:3], v[26:27], v[22:23], v[2:3] neg_lo:[0,0,1] neg_hi:[0,0,1]
	s_delay_alu instid0(VALU_DEP_2)
	v_mov_b32_e32 v3, v25
	s_cbranch_vccnz .LBB238_33
; %bb.32:                               ;   in Loop: Header=BB238_6 Depth=1
	global_load_b64 v[22:23], v[0:1], off
	v_mov_b64_e32 v[24:25], s[24:25]
	v_mov_b64_e32 v[30:31], s[2:3]
	s_mov_b32 s7, 0
	s_wait_loadcnt 0x0
	s_delay_alu instid0(VALU_DEP_2) | instskip(NEXT) | instid1(VALU_DEP_1)
	v_pk_mul_f32 v[24:25], v[22:23], v[24:25]
	v_pk_fma_f32 v[32:33], v[22:23], v[30:31], v[24:25] op_sel:[0,0,1] op_sel_hi:[1,1,0]
	v_pk_fma_f32 v[22:23], v[22:23], v[30:31], v[24:25] op_sel:[0,0,1] op_sel_hi:[1,1,0] neg_lo:[0,0,1] neg_hi:[0,0,1]
	s_delay_alu instid0(VALU_DEP_2) | instskip(NEXT) | instid1(VALU_DEP_1)
	v_mov_b32_e32 v23, v33
	v_pk_add_f32 v[22:23], v[2:3], v[22:23]
	global_store_b64 v[0:1], v[22:23], off
.LBB238_33:                             ;   in Loop: Header=BB238_6 Depth=1
	s_and_not1_b32 vcc_lo, exec_lo, s7
	s_cbranch_vccnz .LBB238_5
; %bb.34:                               ;   in Loop: Header=BB238_6 Depth=1
	global_store_b64 v[0:1], v[2:3], off
	s_branch .LBB238_5
.LBB238_35:
	s_endpgm
	.section	.rodata,"a",@progbits
	.p2align	6, 0x0
	.amdhsa_kernel _ZL29rocblas_internal_gemmt_kernelIlLi16ELi32ELi8ELc84ELc84ELc85ELb0ELb0E19rocblas_complex_numIfES1_PKS1_PS1_EviT_T9_T10_S5_lS7_S5_lS6_T11_S5_li
		.amdhsa_group_segment_fixed_size 4096
		.amdhsa_private_segment_fixed_size 0
		.amdhsa_kernarg_size 108
		.amdhsa_user_sgpr_count 2
		.amdhsa_user_sgpr_dispatch_ptr 0
		.amdhsa_user_sgpr_queue_ptr 0
		.amdhsa_user_sgpr_kernarg_segment_ptr 1
		.amdhsa_user_sgpr_dispatch_id 0
		.amdhsa_user_sgpr_kernarg_preload_length 0
		.amdhsa_user_sgpr_kernarg_preload_offset 0
		.amdhsa_user_sgpr_private_segment_size 0
		.amdhsa_wavefront_size32 1
		.amdhsa_uses_dynamic_stack 0
		.amdhsa_enable_private_segment 0
		.amdhsa_system_sgpr_workgroup_id_x 1
		.amdhsa_system_sgpr_workgroup_id_y 1
		.amdhsa_system_sgpr_workgroup_id_z 1
		.amdhsa_system_sgpr_workgroup_info 0
		.amdhsa_system_vgpr_workitem_id 1
		.amdhsa_next_free_vgpr 58
		.amdhsa_next_free_sgpr 36
		.amdhsa_named_barrier_count 0
		.amdhsa_reserve_vcc 1
		.amdhsa_float_round_mode_32 0
		.amdhsa_float_round_mode_16_64 0
		.amdhsa_float_denorm_mode_32 3
		.amdhsa_float_denorm_mode_16_64 3
		.amdhsa_fp16_overflow 0
		.amdhsa_memory_ordered 1
		.amdhsa_forward_progress 1
		.amdhsa_inst_pref_size 25
		.amdhsa_round_robin_scheduling 0
		.amdhsa_exception_fp_ieee_invalid_op 0
		.amdhsa_exception_fp_denorm_src 0
		.amdhsa_exception_fp_ieee_div_zero 0
		.amdhsa_exception_fp_ieee_overflow 0
		.amdhsa_exception_fp_ieee_underflow 0
		.amdhsa_exception_fp_ieee_inexact 0
		.amdhsa_exception_int_div_zero 0
	.end_amdhsa_kernel
	.section	.text._ZL29rocblas_internal_gemmt_kernelIlLi16ELi32ELi8ELc84ELc84ELc85ELb0ELb0E19rocblas_complex_numIfES1_PKS1_PS1_EviT_T9_T10_S5_lS7_S5_lS6_T11_S5_li,"axG",@progbits,_ZL29rocblas_internal_gemmt_kernelIlLi16ELi32ELi8ELc84ELc84ELc85ELb0ELb0E19rocblas_complex_numIfES1_PKS1_PS1_EviT_T9_T10_S5_lS7_S5_lS6_T11_S5_li,comdat
.Lfunc_end238:
	.size	_ZL29rocblas_internal_gemmt_kernelIlLi16ELi32ELi8ELc84ELc84ELc85ELb0ELb0E19rocblas_complex_numIfES1_PKS1_PS1_EviT_T9_T10_S5_lS7_S5_lS6_T11_S5_li, .Lfunc_end238-_ZL29rocblas_internal_gemmt_kernelIlLi16ELi32ELi8ELc84ELc84ELc85ELb0ELb0E19rocblas_complex_numIfES1_PKS1_PS1_EviT_T9_T10_S5_lS7_S5_lS6_T11_S5_li
                                        ; -- End function
	.set _ZL29rocblas_internal_gemmt_kernelIlLi16ELi32ELi8ELc84ELc84ELc85ELb0ELb0E19rocblas_complex_numIfES1_PKS1_PS1_EviT_T9_T10_S5_lS7_S5_lS6_T11_S5_li.num_vgpr, 58
	.set _ZL29rocblas_internal_gemmt_kernelIlLi16ELi32ELi8ELc84ELc84ELc85ELb0ELb0E19rocblas_complex_numIfES1_PKS1_PS1_EviT_T9_T10_S5_lS7_S5_lS6_T11_S5_li.num_agpr, 0
	.set _ZL29rocblas_internal_gemmt_kernelIlLi16ELi32ELi8ELc84ELc84ELc85ELb0ELb0E19rocblas_complex_numIfES1_PKS1_PS1_EviT_T9_T10_S5_lS7_S5_lS6_T11_S5_li.numbered_sgpr, 36
	.set _ZL29rocblas_internal_gemmt_kernelIlLi16ELi32ELi8ELc84ELc84ELc85ELb0ELb0E19rocblas_complex_numIfES1_PKS1_PS1_EviT_T9_T10_S5_lS7_S5_lS6_T11_S5_li.num_named_barrier, 0
	.set _ZL29rocblas_internal_gemmt_kernelIlLi16ELi32ELi8ELc84ELc84ELc85ELb0ELb0E19rocblas_complex_numIfES1_PKS1_PS1_EviT_T9_T10_S5_lS7_S5_lS6_T11_S5_li.private_seg_size, 0
	.set _ZL29rocblas_internal_gemmt_kernelIlLi16ELi32ELi8ELc84ELc84ELc85ELb0ELb0E19rocblas_complex_numIfES1_PKS1_PS1_EviT_T9_T10_S5_lS7_S5_lS6_T11_S5_li.uses_vcc, 1
	.set _ZL29rocblas_internal_gemmt_kernelIlLi16ELi32ELi8ELc84ELc84ELc85ELb0ELb0E19rocblas_complex_numIfES1_PKS1_PS1_EviT_T9_T10_S5_lS7_S5_lS6_T11_S5_li.uses_flat_scratch, 0
	.set _ZL29rocblas_internal_gemmt_kernelIlLi16ELi32ELi8ELc84ELc84ELc85ELb0ELb0E19rocblas_complex_numIfES1_PKS1_PS1_EviT_T9_T10_S5_lS7_S5_lS6_T11_S5_li.has_dyn_sized_stack, 0
	.set _ZL29rocblas_internal_gemmt_kernelIlLi16ELi32ELi8ELc84ELc84ELc85ELb0ELb0E19rocblas_complex_numIfES1_PKS1_PS1_EviT_T9_T10_S5_lS7_S5_lS6_T11_S5_li.has_recursion, 0
	.set _ZL29rocblas_internal_gemmt_kernelIlLi16ELi32ELi8ELc84ELc84ELc85ELb0ELb0E19rocblas_complex_numIfES1_PKS1_PS1_EviT_T9_T10_S5_lS7_S5_lS6_T11_S5_li.has_indirect_call, 0
	.section	.AMDGPU.csdata,"",@progbits
; Kernel info:
; codeLenInByte = 3172
; TotalNumSgprs: 38
; NumVgprs: 58
; ScratchSize: 0
; MemoryBound: 0
; FloatMode: 240
; IeeeMode: 1
; LDSByteSize: 4096 bytes/workgroup (compile time only)
; SGPRBlocks: 0
; VGPRBlocks: 3
; NumSGPRsForWavesPerEU: 38
; NumVGPRsForWavesPerEU: 58
; NamedBarCnt: 0
; Occupancy: 16
; WaveLimiterHint : 0
; COMPUTE_PGM_RSRC2:SCRATCH_EN: 0
; COMPUTE_PGM_RSRC2:USER_SGPR: 2
; COMPUTE_PGM_RSRC2:TRAP_HANDLER: 0
; COMPUTE_PGM_RSRC2:TGID_X_EN: 1
; COMPUTE_PGM_RSRC2:TGID_Y_EN: 1
; COMPUTE_PGM_RSRC2:TGID_Z_EN: 1
; COMPUTE_PGM_RSRC2:TIDIG_COMP_CNT: 1
	.section	.text._ZL29rocblas_internal_gemmt_kernelIlLi16ELi32ELi8ELc84ELc67ELc85ELb0ELb1E19rocblas_complex_numIfES1_PKS1_PS1_EviT_T9_T10_S5_lS7_S5_lS6_T11_S5_li,"axG",@progbits,_ZL29rocblas_internal_gemmt_kernelIlLi16ELi32ELi8ELc84ELc67ELc85ELb0ELb1E19rocblas_complex_numIfES1_PKS1_PS1_EviT_T9_T10_S5_lS7_S5_lS6_T11_S5_li,comdat
	.globl	_ZL29rocblas_internal_gemmt_kernelIlLi16ELi32ELi8ELc84ELc67ELc85ELb0ELb1E19rocblas_complex_numIfES1_PKS1_PS1_EviT_T9_T10_S5_lS7_S5_lS6_T11_S5_li ; -- Begin function _ZL29rocblas_internal_gemmt_kernelIlLi16ELi32ELi8ELc84ELc67ELc85ELb0ELb1E19rocblas_complex_numIfES1_PKS1_PS1_EviT_T9_T10_S5_lS7_S5_lS6_T11_S5_li
	.p2align	8
	.type	_ZL29rocblas_internal_gemmt_kernelIlLi16ELi32ELi8ELc84ELc67ELc85ELb0ELb1E19rocblas_complex_numIfES1_PKS1_PS1_EviT_T9_T10_S5_lS7_S5_lS6_T11_S5_li,@function
_ZL29rocblas_internal_gemmt_kernelIlLi16ELi32ELi8ELc84ELc67ELc85ELb0ELb1E19rocblas_complex_numIfES1_PKS1_PS1_EviT_T9_T10_S5_lS7_S5_lS6_T11_S5_li: ; @_ZL29rocblas_internal_gemmt_kernelIlLi16ELi32ELi8ELc84ELc67ELc85ELb0ELb1E19rocblas_complex_numIfES1_PKS1_PS1_EviT_T9_T10_S5_lS7_S5_lS6_T11_S5_li
; %bb.0:
	s_clause 0x1
	s_load_b64 s[24:25], s[0:1], 0x48
	s_load_b128 s[12:15], s[0:1], 0x8
	s_wait_kmcnt 0x0
	s_cmp_neq_f32 s24, 1.0
	s_cselect_b32 s2, -1, 0
	s_and_b32 s4, s25, 0x7fffffff
	s_delay_alu instid0(SALU_CYCLE_1) | instskip(SKIP_3) | instid1(SALU_CYCLE_1)
	s_cmp_eq_u32 s4, 0
	s_cselect_b32 s3, -1, 0
	s_cmp_lg_u32 s4, 0
	s_cselect_b32 s4, -1, 0
	s_or_b32 s2, s2, s4
	s_delay_alu instid0(SALU_CYCLE_1)
	s_and_b32 vcc_lo, exec_lo, s2
	s_cbranch_vccnz .LBB239_2
; %bb.1:
	s_cmp_lg_u64 s[12:13], 0
	s_cselect_b32 s2, -1, 0
	s_cmp_neq_f32 s14, 0
	s_cselect_b32 s4, -1, 0
	s_cmp_neq_f32 s15, 0
	s_cselect_b32 s5, -1, 0
	s_delay_alu instid0(SALU_CYCLE_1) | instskip(NEXT) | instid1(SALU_CYCLE_1)
	s_or_b32 s4, s4, s5
	s_and_b32 s2, s2, s4
.LBB239_2:
	s_delay_alu instid0(SALU_CYCLE_1)
	s_and_not1_b32 vcc_lo, exec_lo, s2
	s_cbranch_vccnz .LBB239_37
; %bb.3:
	s_load_b32 s30, s[0:1], 0x68
	s_bfe_u32 s2, ttmp6, 0x40014
	s_lshr_b32 s4, ttmp7, 16
	s_add_co_i32 s2, s2, 1
	s_bfe_u32 s6, ttmp6, 0x40008
	s_mul_i32 s5, s4, s2
	s_getreg_b32 s2, hwreg(HW_REG_IB_STS2, 6, 4)
	s_add_co_i32 s6, s6, s5
	s_cmp_eq_u32 s2, 0
	s_mov_b32 s27, 0
	s_cselect_b32 s26, s4, s6
	s_wait_kmcnt 0x0
	s_cmp_ge_u32 s26, s30
	s_cbranch_scc1 .LBB239_37
; %bb.4:
	v_and_b32_e32 v7, 0x3ff, v0
	v_bfe_u32 v9, v0, 10, 10
	s_bfe_u32 s17, ttmp6, 0x4000c
	s_bfe_u32 s18, ttmp6, 0x40010
	s_add_co_i32 s17, s17, 1
	s_and_b32 s19, ttmp7, 0xffff
	s_add_co_i32 s18, s18, 1
	s_load_b256 s[4:11], s[0:1], 0x18
	v_lshl_add_u32 v8, v9, 4, v7
	s_and_b32 s16, ttmp6, 15
	s_mul_i32 s17, ttmp9, s17
	s_mul_i32 s18, s19, s18
	s_bfe_u32 s20, ttmp6, 0x40004
	s_add_co_i32 s16, s16, s17
	s_add_co_i32 s20, s20, s18
	s_cmp_eq_u32 s2, 0
	v_and_b32_e32 v10, 31, v8
	s_cselect_b32 s2, ttmp9, s16
	s_cselect_b32 s31, s19, s20
	s_clause 0x3
	s_load_b32 s33, s[0:1], 0x0
	s_load_b64 s[28:29], s[0:1], 0x60
	s_load_b128 s[16:19], s[0:1], 0x38
	s_load_b128 s[20:23], s[0:1], 0x50
	s_lshl_b32 s2, s2, 5
	v_dual_lshlrev_b32 v5, 3, v7 :: v_dual_bitop2_b32 v4, 7, v0 bitop3:0x40
	v_or_b32_e32 v2, s2, v10
	s_wait_xcnt 0x0
	s_lshl_b32 s0, s31, 5
	v_dual_lshrrev_b32 v6, 5, v8 :: v_dual_lshrrev_b32 v11, 3, v8
	v_dual_add_nc_u32 v8, s2, v7 :: v_dual_add_nc_u32 v20, s0, v9
	v_ashrrev_i32_e32 v3, 31, v2
	s_delay_alu instid0(VALU_DEP_3) | instskip(NEXT) | instid1(VALU_DEP_3)
	v_dual_lshlrev_b32 v7, 3, v10 :: v_dual_add_nc_u32 v14, s0, v11
	v_add_nc_u32_e32 v18, 16, v8
	s_delay_alu instid0(VALU_DEP_4)
	v_dual_add_nc_u32 v22, 16, v20 :: v_dual_ashrrev_i32 v21, 31, v20
	s_wait_kmcnt 0x0
	v_mul_u64_e32 v[0:1], s[6:7], v[2:3]
	v_lshlrev_b32_e32 v3, 3, v4
	s_cmp_neq_f32 s14, 0
	v_ashrrev_i32_e32 v23, 31, v22
	v_ashrrev_i32_e32 v15, 31, v14
	v_cmp_gt_i64_e64 s6, s[12:13], 0
	v_lshl_or_b32 v3, v11, 6, v3
	v_mul_u64_e32 v[10:11], s[22:23], v[20:21]
	v_mul_u64_e32 v[12:13], s[22:23], v[22:23]
	s_cselect_b32 s1, -1, 0
	s_cmp_neq_f32 s15, 0
	v_cmp_gt_i32_e32 vcc_lo, s33, v14
	v_lshl_add_u32 v29, v9, 6, 0x800
	v_ashrrev_i32_e32 v9, 31, v8
	s_cselect_b32 s2, -1, 0
	v_lshl_add_u64 v[14:15], v[14:15], 3, s[10:11]
	s_or_b32 s7, s1, s2
	s_cmp_neq_f32 s24, 0
	v_cmp_gt_i32_e64 s1, s33, v20
	v_cmp_le_i32_e64 s2, v8, v20
	v_cmp_gt_i32_e64 s0, s33, v2
	s_cselect_b32 s10, -1, 0
	s_xor_b32 s3, s3, -1
	v_lshl_or_b32 v7, v6, 8, v7
	s_or_b32 s10, s10, s3
	s_and_b32 s11, s1, s2
	v_cmp_le_i32_e64 s2, v18, v20
	v_cmp_gt_i32_e64 s3, s33, v22
	v_add_nc_u32_e32 v27, 0x800, v3
	v_dual_ashrrev_i32 v19, 31, v18 :: v_dual_mov_b32 v21, 0
	s_and_b32 s1, s1, s2
	v_lshl_add_u64 v[16:17], v[0:1], 3, s[4:5]
	v_cmp_le_i32_e64 s4, v8, v22
	v_cmp_le_i32_e64 s5, v18, v22
	s_mov_b32 s2, s24
	s_and_b32 s31, s7, s6
	s_xor_b32 s33, vcc_lo, -1
	s_and_b32 s22, s3, s4
	s_and_b32 s23, s3, s5
	s_mov_b32 s3, s24
	s_mov_b32 s24, s25
	s_mov_b32 s4, s15
	s_mov_b32 s5, s14
	s_branch .LBB239_6
.LBB239_5:                              ;   in Loop: Header=BB239_6 Depth=1
	s_wait_xcnt 0x0
	s_or_b32 exec_lo, exec_lo, s6
	s_add_co_i32 s26, s26, 0x10000
	s_delay_alu instid0(SALU_CYCLE_1)
	s_cmp_lt_u32 s26, s30
	s_cbranch_scc0 .LBB239_37
.LBB239_6:                              ; =>This Loop Header: Depth=1
                                        ;     Child Loop BB239_9 Depth 2
	v_dual_mov_b32 v38, v21 :: v_dual_mov_b32 v40, v21
	v_dual_mov_b32 v34, v21 :: v_dual_mov_b32 v36, v21
	;; [unrolled: 1-line block ×4, first 2 shown]
	s_and_not1_b32 vcc_lo, exec_lo, s31
	s_cbranch_vccnz .LBB239_17
; %bb.7:                                ;   in Loop: Header=BB239_6 Depth=1
	s_mul_u64 s[6:7], s[8:9], s[26:27]
	s_mul_u64 s[34:35], s[18:19], s[26:27]
	v_lshl_add_u64 v[22:23], s[6:7], 3, v[16:17]
	v_lshl_add_u64 v[24:25], s[34:35], 3, v[14:15]
	v_dual_mov_b32 v28, 0 :: v_dual_mov_b32 v26, 0
	v_dual_mov_b32 v32, 0 :: v_dual_mov_b32 v30, 0
	;; [unrolled: 1-line block ×4, first 2 shown]
	s_mov_b64 s[6:7], 0
	s_branch .LBB239_9
.LBB239_8:                              ;   in Loop: Header=BB239_9 Depth=2
	s_or_b32 exec_lo, exec_lo, s34
	ds_store_b32 v27, v0 offset:4
	s_wait_dscnt 0x0
	s_barrier_signal -1
	s_barrier_wait -1
	ds_load_b128 v[42:45], v29
	ds_load_b128 v[46:49], v29 offset:16
	ds_load_b128 v[50:53], v29 offset:32
	;; [unrolled: 1-line block ×3, first 2 shown]
	ds_load_2addr_b64 v[54:57], v5 offset1:16
	s_add_nc_u64 s[6:7], s[6:7], 8
	s_delay_alu instid0(SALU_CYCLE_1) | instskip(SKIP_3) | instid1(VALU_DEP_1)
	v_cmp_gt_i64_e64 s34, s[12:13], s[6:7]
	s_and_b32 vcc_lo, exec_lo, s34
	s_wait_dscnt 0x0
	v_dual_mul_f32 v20, v43, v55 :: v_dual_mul_f32 v31, v42, v55
	v_dual_mul_f32 v33, v42, v57 :: v_dual_fma_f32 v20, v42, v54, -v20
	s_delay_alu instid0(VALU_DEP_1) | instskip(NEXT) | instid1(VALU_DEP_1)
	v_dual_fmac_f32 v31, v43, v54 :: v_dual_fmac_f32 v33, v43, v56
	v_dual_add_f32 v20, v38, v20 :: v_dual_add_f32 v38, v40, v31
	v_mul_f32_e32 v31, v43, v57
	s_delay_alu instid0(VALU_DEP_1) | instskip(NEXT) | instid1(VALU_DEP_1)
	v_dual_add_f32 v40, v36, v33 :: v_dual_fma_f32 v31, v42, v56, -v31
	v_add_f32_e32 v39, v34, v31
	ds_load_b128 v[34:37], v29 offset:1024
	s_wait_dscnt 0x0
	v_dual_mul_f32 v31, v35, v55 :: v_dual_mul_f32 v33, v34, v55
	s_delay_alu instid0(VALU_DEP_1) | instskip(NEXT) | instid1(VALU_DEP_1)
	v_dual_fma_f32 v31, v34, v54, -v31 :: v_dual_fmac_f32 v33, v35, v54
	v_dual_add_f32 v41, v30, v31 :: v_dual_add_f32 v42, v32, v33
	v_dual_mul_f32 v30, v35, v57 :: v_dual_mul_f32 v31, v34, v57
	s_delay_alu instid0(VALU_DEP_1) | instskip(NEXT) | instid1(VALU_DEP_1)
	v_dual_fma_f32 v30, v34, v56, -v30 :: v_dual_fmac_f32 v31, v35, v56
	v_dual_add_f32 v26, v26, v30 :: v_dual_add_f32 v28, v28, v31
	ds_load_2addr_b64 v[30:33], v5 offset0:32 offset1:48
	s_wait_dscnt 0x0
	v_dual_mul_f32 v34, v45, v31 :: v_dual_mul_f32 v35, v44, v31
	s_delay_alu instid0(VALU_DEP_1) | instskip(NEXT) | instid1(VALU_DEP_1)
	v_dual_fma_f32 v34, v44, v30, -v34 :: v_dual_fmac_f32 v35, v45, v30
	v_dual_add_f32 v20, v20, v34 :: v_dual_add_f32 v34, v38, v35
	v_dual_mul_f32 v35, v45, v33 :: v_dual_mul_f32 v38, v44, v33
	s_delay_alu instid0(VALU_DEP_1) | instskip(NEXT) | instid1(VALU_DEP_1)
	v_dual_fma_f32 v35, v44, v32, -v35 :: v_dual_fmac_f32 v38, v45, v32
	v_dual_add_f32 v35, v39, v35 :: v_dual_add_f32 v38, v40, v38
	v_dual_mul_f32 v39, v37, v31 :: v_dual_mul_f32 v31, v36, v31
	s_delay_alu instid0(VALU_DEP_1) | instskip(NEXT) | instid1(VALU_DEP_2)
	v_fmac_f32_e32 v31, v37, v30
	v_dual_fma_f32 v39, v36, v30, -v39 :: v_dual_mul_f32 v30, v37, v33
	s_delay_alu instid0(VALU_DEP_2) | instskip(NEXT) | instid1(VALU_DEP_2)
	v_add_f32_e32 v40, v42, v31
	v_dual_add_f32 v39, v41, v39 :: v_dual_fma_f32 v30, v36, v32, -v30
	s_delay_alu instid0(VALU_DEP_1) | instskip(NEXT) | instid1(VALU_DEP_1)
	v_dual_mul_f32 v31, v36, v33 :: v_dual_add_f32 v26, v26, v30
	v_fmac_f32_e32 v31, v37, v32
	s_delay_alu instid0(VALU_DEP_1) | instskip(SKIP_3) | instid1(VALU_DEP_1)
	v_add_f32_e32 v28, v28, v31
	ds_load_2addr_b64 v[30:33], v5 offset0:64 offset1:80
	s_wait_dscnt 0x0
	v_mul_f32_e32 v36, v47, v31
	v_dual_fma_f32 v36, v46, v30, -v36 :: v_dual_mul_f32 v37, v46, v31
	s_delay_alu instid0(VALU_DEP_1) | instskip(SKIP_1) | instid1(VALU_DEP_2)
	v_dual_add_f32 v20, v20, v36 :: v_dual_fmac_f32 v37, v47, v30
	v_mul_f32_e32 v36, v46, v33
	v_add_f32_e32 v41, v34, v37
	v_mul_f32_e32 v34, v47, v33
	s_delay_alu instid0(VALU_DEP_1) | instskip(NEXT) | instid1(VALU_DEP_1)
	v_fma_f32 v34, v46, v32, -v34
	v_add_f32_e32 v42, v35, v34
	v_fmac_f32_e32 v36, v47, v32
	s_delay_alu instid0(VALU_DEP_1) | instskip(SKIP_3) | instid1(VALU_DEP_1)
	v_add_f32_e32 v38, v38, v36
	ds_load_b128 v[34:37], v29 offset:1040
	s_wait_dscnt 0x0
	v_dual_mul_f32 v43, v35, v31 :: v_dual_mul_f32 v31, v34, v31
	v_fma_f32 v43, v34, v30, -v43
	s_delay_alu instid0(VALU_DEP_2) | instskip(NEXT) | instid1(VALU_DEP_2)
	v_dual_fmac_f32 v31, v35, v30 :: v_dual_mul_f32 v30, v35, v33
	v_add_f32_e32 v39, v39, v43
	s_delay_alu instid0(VALU_DEP_2) | instskip(NEXT) | instid1(VALU_DEP_1)
	v_dual_add_f32 v40, v40, v31 :: v_dual_mul_f32 v31, v34, v33
	v_dual_fma_f32 v30, v34, v32, -v30 :: v_dual_fmac_f32 v31, v35, v32
	s_delay_alu instid0(VALU_DEP_1) | instskip(SKIP_3) | instid1(VALU_DEP_1)
	v_dual_add_f32 v26, v26, v30 :: v_dual_add_f32 v28, v28, v31
	ds_load_2addr_b64 v[30:33], v5 offset0:96 offset1:112
	s_wait_dscnt 0x0
	v_dual_mul_f32 v34, v49, v31 :: v_dual_mul_f32 v35, v48, v31
	v_dual_fma_f32 v34, v48, v30, -v34 :: v_dual_fmac_f32 v35, v49, v30
	s_delay_alu instid0(VALU_DEP_1) | instskip(SKIP_1) | instid1(VALU_DEP_1)
	v_dual_add_f32 v20, v20, v34 :: v_dual_add_f32 v34, v41, v35
	v_mul_f32_e32 v41, v48, v33
	v_fmac_f32_e32 v41, v49, v32
	s_delay_alu instid0(VALU_DEP_1) | instskip(SKIP_1) | instid1(VALU_DEP_2)
	v_dual_add_f32 v38, v38, v41 :: v_dual_mul_f32 v41, v37, v31
	v_dual_mul_f32 v35, v49, v33 :: v_dual_mul_f32 v31, v36, v31
	v_fma_f32 v41, v36, v30, -v41
	s_delay_alu instid0(VALU_DEP_2) | instskip(NEXT) | instid1(VALU_DEP_3)
	v_fma_f32 v35, v48, v32, -v35
	v_dual_fmac_f32 v31, v37, v30 :: v_dual_mul_f32 v30, v37, v33
	s_delay_alu instid0(VALU_DEP_2) | instskip(NEXT) | instid1(VALU_DEP_2)
	v_dual_add_f32 v39, v39, v41 :: v_dual_add_f32 v35, v42, v35
	v_add_f32_e32 v40, v40, v31
	s_delay_alu instid0(VALU_DEP_3) | instskip(NEXT) | instid1(VALU_DEP_1)
	v_dual_fma_f32 v30, v36, v32, -v30 :: v_dual_mul_f32 v31, v36, v33
	v_dual_fmac_f32 v31, v37, v32 :: v_dual_add_f32 v26, v26, v30
	s_delay_alu instid0(VALU_DEP_1) | instskip(SKIP_3) | instid1(VALU_DEP_1)
	v_add_f32_e32 v28, v28, v31
	ds_load_2addr_b64 v[30:33], v5 offset0:128 offset1:144
	s_wait_dscnt 0x0
	v_dual_mul_f32 v36, v51, v31 :: v_dual_mul_f32 v37, v50, v31
	v_dual_fma_f32 v36, v50, v30, -v36 :: v_dual_fmac_f32 v37, v51, v30
	s_delay_alu instid0(VALU_DEP_1) | instskip(SKIP_1) | instid1(VALU_DEP_1)
	v_dual_add_f32 v20, v20, v36 :: v_dual_add_f32 v41, v34, v37
	v_dual_mul_f32 v34, v51, v33 :: v_dual_mul_f32 v36, v50, v33
	v_dual_fma_f32 v34, v50, v32, -v34 :: v_dual_fmac_f32 v36, v51, v32
	s_delay_alu instid0(VALU_DEP_1) | instskip(SKIP_3) | instid1(VALU_DEP_1)
	v_dual_add_f32 v42, v35, v34 :: v_dual_add_f32 v38, v38, v36
	ds_load_b128 v[34:37], v29 offset:1056
	s_wait_dscnt 0x0
	v_dual_mul_f32 v43, v35, v31 :: v_dual_mul_f32 v31, v34, v31
	v_fmac_f32_e32 v31, v35, v30
	s_delay_alu instid0(VALU_DEP_2) | instskip(NEXT) | instid1(VALU_DEP_2)
	v_dual_fma_f32 v43, v34, v30, -v43 :: v_dual_mul_f32 v30, v35, v33
	v_dual_add_f32 v40, v40, v31 :: v_dual_mul_f32 v31, v34, v33
	s_delay_alu instid0(VALU_DEP_2) | instskip(NEXT) | instid1(VALU_DEP_1)
	v_dual_add_f32 v39, v39, v43 :: v_dual_fma_f32 v30, v34, v32, -v30
	v_dual_fmac_f32 v31, v35, v32 :: v_dual_add_f32 v26, v26, v30
	s_delay_alu instid0(VALU_DEP_1) | instskip(SKIP_3) | instid1(VALU_DEP_1)
	v_add_f32_e32 v28, v28, v31
	ds_load_2addr_b64 v[30:33], v5 offset0:160 offset1:176
	s_wait_dscnt 0x0
	v_dual_mul_f32 v34, v53, v31 :: v_dual_mul_f32 v35, v52, v31
	v_dual_fma_f32 v34, v52, v30, -v34 :: v_dual_fmac_f32 v35, v53, v30
	s_delay_alu instid0(VALU_DEP_1) | instskip(SKIP_1) | instid1(VALU_DEP_1)
	v_dual_add_f32 v20, v20, v34 :: v_dual_add_f32 v34, v41, v35
	v_mul_f32_e32 v41, v52, v33
	v_fmac_f32_e32 v41, v53, v32
	s_delay_alu instid0(VALU_DEP_1) | instskip(SKIP_1) | instid1(VALU_DEP_2)
	v_dual_add_f32 v38, v38, v41 :: v_dual_mul_f32 v41, v37, v31
	v_dual_mul_f32 v35, v53, v33 :: v_dual_mul_f32 v31, v36, v31
	v_fma_f32 v41, v36, v30, -v41
	s_delay_alu instid0(VALU_DEP_2) | instskip(NEXT) | instid1(VALU_DEP_3)
	v_fma_f32 v35, v52, v32, -v35
	v_dual_fmac_f32 v31, v37, v30 :: v_dual_mul_f32 v30, v37, v33
	s_delay_alu instid0(VALU_DEP_2) | instskip(NEXT) | instid1(VALU_DEP_2)
	v_dual_add_f32 v39, v39, v41 :: v_dual_add_f32 v35, v42, v35
	v_add_f32_e32 v44, v40, v31
	s_delay_alu instid0(VALU_DEP_3) | instskip(SKIP_2) | instid1(VALU_DEP_1)
	v_dual_fma_f32 v30, v36, v32, -v30 :: v_dual_mul_f32 v31, v36, v33
	ds_load_b128 v[40:43], v29 offset:1072
	v_dual_fmac_f32 v31, v37, v32 :: v_dual_add_f32 v26, v26, v30
	v_add_f32_e32 v28, v28, v31
	ds_load_2addr_b64 v[30:33], v5 offset0:192 offset1:208
	s_wait_dscnt 0x0
	v_dual_mul_f32 v36, v1, v31 :: v_dual_mul_f32 v37, v0, v31
	s_delay_alu instid0(VALU_DEP_1) | instskip(NEXT) | instid1(VALU_DEP_1)
	v_dual_fma_f32 v36, v0, v30, -v36 :: v_dual_fmac_f32 v37, v1, v30
	v_dual_add_f32 v20, v20, v36 :: v_dual_add_f32 v34, v34, v37
	v_mul_f32_e32 v36, v1, v33
	s_delay_alu instid0(VALU_DEP_1) | instskip(NEXT) | instid1(VALU_DEP_1)
	v_dual_fma_f32 v36, v0, v32, -v36 :: v_dual_mul_f32 v0, v0, v33
	v_fmac_f32_e32 v0, v1, v32
	s_delay_alu instid0(VALU_DEP_2) | instskip(NEXT) | instid1(VALU_DEP_1)
	v_dual_add_f32 v1, v35, v36 :: v_dual_mul_f32 v35, v41, v31
	v_dual_mul_f32 v31, v40, v31 :: v_dual_fma_f32 v35, v40, v30, -v35
	s_delay_alu instid0(VALU_DEP_1) | instskip(NEXT) | instid1(VALU_DEP_2)
	v_dual_add_f32 v0, v38, v0 :: v_dual_fmac_f32 v31, v41, v30
	v_dual_add_f32 v30, v39, v35 :: v_dual_mul_f32 v35, v41, v33
	v_mul_f32_e32 v33, v40, v33
	s_delay_alu instid0(VALU_DEP_3)
	v_add_f32_e32 v31, v44, v31
	ds_load_2addr_b64 v[44:47], v5 offset0:224 offset1:240
	s_wait_dscnt 0x0
	v_dual_fma_f32 v35, v40, v32, -v35 :: v_dual_fmac_f32 v33, v41, v32
	s_barrier_signal -1
	s_barrier_wait -1
	s_delay_alu instid0(VALU_DEP_1) | instskip(SKIP_1) | instid1(VALU_DEP_1)
	v_dual_add_f32 v26, v26, v35 :: v_dual_add_f32 v28, v28, v33
	v_dual_mul_f32 v32, v3, v45 :: v_dual_mul_f32 v33, v2, v45
	v_dual_fma_f32 v32, v2, v44, -v32 :: v_dual_fmac_f32 v33, v3, v44
	s_delay_alu instid0(VALU_DEP_1) | instskip(SKIP_1) | instid1(VALU_DEP_1)
	v_dual_add_f32 v38, v20, v32 :: v_dual_add_f32 v40, v34, v33
	v_mul_f32_e32 v20, v3, v47
	v_dual_fma_f32 v20, v2, v46, -v20 :: v_dual_mul_f32 v2, v2, v47
	s_delay_alu instid0(VALU_DEP_1) | instskip(NEXT) | instid1(VALU_DEP_1)
	v_dual_fmac_f32 v2, v3, v46 :: v_dual_add_f32 v34, v1, v20
	v_dual_mul_f32 v1, v42, v45 :: v_dual_add_f32 v36, v0, v2
	s_delay_alu instid0(VALU_DEP_1) | instskip(NEXT) | instid1(VALU_DEP_1)
	v_dual_mul_f32 v0, v43, v45 :: v_dual_fmac_f32 v1, v43, v44
	v_dual_fma_f32 v0, v42, v44, -v0 :: v_dual_add_f32 v32, v31, v1
	v_mul_f32_e32 v1, v42, v47
	s_delay_alu instid0(VALU_DEP_2) | instskip(NEXT) | instid1(VALU_DEP_1)
	v_dual_add_f32 v30, v30, v0 :: v_dual_mul_f32 v0, v43, v47
	v_dual_fmac_f32 v1, v43, v46 :: v_dual_fma_f32 v0, v42, v46, -v0
	s_delay_alu instid0(VALU_DEP_1)
	v_dual_add_f32 v28, v28, v1 :: v_dual_add_f32 v26, v26, v0
	s_cbranch_vccz .LBB239_17
.LBB239_9:                              ;   Parent Loop BB239_6 Depth=1
                                        ; =>  This Inner Loop Header: Depth=2
	v_dual_mov_b32 v0, 0 :: v_dual_mov_b32 v1, 0
	s_and_saveexec_b32 s34, s0
	s_cbranch_execz .LBB239_13
; %bb.10:                               ;   in Loop: Header=BB239_9 Depth=2
	v_dual_mov_b32 v1, 0 :: v_dual_add_nc_u32 v20, s6, v6
	v_mov_b32_e32 v0, 0
	s_mov_b32 s35, exec_lo
	s_delay_alu instid0(VALU_DEP_2)
	v_cmpx_gt_u64_e64 s[12:13], v[20:21]
	s_cbranch_execz .LBB239_12
; %bb.11:                               ;   in Loop: Header=BB239_9 Depth=2
	v_lshl_add_u64 v[0:1], v[20:21], 3, v[22:23]
	global_load_b64 v[0:1], v[0:1], off
.LBB239_12:                             ;   in Loop: Header=BB239_9 Depth=2
	s_wait_xcnt 0x0
	s_or_b32 exec_lo, exec_lo, s35
.LBB239_13:                             ;   in Loop: Header=BB239_9 Depth=2
	s_delay_alu instid0(SALU_CYCLE_1)
	s_or_b32 exec_lo, exec_lo, s34
	v_add_nc_u32_e32 v20, s6, v4
	s_wait_loadcnt 0x0
	ds_store_b64 v7, v[0:1]
	v_cmp_le_u64_e32 vcc_lo, s[12:13], v[20:21]
	s_or_b32 s34, vcc_lo, s33
	s_delay_alu instid0(SALU_CYCLE_1) | instskip(NEXT) | instid1(SALU_CYCLE_1)
	s_and_saveexec_b32 s35, s34
	s_xor_b32 s34, exec_lo, s35
; %bb.14:                               ;   in Loop: Header=BB239_9 Depth=2
	ds_store_b32 v27, v21
; %bb.15:                               ;   in Loop: Header=BB239_9 Depth=2
	s_or_saveexec_b32 s34, s34
	v_mov_b32_e32 v0, 0
	s_xor_b32 exec_lo, exec_lo, s34
	s_cbranch_execz .LBB239_8
; %bb.16:                               ;   in Loop: Header=BB239_9 Depth=2
	v_mul_u64_e32 v[0:1], s[16:17], v[20:21]
	s_delay_alu instid0(VALU_DEP_1)
	v_lshl_add_u64 v[0:1], v[0:1], 3, v[24:25]
	global_load_b64 v[2:3], v[0:1], off
	s_wait_loadcnt 0x0
	s_wait_xcnt 0x0
	v_xor_b32_e32 v0, 0x80000000, v3
	ds_store_b32 v27, v2
	s_branch .LBB239_8
.LBB239_17:                             ;   in Loop: Header=BB239_6 Depth=1
	s_mul_u64 s[6:7], s[28:29], s[26:27]
	s_delay_alu instid0(SALU_CYCLE_1) | instskip(NEXT) | instid1(SALU_CYCLE_1)
	s_lshl_b64 s[6:7], s[6:7], 3
	s_add_nc_u64 s[6:7], s[20:21], s[6:7]
	s_delay_alu instid0(SALU_CYCLE_1)
	v_lshl_add_u64 v[0:1], v[10:11], 3, s[6:7]
	s_and_saveexec_b32 s34, s11
	s_cbranch_execz .LBB239_22
; %bb.18:                               ;   in Loop: Header=BB239_6 Depth=1
	v_mov_b64_e32 v[2:3], s[4:5]
	v_mov_b64_e32 v[22:23], s[14:15]
	s_and_b32 vcc_lo, exec_lo, s10
	s_mov_b32 s35, -1
	s_delay_alu instid0(VALU_DEP_2) | instskip(NEXT) | instid1(VALU_DEP_1)
	v_pk_mul_f32 v[2:3], v[40:41], v[2:3] op_sel_hi:[0,1]
	v_pk_fma_f32 v[24:25], v[38:39], v[22:23], v[2:3] op_sel_hi:[0,1,1]
	v_pk_fma_f32 v[2:3], v[38:39], v[22:23], v[2:3] neg_lo:[0,0,1] neg_hi:[0,0,1]
	v_lshl_add_u64 v[22:23], v[8:9], 3, v[0:1]
	s_delay_alu instid0(VALU_DEP_3)
	v_mov_b32_e32 v3, v25
	s_cbranch_vccz .LBB239_20
; %bb.19:                               ;   in Loop: Header=BB239_6 Depth=1
	global_load_b64 v[24:25], v[22:23], off
	v_mov_b64_e32 v[38:39], s[24:25]
	v_mov_b64_e32 v[40:41], s[2:3]
	s_mov_b32 s35, 0
	s_wait_loadcnt 0x0
	s_delay_alu instid0(VALU_DEP_2) | instskip(NEXT) | instid1(VALU_DEP_1)
	v_pk_mul_f32 v[38:39], v[24:25], v[38:39]
	v_pk_fma_f32 v[42:43], v[24:25], v[40:41], v[38:39] op_sel:[0,0,1] op_sel_hi:[1,1,0]
	v_pk_fma_f32 v[24:25], v[24:25], v[40:41], v[38:39] op_sel:[0,0,1] op_sel_hi:[1,1,0] neg_lo:[0,0,1] neg_hi:[0,0,1]
	s_delay_alu instid0(VALU_DEP_2) | instskip(NEXT) | instid1(VALU_DEP_1)
	v_mov_b32_e32 v25, v43
	v_pk_add_f32 v[24:25], v[2:3], v[24:25]
	global_store_b64 v[22:23], v[24:25], off
.LBB239_20:                             ;   in Loop: Header=BB239_6 Depth=1
	s_and_not1_b32 vcc_lo, exec_lo, s35
	s_cbranch_vccnz .LBB239_22
; %bb.21:                               ;   in Loop: Header=BB239_6 Depth=1
	global_store_b64 v[22:23], v[2:3], off
.LBB239_22:                             ;   in Loop: Header=BB239_6 Depth=1
	s_wait_xcnt 0x0
	s_or_b32 exec_lo, exec_lo, s34
	s_and_saveexec_b32 s34, s1
	s_cbranch_execz .LBB239_27
; %bb.23:                               ;   in Loop: Header=BB239_6 Depth=1
	v_mov_b64_e32 v[2:3], s[4:5]
	v_mov_b64_e32 v[22:23], s[14:15]
	v_lshl_add_u64 v[0:1], v[18:19], 3, v[0:1]
	s_and_not1_b32 vcc_lo, exec_lo, s10
	s_mov_b32 s35, -1
	s_delay_alu instid0(VALU_DEP_3) | instskip(NEXT) | instid1(VALU_DEP_1)
	v_pk_mul_f32 v[2:3], v[36:37], v[2:3] op_sel_hi:[0,1]
	v_pk_fma_f32 v[24:25], v[34:35], v[22:23], v[2:3] op_sel_hi:[0,1,1]
	v_pk_fma_f32 v[2:3], v[34:35], v[22:23], v[2:3] neg_lo:[0,0,1] neg_hi:[0,0,1]
	s_delay_alu instid0(VALU_DEP_2)
	v_mov_b32_e32 v3, v25
	s_cbranch_vccnz .LBB239_25
; %bb.24:                               ;   in Loop: Header=BB239_6 Depth=1
	global_load_b64 v[22:23], v[0:1], off
	v_mov_b64_e32 v[24:25], s[24:25]
	v_mov_b64_e32 v[34:35], s[2:3]
	s_mov_b32 s35, 0
	s_wait_loadcnt 0x0
	s_delay_alu instid0(VALU_DEP_2) | instskip(NEXT) | instid1(VALU_DEP_1)
	v_pk_mul_f32 v[24:25], v[22:23], v[24:25]
	v_pk_fma_f32 v[36:37], v[22:23], v[34:35], v[24:25] op_sel:[0,0,1] op_sel_hi:[1,1,0]
	v_pk_fma_f32 v[22:23], v[22:23], v[34:35], v[24:25] op_sel:[0,0,1] op_sel_hi:[1,1,0] neg_lo:[0,0,1] neg_hi:[0,0,1]
	s_delay_alu instid0(VALU_DEP_2) | instskip(NEXT) | instid1(VALU_DEP_1)
	v_mov_b32_e32 v23, v37
	v_pk_add_f32 v[22:23], v[2:3], v[22:23]
	global_store_b64 v[0:1], v[22:23], off
.LBB239_25:                             ;   in Loop: Header=BB239_6 Depth=1
	s_and_not1_b32 vcc_lo, exec_lo, s35
	s_cbranch_vccnz .LBB239_27
; %bb.26:                               ;   in Loop: Header=BB239_6 Depth=1
	global_store_b64 v[0:1], v[2:3], off
.LBB239_27:                             ;   in Loop: Header=BB239_6 Depth=1
	s_wait_xcnt 0x0
	s_or_b32 exec_lo, exec_lo, s34
	v_lshl_add_u64 v[0:1], v[12:13], 3, s[6:7]
	s_and_saveexec_b32 s6, s22
	s_cbranch_execz .LBB239_32
; %bb.28:                               ;   in Loop: Header=BB239_6 Depth=1
	v_mov_b64_e32 v[2:3], s[4:5]
	v_mov_b64_e32 v[22:23], s[14:15]
	s_and_not1_b32 vcc_lo, exec_lo, s10
	s_mov_b32 s7, -1
	s_delay_alu instid0(VALU_DEP_2) | instskip(NEXT) | instid1(VALU_DEP_1)
	v_pk_mul_f32 v[2:3], v[32:33], v[2:3] op_sel_hi:[0,1]
	v_pk_fma_f32 v[24:25], v[30:31], v[22:23], v[2:3] op_sel_hi:[0,1,1]
	v_pk_fma_f32 v[2:3], v[30:31], v[22:23], v[2:3] neg_lo:[0,0,1] neg_hi:[0,0,1]
	v_lshl_add_u64 v[22:23], v[8:9], 3, v[0:1]
	s_delay_alu instid0(VALU_DEP_3)
	v_mov_b32_e32 v3, v25
	s_cbranch_vccnz .LBB239_30
; %bb.29:                               ;   in Loop: Header=BB239_6 Depth=1
	global_load_b64 v[24:25], v[22:23], off
	v_mov_b64_e32 v[30:31], s[24:25]
	v_mov_b64_e32 v[32:33], s[2:3]
	s_mov_b32 s7, 0
	s_wait_loadcnt 0x0
	s_delay_alu instid0(VALU_DEP_2) | instskip(NEXT) | instid1(VALU_DEP_1)
	v_pk_mul_f32 v[30:31], v[24:25], v[30:31]
	v_pk_fma_f32 v[34:35], v[24:25], v[32:33], v[30:31] op_sel:[0,0,1] op_sel_hi:[1,1,0]
	v_pk_fma_f32 v[24:25], v[24:25], v[32:33], v[30:31] op_sel:[0,0,1] op_sel_hi:[1,1,0] neg_lo:[0,0,1] neg_hi:[0,0,1]
	s_delay_alu instid0(VALU_DEP_2) | instskip(NEXT) | instid1(VALU_DEP_1)
	v_mov_b32_e32 v25, v35
	v_pk_add_f32 v[24:25], v[2:3], v[24:25]
	global_store_b64 v[22:23], v[24:25], off
.LBB239_30:                             ;   in Loop: Header=BB239_6 Depth=1
	s_and_not1_b32 vcc_lo, exec_lo, s7
	s_cbranch_vccnz .LBB239_32
; %bb.31:                               ;   in Loop: Header=BB239_6 Depth=1
	global_store_b64 v[22:23], v[2:3], off
.LBB239_32:                             ;   in Loop: Header=BB239_6 Depth=1
	s_wait_xcnt 0x0
	s_or_b32 exec_lo, exec_lo, s6
	s_and_saveexec_b32 s6, s23
	s_cbranch_execz .LBB239_5
; %bb.33:                               ;   in Loop: Header=BB239_6 Depth=1
	v_mov_b64_e32 v[2:3], s[4:5]
	v_mov_b64_e32 v[22:23], s[14:15]
	v_lshl_add_u64 v[0:1], v[18:19], 3, v[0:1]
	s_and_not1_b32 vcc_lo, exec_lo, s10
	s_mov_b32 s7, -1
	s_delay_alu instid0(VALU_DEP_3) | instskip(NEXT) | instid1(VALU_DEP_1)
	v_pk_mul_f32 v[2:3], v[28:29], v[2:3] op_sel_hi:[0,1]
	v_pk_fma_f32 v[24:25], v[26:27], v[22:23], v[2:3] op_sel_hi:[0,1,1]
	v_pk_fma_f32 v[2:3], v[26:27], v[22:23], v[2:3] neg_lo:[0,0,1] neg_hi:[0,0,1]
	s_delay_alu instid0(VALU_DEP_2)
	v_mov_b32_e32 v3, v25
	s_cbranch_vccnz .LBB239_35
; %bb.34:                               ;   in Loop: Header=BB239_6 Depth=1
	global_load_b64 v[22:23], v[0:1], off
	v_mov_b64_e32 v[24:25], s[24:25]
	v_mov_b64_e32 v[30:31], s[2:3]
	s_mov_b32 s7, 0
	s_wait_loadcnt 0x0
	s_delay_alu instid0(VALU_DEP_2) | instskip(NEXT) | instid1(VALU_DEP_1)
	v_pk_mul_f32 v[24:25], v[22:23], v[24:25]
	v_pk_fma_f32 v[32:33], v[22:23], v[30:31], v[24:25] op_sel:[0,0,1] op_sel_hi:[1,1,0]
	v_pk_fma_f32 v[22:23], v[22:23], v[30:31], v[24:25] op_sel:[0,0,1] op_sel_hi:[1,1,0] neg_lo:[0,0,1] neg_hi:[0,0,1]
	s_delay_alu instid0(VALU_DEP_2) | instskip(NEXT) | instid1(VALU_DEP_1)
	v_mov_b32_e32 v23, v33
	v_pk_add_f32 v[22:23], v[2:3], v[22:23]
	global_store_b64 v[0:1], v[22:23], off
.LBB239_35:                             ;   in Loop: Header=BB239_6 Depth=1
	s_and_not1_b32 vcc_lo, exec_lo, s7
	s_cbranch_vccnz .LBB239_5
; %bb.36:                               ;   in Loop: Header=BB239_6 Depth=1
	global_store_b64 v[0:1], v[2:3], off
	s_branch .LBB239_5
.LBB239_37:
	s_endpgm
	.section	.rodata,"a",@progbits
	.p2align	6, 0x0
	.amdhsa_kernel _ZL29rocblas_internal_gemmt_kernelIlLi16ELi32ELi8ELc84ELc67ELc85ELb0ELb1E19rocblas_complex_numIfES1_PKS1_PS1_EviT_T9_T10_S5_lS7_S5_lS6_T11_S5_li
		.amdhsa_group_segment_fixed_size 4096
		.amdhsa_private_segment_fixed_size 0
		.amdhsa_kernarg_size 108
		.amdhsa_user_sgpr_count 2
		.amdhsa_user_sgpr_dispatch_ptr 0
		.amdhsa_user_sgpr_queue_ptr 0
		.amdhsa_user_sgpr_kernarg_segment_ptr 1
		.amdhsa_user_sgpr_dispatch_id 0
		.amdhsa_user_sgpr_kernarg_preload_length 0
		.amdhsa_user_sgpr_kernarg_preload_offset 0
		.amdhsa_user_sgpr_private_segment_size 0
		.amdhsa_wavefront_size32 1
		.amdhsa_uses_dynamic_stack 0
		.amdhsa_enable_private_segment 0
		.amdhsa_system_sgpr_workgroup_id_x 1
		.amdhsa_system_sgpr_workgroup_id_y 1
		.amdhsa_system_sgpr_workgroup_id_z 1
		.amdhsa_system_sgpr_workgroup_info 0
		.amdhsa_system_vgpr_workitem_id 1
		.amdhsa_next_free_vgpr 58
		.amdhsa_next_free_sgpr 36
		.amdhsa_named_barrier_count 0
		.amdhsa_reserve_vcc 1
		.amdhsa_float_round_mode_32 0
		.amdhsa_float_round_mode_16_64 0
		.amdhsa_float_denorm_mode_32 3
		.amdhsa_float_denorm_mode_16_64 3
		.amdhsa_fp16_overflow 0
		.amdhsa_memory_ordered 1
		.amdhsa_forward_progress 1
		.amdhsa_inst_pref_size 26
		.amdhsa_round_robin_scheduling 0
		.amdhsa_exception_fp_ieee_invalid_op 0
		.amdhsa_exception_fp_denorm_src 0
		.amdhsa_exception_fp_ieee_div_zero 0
		.amdhsa_exception_fp_ieee_overflow 0
		.amdhsa_exception_fp_ieee_underflow 0
		.amdhsa_exception_fp_ieee_inexact 0
		.amdhsa_exception_int_div_zero 0
	.end_amdhsa_kernel
	.section	.text._ZL29rocblas_internal_gemmt_kernelIlLi16ELi32ELi8ELc84ELc67ELc85ELb0ELb1E19rocblas_complex_numIfES1_PKS1_PS1_EviT_T9_T10_S5_lS7_S5_lS6_T11_S5_li,"axG",@progbits,_ZL29rocblas_internal_gemmt_kernelIlLi16ELi32ELi8ELc84ELc67ELc85ELb0ELb1E19rocblas_complex_numIfES1_PKS1_PS1_EviT_T9_T10_S5_lS7_S5_lS6_T11_S5_li,comdat
.Lfunc_end239:
	.size	_ZL29rocblas_internal_gemmt_kernelIlLi16ELi32ELi8ELc84ELc67ELc85ELb0ELb1E19rocblas_complex_numIfES1_PKS1_PS1_EviT_T9_T10_S5_lS7_S5_lS6_T11_S5_li, .Lfunc_end239-_ZL29rocblas_internal_gemmt_kernelIlLi16ELi32ELi8ELc84ELc67ELc85ELb0ELb1E19rocblas_complex_numIfES1_PKS1_PS1_EviT_T9_T10_S5_lS7_S5_lS6_T11_S5_li
                                        ; -- End function
	.set _ZL29rocblas_internal_gemmt_kernelIlLi16ELi32ELi8ELc84ELc67ELc85ELb0ELb1E19rocblas_complex_numIfES1_PKS1_PS1_EviT_T9_T10_S5_lS7_S5_lS6_T11_S5_li.num_vgpr, 58
	.set _ZL29rocblas_internal_gemmt_kernelIlLi16ELi32ELi8ELc84ELc67ELc85ELb0ELb1E19rocblas_complex_numIfES1_PKS1_PS1_EviT_T9_T10_S5_lS7_S5_lS6_T11_S5_li.num_agpr, 0
	.set _ZL29rocblas_internal_gemmt_kernelIlLi16ELi32ELi8ELc84ELc67ELc85ELb0ELb1E19rocblas_complex_numIfES1_PKS1_PS1_EviT_T9_T10_S5_lS7_S5_lS6_T11_S5_li.numbered_sgpr, 36
	.set _ZL29rocblas_internal_gemmt_kernelIlLi16ELi32ELi8ELc84ELc67ELc85ELb0ELb1E19rocblas_complex_numIfES1_PKS1_PS1_EviT_T9_T10_S5_lS7_S5_lS6_T11_S5_li.num_named_barrier, 0
	.set _ZL29rocblas_internal_gemmt_kernelIlLi16ELi32ELi8ELc84ELc67ELc85ELb0ELb1E19rocblas_complex_numIfES1_PKS1_PS1_EviT_T9_T10_S5_lS7_S5_lS6_T11_S5_li.private_seg_size, 0
	.set _ZL29rocblas_internal_gemmt_kernelIlLi16ELi32ELi8ELc84ELc67ELc85ELb0ELb1E19rocblas_complex_numIfES1_PKS1_PS1_EviT_T9_T10_S5_lS7_S5_lS6_T11_S5_li.uses_vcc, 1
	.set _ZL29rocblas_internal_gemmt_kernelIlLi16ELi32ELi8ELc84ELc67ELc85ELb0ELb1E19rocblas_complex_numIfES1_PKS1_PS1_EviT_T9_T10_S5_lS7_S5_lS6_T11_S5_li.uses_flat_scratch, 0
	.set _ZL29rocblas_internal_gemmt_kernelIlLi16ELi32ELi8ELc84ELc67ELc85ELb0ELb1E19rocblas_complex_numIfES1_PKS1_PS1_EviT_T9_T10_S5_lS7_S5_lS6_T11_S5_li.has_dyn_sized_stack, 0
	.set _ZL29rocblas_internal_gemmt_kernelIlLi16ELi32ELi8ELc84ELc67ELc85ELb0ELb1E19rocblas_complex_numIfES1_PKS1_PS1_EviT_T9_T10_S5_lS7_S5_lS6_T11_S5_li.has_recursion, 0
	.set _ZL29rocblas_internal_gemmt_kernelIlLi16ELi32ELi8ELc84ELc67ELc85ELb0ELb1E19rocblas_complex_numIfES1_PKS1_PS1_EviT_T9_T10_S5_lS7_S5_lS6_T11_S5_li.has_indirect_call, 0
	.section	.AMDGPU.csdata,"",@progbits
; Kernel info:
; codeLenInByte = 3204
; TotalNumSgprs: 38
; NumVgprs: 58
; ScratchSize: 0
; MemoryBound: 0
; FloatMode: 240
; IeeeMode: 1
; LDSByteSize: 4096 bytes/workgroup (compile time only)
; SGPRBlocks: 0
; VGPRBlocks: 3
; NumSGPRsForWavesPerEU: 38
; NumVGPRsForWavesPerEU: 58
; NamedBarCnt: 0
; Occupancy: 16
; WaveLimiterHint : 0
; COMPUTE_PGM_RSRC2:SCRATCH_EN: 0
; COMPUTE_PGM_RSRC2:USER_SGPR: 2
; COMPUTE_PGM_RSRC2:TRAP_HANDLER: 0
; COMPUTE_PGM_RSRC2:TGID_X_EN: 1
; COMPUTE_PGM_RSRC2:TGID_Y_EN: 1
; COMPUTE_PGM_RSRC2:TGID_Z_EN: 1
; COMPUTE_PGM_RSRC2:TIDIG_COMP_CNT: 1
	.section	.text._ZL29rocblas_internal_gemmt_kernelIlLi16ELi32ELi8ELc67ELc78ELc85ELb1ELb0E19rocblas_complex_numIfES1_PKS1_PS1_EviT_T9_T10_S5_lS7_S5_lS6_T11_S5_li,"axG",@progbits,_ZL29rocblas_internal_gemmt_kernelIlLi16ELi32ELi8ELc67ELc78ELc85ELb1ELb0E19rocblas_complex_numIfES1_PKS1_PS1_EviT_T9_T10_S5_lS7_S5_lS6_T11_S5_li,comdat
	.globl	_ZL29rocblas_internal_gemmt_kernelIlLi16ELi32ELi8ELc67ELc78ELc85ELb1ELb0E19rocblas_complex_numIfES1_PKS1_PS1_EviT_T9_T10_S5_lS7_S5_lS6_T11_S5_li ; -- Begin function _ZL29rocblas_internal_gemmt_kernelIlLi16ELi32ELi8ELc67ELc78ELc85ELb1ELb0E19rocblas_complex_numIfES1_PKS1_PS1_EviT_T9_T10_S5_lS7_S5_lS6_T11_S5_li
	.p2align	8
	.type	_ZL29rocblas_internal_gemmt_kernelIlLi16ELi32ELi8ELc67ELc78ELc85ELb1ELb0E19rocblas_complex_numIfES1_PKS1_PS1_EviT_T9_T10_S5_lS7_S5_lS6_T11_S5_li,@function
_ZL29rocblas_internal_gemmt_kernelIlLi16ELi32ELi8ELc67ELc78ELc85ELb1ELb0E19rocblas_complex_numIfES1_PKS1_PS1_EviT_T9_T10_S5_lS7_S5_lS6_T11_S5_li: ; @_ZL29rocblas_internal_gemmt_kernelIlLi16ELi32ELi8ELc67ELc78ELc85ELb1ELb0E19rocblas_complex_numIfES1_PKS1_PS1_EviT_T9_T10_S5_lS7_S5_lS6_T11_S5_li
; %bb.0:
	s_clause 0x1
	s_load_b64 s[24:25], s[0:1], 0x48
	s_load_b128 s[12:15], s[0:1], 0x8
	s_wait_kmcnt 0x0
	s_cmp_neq_f32 s24, 1.0
	s_cselect_b32 s2, -1, 0
	s_and_b32 s4, s25, 0x7fffffff
	s_delay_alu instid0(SALU_CYCLE_1) | instskip(SKIP_3) | instid1(SALU_CYCLE_1)
	s_cmp_eq_u32 s4, 0
	s_cselect_b32 s3, -1, 0
	s_cmp_lg_u32 s4, 0
	s_cselect_b32 s4, -1, 0
	s_or_b32 s2, s2, s4
	s_delay_alu instid0(SALU_CYCLE_1)
	s_and_b32 vcc_lo, exec_lo, s2
	s_cbranch_vccnz .LBB240_2
; %bb.1:
	s_cmp_lg_u64 s[12:13], 0
	s_cselect_b32 s2, -1, 0
	s_cmp_neq_f32 s14, 0
	s_cselect_b32 s4, -1, 0
	s_cmp_neq_f32 s15, 0
	s_cselect_b32 s5, -1, 0
	s_delay_alu instid0(SALU_CYCLE_1) | instskip(NEXT) | instid1(SALU_CYCLE_1)
	s_or_b32 s4, s4, s5
	s_and_b32 s2, s2, s4
.LBB240_2:
	s_delay_alu instid0(SALU_CYCLE_1)
	s_and_not1_b32 vcc_lo, exec_lo, s2
	s_cbranch_vccnz .LBB240_38
; %bb.3:
	s_load_b32 s28, s[0:1], 0x68
	s_bfe_u32 s2, ttmp6, 0x40014
	s_lshr_b32 s4, ttmp7, 16
	s_add_co_i32 s2, s2, 1
	s_bfe_u32 s6, ttmp6, 0x40008
	s_mul_i32 s5, s4, s2
	s_getreg_b32 s2, hwreg(HW_REG_IB_STS2, 6, 4)
	s_add_co_i32 s6, s6, s5
	s_cmp_eq_u32 s2, 0
	s_mov_b32 s27, 0
	s_cselect_b32 s26, s4, s6
	s_wait_kmcnt 0x0
	s_cmp_ge_u32 s26, s28
	s_cbranch_scc1 .LBB240_38
; %bb.4:
	v_and_b32_e32 v9, 0x3ff, v0
	v_bfe_u32 v19, v0, 10, 10
	s_bfe_u32 s21, ttmp6, 0x4000c
	s_bfe_u32 s23, ttmp6, 0x40010
	s_and_b32 s22, ttmp7, 0xffff
	s_add_co_i32 s21, s21, 1
	s_add_co_i32 s23, s23, 1
	v_lshl_add_u32 v1, v19, 4, v9
	s_and_b32 s20, ttmp6, 15
	s_mul_i32 s21, ttmp9, s21
	s_mul_i32 s23, s22, s23
	s_bfe_u32 s29, ttmp6, 0x40004
	s_clause 0x1
	s_load_b256 s[4:11], s[0:1], 0x18
	s_load_b128 s[16:19], s[0:1], 0x38
	s_add_co_i32 s20, s20, s21
	s_add_co_i32 s29, s29, s23
	s_cmp_eq_u32 s2, 0
	v_dual_lshrrev_b32 v5, 3, v1 :: v_dual_bitop2_b32 v7, 31, v1 bitop3:0x40
	s_cselect_b32 s2, ttmp9, s20
	s_cselect_b32 s20, s22, s29
	s_lshl_b32 s2, s2, 5
	s_lshl_b32 s29, s20, 5
	s_delay_alu instid0(SALU_CYCLE_1) | instskip(SKIP_3) | instid1(VALU_DEP_1)
	v_dual_add_nc_u32 v10, s29, v5 :: v_dual_bitop2_b32 v2, s2, v7 bitop3:0x54
	s_clause 0x1
	s_load_b128 s[20:23], s[0:1], 0x50
	s_load_b32 s30, s[0:1], 0x0
	v_dual_ashrrev_i32 v3, 31, v2 :: v_dual_bitop2_b32 v4, 7, v0 bitop3:0x40
	v_dual_lshrrev_b32 v6, 5, v1 :: v_dual_add_nc_u32 v0, s29, v19
	v_dual_ashrrev_i32 v11, 31, v10 :: v_dual_lshlrev_b32 v29, 3, v9
	s_wait_kmcnt 0x0
	s_delay_alu instid0(VALU_DEP_3)
	v_mul_u64_e32 v[14:15], s[6:7], v[2:3]
	v_lshlrev_b32_e32 v3, 3, v4
	v_dual_add_nc_u32 v20, 16, v0 :: v_dual_ashrrev_i32 v1, 31, v0
	v_mul_u64_e32 v[16:17], s[16:17], v[10:11]
	s_load_b64 s[6:7], s[0:1], 0x60
	s_cmp_neq_f32 s14, 0
	s_delay_alu instid0(VALU_DEP_2) | instskip(SKIP_3) | instid1(VALU_DEP_2)
	v_dual_ashrrev_i32 v21, 31, v20 :: v_dual_add_nc_u32 v8, s2, v9
	v_lshlrev_b32_e32 v7, 3, v7
	s_cselect_b32 s2, -1, 0
	s_cmp_neq_f32 s15, 0
	v_mul_u64_e32 v[12:13], s[22:23], v[20:21]
	s_wait_xcnt 0x0
	v_cmp_gt_i32_e64 s1, s30, v10
	v_mul_u64_e32 v[10:11], s[22:23], v[0:1]
	s_cselect_b32 s17, -1, 0
	v_cmp_gt_i32_e32 vcc_lo, s30, v0
	s_or_b32 s33, s2, s17
	s_cmp_neq_f32 s24, 0
	v_cmp_le_i32_e64 s2, v8, v0
	v_dual_add_nc_u32 v18, 16, v8 :: v_dual_ashrrev_i32 v9, 31, v8
	v_lshl_or_b32 v3, v5, 6, v3
	v_cmp_gt_i64_e64 s31, s[12:13], 0
	v_cmp_gt_i32_e64 s0, s30, v2
	v_cmp_le_i32_e64 s16, s30, v2
	v_lshl_or_b32 v5, v6, 8, v7
	v_add_nc_u32_e32 v7, 0x800, v3
	v_lshl_add_u32 v31, v19, 6, 0x800
	v_dual_ashrrev_i32 v19, 31, v18 :: v_dual_mov_b32 v21, 0
                                        ; implicit-def: $vgpr22_vgpr23
	v_lshl_add_u64 v[14:15], v[14:15], 3, s[4:5]
	s_cselect_b32 s4, -1, 0
	s_xor_b32 s3, s3, -1
	s_and_b32 s22, vcc_lo, s2
	s_or_b32 s17, s4, s3
	v_cmp_le_i32_e64 s2, v18, v0
	v_cmp_gt_i32_e64 s3, s30, v20
	v_cmp_le_i32_e64 s4, v8, v20
	v_cmp_le_i32_e64 s5, v18, v20
	v_lshl_add_u64 v[16:17], v[16:17], 3, s[10:11]
	s_and_b32 s23, vcc_lo, s2
	s_mov_b32 s2, s24
	s_and_b32 s29, s3, s4
	s_and_b32 s30, s3, s5
	s_mov_b32 s3, s24
	s_and_b32 s31, s33, s31
	s_mov_b32 s24, s25
	s_mov_b32 s4, s15
	;; [unrolled: 1-line block ×3, first 2 shown]
	s_branch .LBB240_6
.LBB240_5:                              ;   in Loop: Header=BB240_6 Depth=1
	s_wait_xcnt 0x0
	s_or_b32 exec_lo, exec_lo, s10
	s_add_co_i32 s26, s26, 0x10000
	s_delay_alu instid0(SALU_CYCLE_1)
	s_cmp_lt_u32 s26, s28
	s_cbranch_scc0 .LBB240_38
.LBB240_6:                              ; =>This Loop Header: Depth=1
                                        ;     Child Loop BB240_9 Depth 2
	s_and_not1_b32 vcc_lo, exec_lo, s31
	s_cbranch_vccnz .LBB240_17
; %bb.7:                                ;   in Loop: Header=BB240_6 Depth=1
	s_mul_u64 s[10:11], s[8:9], s[26:27]
	s_mul_u64 s[34:35], s[18:19], s[26:27]
	v_lshl_add_u64 v[24:25], s[10:11], 3, v[14:15]
	v_lshl_add_u64 v[26:27], s[34:35], 3, v[16:17]
	v_dual_mov_b32 v30, 0 :: v_dual_mov_b32 v28, 0
	v_dual_mov_b32 v34, 0 :: v_dual_mov_b32 v32, 0
	;; [unrolled: 1-line block ×4, first 2 shown]
	s_mov_b64 s[10:11], 0
	s_branch .LBB240_9
.LBB240_8:                              ;   in Loop: Header=BB240_9 Depth=2
	s_wait_xcnt 0x0
	s_or_b32 exec_lo, exec_lo, s33
	s_wait_loadcnt 0x0
	ds_store_b64 v7, v[0:1]
	s_wait_dscnt 0x0
	s_barrier_signal -1
	s_barrier_wait -1
	ds_load_b128 v[44:47], v31
	ds_load_b128 v[48:51], v31 offset:16
	ds_load_b128 v[52:55], v31 offset:32
	;; [unrolled: 1-line block ×3, first 2 shown]
	ds_load_2addr_b64 v[56:59], v29 offset1:16
	s_add_nc_u64 s[10:11], s[10:11], 8
	s_delay_alu instid0(SALU_CYCLE_1) | instskip(SKIP_3) | instid1(VALU_DEP_1)
	v_cmp_gt_i64_e64 s33, s[12:13], s[10:11]
	s_and_b32 vcc_lo, exec_lo, s33
	s_wait_dscnt 0x0
	v_dual_mul_f32 v20, v45, v57 :: v_dual_mul_f32 v33, v44, v57
	v_dual_mul_f32 v35, v44, v59 :: v_dual_fma_f32 v20, v44, v56, -v20
	s_delay_alu instid0(VALU_DEP_1) | instskip(NEXT) | instid1(VALU_DEP_1)
	v_dual_fmac_f32 v33, v45, v56 :: v_dual_fmac_f32 v35, v45, v58
	v_dual_add_f32 v20, v40, v20 :: v_dual_add_f32 v40, v42, v33
	v_mul_f32_e32 v33, v45, v59
	s_delay_alu instid0(VALU_DEP_1) | instskip(NEXT) | instid1(VALU_DEP_1)
	v_dual_add_f32 v42, v38, v35 :: v_dual_fma_f32 v33, v44, v58, -v33
	v_add_f32_e32 v41, v36, v33
	ds_load_b128 v[36:39], v31 offset:1024
	s_wait_dscnt 0x0
	v_dual_mul_f32 v33, v37, v57 :: v_dual_mul_f32 v35, v36, v57
	s_delay_alu instid0(VALU_DEP_1) | instskip(NEXT) | instid1(VALU_DEP_1)
	v_dual_fma_f32 v33, v36, v56, -v33 :: v_dual_fmac_f32 v35, v37, v56
	v_dual_add_f32 v43, v32, v33 :: v_dual_add_f32 v44, v34, v35
	v_dual_mul_f32 v32, v37, v59 :: v_dual_mul_f32 v33, v36, v59
	s_delay_alu instid0(VALU_DEP_1) | instskip(NEXT) | instid1(VALU_DEP_1)
	v_dual_fma_f32 v32, v36, v58, -v32 :: v_dual_fmac_f32 v33, v37, v58
	v_dual_add_f32 v28, v28, v32 :: v_dual_add_f32 v30, v30, v33
	ds_load_2addr_b64 v[32:35], v29 offset0:32 offset1:48
	s_wait_dscnt 0x0
	v_dual_mul_f32 v36, v47, v33 :: v_dual_mul_f32 v37, v46, v33
	s_delay_alu instid0(VALU_DEP_1) | instskip(NEXT) | instid1(VALU_DEP_1)
	v_dual_fma_f32 v36, v46, v32, -v36 :: v_dual_fmac_f32 v37, v47, v32
	v_add_f32_e32 v20, v20, v36
	s_delay_alu instid0(VALU_DEP_2) | instskip(NEXT) | instid1(VALU_DEP_1)
	v_dual_add_f32 v36, v40, v37 :: v_dual_mul_f32 v37, v47, v35
	v_dual_fma_f32 v37, v46, v34, -v37 :: v_dual_mul_f32 v40, v46, v35
	s_delay_alu instid0(VALU_DEP_1) | instskip(SKIP_1) | instid1(VALU_DEP_1)
	v_add_f32_e32 v37, v41, v37
	v_dual_mul_f32 v41, v39, v33 :: v_dual_mul_f32 v33, v38, v33
	v_dual_fmac_f32 v40, v47, v34 :: v_dual_fma_f32 v41, v38, v32, -v41
	s_delay_alu instid0(VALU_DEP_2) | instskip(NEXT) | instid1(VALU_DEP_2)
	v_dual_fmac_f32 v33, v39, v32 :: v_dual_mul_f32 v32, v39, v35
	v_dual_add_f32 v40, v42, v40 :: v_dual_add_f32 v41, v43, v41
	s_delay_alu instid0(VALU_DEP_2) | instskip(NEXT) | instid1(VALU_DEP_1)
	v_dual_add_f32 v42, v44, v33 :: v_dual_fma_f32 v32, v38, v34, -v32
	v_dual_mul_f32 v33, v38, v35 :: v_dual_add_f32 v28, v28, v32
	s_delay_alu instid0(VALU_DEP_1) | instskip(NEXT) | instid1(VALU_DEP_1)
	v_fmac_f32_e32 v33, v39, v34
	v_add_f32_e32 v30, v30, v33
	ds_load_2addr_b64 v[32:35], v29 offset0:64 offset1:80
	s_wait_dscnt 0x0
	v_dual_mul_f32 v38, v49, v33 :: v_dual_mul_f32 v39, v48, v33
	s_delay_alu instid0(VALU_DEP_1) | instskip(NEXT) | instid1(VALU_DEP_1)
	v_dual_fma_f32 v38, v48, v32, -v38 :: v_dual_fmac_f32 v39, v49, v32
	v_add_f32_e32 v20, v20, v38
	v_mul_f32_e32 v38, v48, v35
	s_delay_alu instid0(VALU_DEP_3) | instskip(SKIP_1) | instid1(VALU_DEP_1)
	v_add_f32_e32 v43, v36, v39
	v_mul_f32_e32 v36, v49, v35
	v_fma_f32 v36, v48, v34, -v36
	s_delay_alu instid0(VALU_DEP_1) | instskip(SKIP_1) | instid1(VALU_DEP_1)
	v_add_f32_e32 v44, v37, v36
	v_fmac_f32_e32 v38, v49, v34
	v_add_f32_e32 v40, v40, v38
	ds_load_b128 v[36:39], v31 offset:1040
	s_wait_dscnt 0x0
	v_dual_mul_f32 v45, v37, v33 :: v_dual_mul_f32 v33, v36, v33
	s_delay_alu instid0(VALU_DEP_1) | instskip(NEXT) | instid1(VALU_DEP_2)
	v_fma_f32 v45, v36, v32, -v45
	v_dual_fmac_f32 v33, v37, v32 :: v_dual_mul_f32 v32, v37, v35
	s_delay_alu instid0(VALU_DEP_2) | instskip(NEXT) | instid1(VALU_DEP_2)
	v_add_f32_e32 v41, v41, v45
	v_dual_add_f32 v42, v42, v33 :: v_dual_mul_f32 v33, v36, v35
	s_delay_alu instid0(VALU_DEP_1) | instskip(NEXT) | instid1(VALU_DEP_1)
	v_dual_fma_f32 v32, v36, v34, -v32 :: v_dual_fmac_f32 v33, v37, v34
	v_dual_add_f32 v28, v28, v32 :: v_dual_add_f32 v30, v30, v33
	ds_load_2addr_b64 v[32:35], v29 offset0:96 offset1:112
	s_wait_dscnt 0x0
	v_mul_f32_e32 v36, v51, v33
	s_delay_alu instid0(VALU_DEP_1) | instskip(NEXT) | instid1(VALU_DEP_1)
	v_dual_fma_f32 v36, v50, v32, -v36 :: v_dual_mul_f32 v37, v50, v33
	v_add_f32_e32 v20, v20, v36
	s_delay_alu instid0(VALU_DEP_2) | instskip(NEXT) | instid1(VALU_DEP_1)
	v_fmac_f32_e32 v37, v51, v32
	v_dual_add_f32 v36, v43, v37 :: v_dual_mul_f32 v43, v50, v35
	s_delay_alu instid0(VALU_DEP_1) | instskip(NEXT) | instid1(VALU_DEP_1)
	v_dual_mul_f32 v37, v51, v35 :: v_dual_fmac_f32 v43, v51, v34
	v_dual_fma_f32 v37, v50, v34, -v37 :: v_dual_add_f32 v40, v40, v43
	v_mul_f32_e32 v43, v39, v33
	s_delay_alu instid0(VALU_DEP_1) | instskip(NEXT) | instid1(VALU_DEP_1)
	v_dual_add_f32 v37, v44, v37 :: v_dual_fma_f32 v43, v38, v32, -v43
	v_dual_mul_f32 v33, v38, v33 :: v_dual_add_f32 v41, v41, v43
	s_delay_alu instid0(VALU_DEP_1) | instskip(NEXT) | instid1(VALU_DEP_1)
	v_dual_fmac_f32 v33, v39, v32 :: v_dual_mul_f32 v32, v39, v35
	v_add_f32_e32 v42, v42, v33
	s_delay_alu instid0(VALU_DEP_2) | instskip(NEXT) | instid1(VALU_DEP_1)
	v_dual_fma_f32 v32, v38, v34, -v32 :: v_dual_mul_f32 v33, v38, v35
	v_dual_fmac_f32 v33, v39, v34 :: v_dual_add_f32 v28, v28, v32
	s_delay_alu instid0(VALU_DEP_1) | instskip(SKIP_3) | instid1(VALU_DEP_1)
	v_add_f32_e32 v30, v30, v33
	ds_load_2addr_b64 v[32:35], v29 offset0:128 offset1:144
	s_wait_dscnt 0x0
	v_dual_mul_f32 v38, v53, v33 :: v_dual_mul_f32 v39, v52, v33
	v_dual_fma_f32 v38, v52, v32, -v38 :: v_dual_fmac_f32 v39, v53, v32
	s_delay_alu instid0(VALU_DEP_1) | instskip(SKIP_1) | instid1(VALU_DEP_3)
	v_add_f32_e32 v20, v20, v38
	v_mul_f32_e32 v38, v52, v35
	v_add_f32_e32 v43, v36, v39
	v_mul_f32_e32 v36, v53, v35
	s_delay_alu instid0(VALU_DEP_1) | instskip(NEXT) | instid1(VALU_DEP_1)
	v_fma_f32 v36, v52, v34, -v36
	v_add_f32_e32 v44, v37, v36
	v_fmac_f32_e32 v38, v53, v34
	s_delay_alu instid0(VALU_DEP_1) | instskip(SKIP_3) | instid1(VALU_DEP_1)
	v_add_f32_e32 v40, v40, v38
	ds_load_b128 v[36:39], v31 offset:1056
	s_wait_dscnt 0x0
	v_dual_mul_f32 v45, v37, v33 :: v_dual_mul_f32 v33, v36, v33
	v_fma_f32 v45, v36, v32, -v45
	s_delay_alu instid0(VALU_DEP_2) | instskip(NEXT) | instid1(VALU_DEP_2)
	v_dual_fmac_f32 v33, v37, v32 :: v_dual_mul_f32 v32, v37, v35
	v_add_f32_e32 v41, v41, v45
	s_delay_alu instid0(VALU_DEP_2) | instskip(NEXT) | instid1(VALU_DEP_1)
	v_dual_add_f32 v42, v42, v33 :: v_dual_mul_f32 v33, v36, v35
	v_dual_fma_f32 v32, v36, v34, -v32 :: v_dual_fmac_f32 v33, v37, v34
	s_delay_alu instid0(VALU_DEP_1) | instskip(SKIP_3) | instid1(VALU_DEP_1)
	v_dual_add_f32 v28, v28, v32 :: v_dual_add_f32 v30, v30, v33
	ds_load_2addr_b64 v[32:35], v29 offset0:160 offset1:176
	s_wait_dscnt 0x0
	v_mul_f32_e32 v36, v55, v33
	v_dual_fma_f32 v36, v54, v32, -v36 :: v_dual_mul_f32 v37, v54, v33
	s_delay_alu instid0(VALU_DEP_1) | instskip(NEXT) | instid1(VALU_DEP_2)
	v_add_f32_e32 v20, v20, v36
	v_fmac_f32_e32 v37, v55, v32
	s_delay_alu instid0(VALU_DEP_1) | instskip(NEXT) | instid1(VALU_DEP_1)
	v_dual_add_f32 v36, v43, v37 :: v_dual_mul_f32 v43, v54, v35
	v_dual_mul_f32 v37, v55, v35 :: v_dual_fmac_f32 v43, v55, v34
	s_delay_alu instid0(VALU_DEP_1) | instskip(SKIP_1) | instid1(VALU_DEP_1)
	v_dual_fma_f32 v37, v54, v34, -v37 :: v_dual_add_f32 v40, v40, v43
	v_mul_f32_e32 v43, v39, v33
	v_dual_add_f32 v37, v44, v37 :: v_dual_fma_f32 v43, v38, v32, -v43
	s_delay_alu instid0(VALU_DEP_1) | instskip(NEXT) | instid1(VALU_DEP_1)
	v_dual_mul_f32 v33, v38, v33 :: v_dual_add_f32 v41, v41, v43
	v_dual_fmac_f32 v33, v39, v32 :: v_dual_mul_f32 v32, v39, v35
	s_delay_alu instid0(VALU_DEP_1) | instskip(NEXT) | instid1(VALU_DEP_2)
	v_add_f32_e32 v46, v42, v33
	v_dual_fma_f32 v32, v38, v34, -v32 :: v_dual_mul_f32 v33, v38, v35
	ds_load_b128 v[42:45], v31 offset:1072
	v_dual_fmac_f32 v33, v39, v34 :: v_dual_add_f32 v28, v28, v32
	s_delay_alu instid0(VALU_DEP_1) | instskip(SKIP_3) | instid1(VALU_DEP_1)
	v_add_f32_e32 v30, v30, v33
	ds_load_2addr_b64 v[32:35], v29 offset0:192 offset1:208
	s_wait_dscnt 0x0
	v_dual_mul_f32 v38, v1, v33 :: v_dual_mul_f32 v39, v0, v33
	v_dual_fma_f32 v38, v0, v32, -v38 :: v_dual_fmac_f32 v39, v1, v32
	s_delay_alu instid0(VALU_DEP_1) | instskip(NEXT) | instid1(VALU_DEP_1)
	v_dual_add_f32 v20, v20, v38 :: v_dual_mul_f32 v38, v1, v35
	v_dual_fma_f32 v38, v0, v34, -v38 :: v_dual_mul_f32 v0, v0, v35
	s_delay_alu instid0(VALU_DEP_1) | instskip(NEXT) | instid1(VALU_DEP_2)
	v_dual_add_f32 v36, v36, v39 :: v_dual_fmac_f32 v0, v1, v34
	v_dual_add_f32 v1, v37, v38 :: v_dual_mul_f32 v37, v43, v33
	s_delay_alu instid0(VALU_DEP_2) | instskip(NEXT) | instid1(VALU_DEP_2)
	v_dual_mul_f32 v33, v42, v33 :: v_dual_add_f32 v0, v40, v0
	v_fma_f32 v37, v42, v32, -v37
	s_delay_alu instid0(VALU_DEP_1) | instskip(NEXT) | instid1(VALU_DEP_1)
	v_dual_fmac_f32 v33, v43, v32 :: v_dual_add_f32 v32, v41, v37
	v_dual_add_f32 v33, v46, v33 :: v_dual_mul_f32 v37, v43, v35
	ds_load_2addr_b64 v[46:49], v29 offset0:224 offset1:240
	v_mul_f32_e32 v35, v42, v35
	s_wait_dscnt 0x0
	s_barrier_signal -1
	v_fma_f32 v37, v42, v34, -v37
	s_barrier_wait -1
	v_fmac_f32_e32 v35, v43, v34
	s_delay_alu instid0(VALU_DEP_1) | instskip(SKIP_1) | instid1(VALU_DEP_1)
	v_dual_add_f32 v28, v28, v37 :: v_dual_add_f32 v30, v30, v35
	v_dual_mul_f32 v34, v3, v47 :: v_dual_mul_f32 v35, v2, v47
	v_dual_fma_f32 v34, v2, v46, -v34 :: v_dual_fmac_f32 v35, v3, v46
	s_delay_alu instid0(VALU_DEP_1) | instskip(NEXT) | instid1(VALU_DEP_1)
	v_dual_add_f32 v40, v20, v34 :: v_dual_mul_f32 v20, v3, v49
	v_dual_add_f32 v42, v36, v35 :: v_dual_fma_f32 v20, v2, v48, -v20
	s_delay_alu instid0(VALU_DEP_1) | instskip(NEXT) | instid1(VALU_DEP_1)
	v_dual_mul_f32 v2, v2, v49 :: v_dual_add_f32 v36, v1, v20
	v_dual_fmac_f32 v2, v3, v48 :: v_dual_mul_f32 v1, v44, v47
	s_delay_alu instid0(VALU_DEP_1) | instskip(NEXT) | instid1(VALU_DEP_2)
	v_fmac_f32_e32 v1, v45, v46
	v_dual_add_f32 v38, v0, v2 :: v_dual_mul_f32 v0, v45, v47
	s_delay_alu instid0(VALU_DEP_2) | instskip(NEXT) | instid1(VALU_DEP_2)
	v_add_f32_e32 v34, v33, v1
	v_dual_mul_f32 v1, v44, v49 :: v_dual_fma_f32 v0, v44, v46, -v0
	s_delay_alu instid0(VALU_DEP_1) | instskip(NEXT) | instid1(VALU_DEP_2)
	v_fmac_f32_e32 v1, v45, v48
	v_dual_add_f32 v32, v32, v0 :: v_dual_mul_f32 v0, v45, v49
	s_delay_alu instid0(VALU_DEP_1) | instskip(NEXT) | instid1(VALU_DEP_1)
	v_dual_add_f32 v30, v30, v1 :: v_dual_fma_f32 v0, v44, v48, -v0
	v_add_f32_e32 v28, v28, v0
	s_cbranch_vccz .LBB240_18
.LBB240_9:                              ;   Parent Loop BB240_6 Depth=1
                                        ; =>  This Inner Loop Header: Depth=2
	s_mov_b32 s33, 0
	s_mov_b32 s35, s16
	s_and_saveexec_b32 s34, s0
; %bb.10:                               ;   in Loop: Header=BB240_9 Depth=2
	v_add_nc_u32_e32 v20, s10, v6
	s_and_not1_b32 s35, s16, exec_lo
	s_mov_b32 s33, exec_lo
	s_delay_alu instid0(VALU_DEP_1) | instskip(SKIP_2) | instid1(SALU_CYCLE_1)
	v_cmp_le_u64_e32 vcc_lo, s[12:13], v[20:21]
	v_mov_b64_e32 v[22:23], v[20:21]
	s_and_b32 s36, vcc_lo, exec_lo
	s_or_b32 s35, s35, s36
; %bb.11:                               ;   in Loop: Header=BB240_9 Depth=2
	s_or_b32 exec_lo, exec_lo, s34
	s_and_saveexec_b32 s34, s35
	s_delay_alu instid0(SALU_CYCLE_1)
	s_xor_b32 s34, exec_lo, s34
; %bb.12:                               ;   in Loop: Header=BB240_9 Depth=2
	s_and_not1_b32 s33, s33, exec_lo
	ds_store_b32 v5, v21
; %bb.13:                               ;   in Loop: Header=BB240_9 Depth=2
	s_or_b32 exec_lo, exec_lo, s34
	v_dual_mov_b32 v0, 0 :: v_dual_mov_b32 v2, 0
	s_and_saveexec_b32 s34, s33
	s_cbranch_execz .LBB240_15
; %bb.14:                               ;   in Loop: Header=BB240_9 Depth=2
	v_lshl_add_u64 v[2:3], v[22:23], 3, v[24:25]
	global_load_b64 v[44:45], v[2:3], off
	s_wait_loadcnt 0x0
	s_wait_xcnt 0x0
	v_xor_b32_e32 v2, 0x80000000, v45
	ds_store_b32 v5, v44
.LBB240_15:                             ;   in Loop: Header=BB240_9 Depth=2
	s_or_b32 exec_lo, exec_lo, s34
	v_dual_mov_b32 v1, 0 :: v_dual_add_nc_u32 v20, s10, v4
	ds_store_b32 v5, v2 offset:4
	v_cmp_gt_u64_e32 vcc_lo, s[12:13], v[20:21]
	s_and_b32 s34, vcc_lo, s1
	s_delay_alu instid0(SALU_CYCLE_1)
	s_and_saveexec_b32 s33, s34
	s_cbranch_execz .LBB240_8
; %bb.16:                               ;   in Loop: Header=BB240_9 Depth=2
	v_lshl_add_u64 v[0:1], v[20:21], 3, v[26:27]
	global_load_b64 v[0:1], v[0:1], off
	s_branch .LBB240_8
.LBB240_17:                             ;   in Loop: Header=BB240_6 Depth=1
	v_dual_mov_b32 v40, v21 :: v_dual_mov_b32 v42, v21
	v_dual_mov_b32 v36, v21 :: v_dual_mov_b32 v38, v21
	;; [unrolled: 1-line block ×4, first 2 shown]
.LBB240_18:                             ;   in Loop: Header=BB240_6 Depth=1
	s_wait_kmcnt 0x0
	s_mul_u64 s[10:11], s[6:7], s[26:27]
	s_delay_alu instid0(SALU_CYCLE_1) | instskip(NEXT) | instid1(SALU_CYCLE_1)
	s_lshl_b64 s[10:11], s[10:11], 3
	s_add_nc_u64 s[10:11], s[20:21], s[10:11]
	s_delay_alu instid0(SALU_CYCLE_1)
	v_lshl_add_u64 v[0:1], v[10:11], 3, s[10:11]
	s_and_saveexec_b32 s33, s22
	s_cbranch_execz .LBB240_23
; %bb.19:                               ;   in Loop: Header=BB240_6 Depth=1
	v_mov_b64_e32 v[2:3], s[4:5]
	v_mov_b64_e32 v[24:25], s[14:15]
	s_and_b32 vcc_lo, exec_lo, s17
	s_mov_b32 s34, -1
	s_delay_alu instid0(VALU_DEP_2) | instskip(NEXT) | instid1(VALU_DEP_1)
	v_pk_mul_f32 v[2:3], v[42:43], v[2:3] op_sel_hi:[0,1]
	v_pk_fma_f32 v[26:27], v[40:41], v[24:25], v[2:3] op_sel_hi:[0,1,1]
	v_pk_fma_f32 v[2:3], v[40:41], v[24:25], v[2:3] neg_lo:[0,0,1] neg_hi:[0,0,1]
	v_lshl_add_u64 v[24:25], v[8:9], 3, v[0:1]
	s_delay_alu instid0(VALU_DEP_3)
	v_mov_b32_e32 v3, v27
	s_cbranch_vccz .LBB240_21
; %bb.20:                               ;   in Loop: Header=BB240_6 Depth=1
	global_load_b64 v[26:27], v[24:25], off
	v_mov_b64_e32 v[40:41], s[24:25]
	v_mov_b64_e32 v[42:43], s[2:3]
	s_mov_b32 s34, 0
	s_wait_loadcnt 0x0
	s_delay_alu instid0(VALU_DEP_2) | instskip(NEXT) | instid1(VALU_DEP_1)
	v_pk_mul_f32 v[40:41], v[26:27], v[40:41]
	v_pk_fma_f32 v[44:45], v[26:27], v[42:43], v[40:41] op_sel:[0,0,1] op_sel_hi:[1,1,0]
	v_pk_fma_f32 v[26:27], v[26:27], v[42:43], v[40:41] op_sel:[0,0,1] op_sel_hi:[1,1,0] neg_lo:[0,0,1] neg_hi:[0,0,1]
	s_delay_alu instid0(VALU_DEP_2) | instskip(NEXT) | instid1(VALU_DEP_1)
	v_mov_b32_e32 v27, v45
	v_pk_add_f32 v[26:27], v[2:3], v[26:27]
	global_store_b64 v[24:25], v[26:27], off
.LBB240_21:                             ;   in Loop: Header=BB240_6 Depth=1
	s_and_not1_b32 vcc_lo, exec_lo, s34
	s_cbranch_vccnz .LBB240_23
; %bb.22:                               ;   in Loop: Header=BB240_6 Depth=1
	global_store_b64 v[24:25], v[2:3], off
.LBB240_23:                             ;   in Loop: Header=BB240_6 Depth=1
	s_wait_xcnt 0x0
	s_or_b32 exec_lo, exec_lo, s33
	s_and_saveexec_b32 s33, s23
	s_cbranch_execz .LBB240_28
; %bb.24:                               ;   in Loop: Header=BB240_6 Depth=1
	v_mov_b64_e32 v[2:3], s[4:5]
	v_mov_b64_e32 v[24:25], s[14:15]
	v_lshl_add_u64 v[0:1], v[18:19], 3, v[0:1]
	s_and_not1_b32 vcc_lo, exec_lo, s17
	s_mov_b32 s34, -1
	s_delay_alu instid0(VALU_DEP_3) | instskip(NEXT) | instid1(VALU_DEP_1)
	v_pk_mul_f32 v[2:3], v[38:39], v[2:3] op_sel_hi:[0,1]
	v_pk_fma_f32 v[26:27], v[36:37], v[24:25], v[2:3] op_sel_hi:[0,1,1]
	v_pk_fma_f32 v[2:3], v[36:37], v[24:25], v[2:3] neg_lo:[0,0,1] neg_hi:[0,0,1]
	s_delay_alu instid0(VALU_DEP_2)
	v_mov_b32_e32 v3, v27
	s_cbranch_vccnz .LBB240_26
; %bb.25:                               ;   in Loop: Header=BB240_6 Depth=1
	global_load_b64 v[24:25], v[0:1], off
	v_mov_b64_e32 v[26:27], s[24:25]
	v_mov_b64_e32 v[36:37], s[2:3]
	s_mov_b32 s34, 0
	s_wait_loadcnt 0x0
	s_delay_alu instid0(VALU_DEP_2) | instskip(NEXT) | instid1(VALU_DEP_1)
	v_pk_mul_f32 v[26:27], v[24:25], v[26:27]
	v_pk_fma_f32 v[38:39], v[24:25], v[36:37], v[26:27] op_sel:[0,0,1] op_sel_hi:[1,1,0]
	v_pk_fma_f32 v[24:25], v[24:25], v[36:37], v[26:27] op_sel:[0,0,1] op_sel_hi:[1,1,0] neg_lo:[0,0,1] neg_hi:[0,0,1]
	s_delay_alu instid0(VALU_DEP_2) | instskip(NEXT) | instid1(VALU_DEP_1)
	v_mov_b32_e32 v25, v39
	v_pk_add_f32 v[24:25], v[2:3], v[24:25]
	global_store_b64 v[0:1], v[24:25], off
.LBB240_26:                             ;   in Loop: Header=BB240_6 Depth=1
	s_and_not1_b32 vcc_lo, exec_lo, s34
	s_cbranch_vccnz .LBB240_28
; %bb.27:                               ;   in Loop: Header=BB240_6 Depth=1
	global_store_b64 v[0:1], v[2:3], off
.LBB240_28:                             ;   in Loop: Header=BB240_6 Depth=1
	s_wait_xcnt 0x0
	s_or_b32 exec_lo, exec_lo, s33
	v_lshl_add_u64 v[0:1], v[12:13], 3, s[10:11]
	s_and_saveexec_b32 s10, s29
	s_cbranch_execz .LBB240_33
; %bb.29:                               ;   in Loop: Header=BB240_6 Depth=1
	v_mov_b64_e32 v[2:3], s[4:5]
	v_mov_b64_e32 v[24:25], s[14:15]
	s_and_not1_b32 vcc_lo, exec_lo, s17
	s_mov_b32 s11, -1
	s_delay_alu instid0(VALU_DEP_2) | instskip(NEXT) | instid1(VALU_DEP_1)
	v_pk_mul_f32 v[2:3], v[34:35], v[2:3] op_sel_hi:[0,1]
	v_pk_fma_f32 v[26:27], v[32:33], v[24:25], v[2:3] op_sel_hi:[0,1,1]
	v_pk_fma_f32 v[2:3], v[32:33], v[24:25], v[2:3] neg_lo:[0,0,1] neg_hi:[0,0,1]
	v_lshl_add_u64 v[24:25], v[8:9], 3, v[0:1]
	s_delay_alu instid0(VALU_DEP_3)
	v_mov_b32_e32 v3, v27
	s_cbranch_vccnz .LBB240_31
; %bb.30:                               ;   in Loop: Header=BB240_6 Depth=1
	global_load_b64 v[26:27], v[24:25], off
	v_mov_b64_e32 v[32:33], s[24:25]
	v_mov_b64_e32 v[34:35], s[2:3]
	s_mov_b32 s11, 0
	s_wait_loadcnt 0x0
	s_delay_alu instid0(VALU_DEP_2) | instskip(NEXT) | instid1(VALU_DEP_1)
	v_pk_mul_f32 v[32:33], v[26:27], v[32:33]
	v_pk_fma_f32 v[36:37], v[26:27], v[34:35], v[32:33] op_sel:[0,0,1] op_sel_hi:[1,1,0]
	v_pk_fma_f32 v[26:27], v[26:27], v[34:35], v[32:33] op_sel:[0,0,1] op_sel_hi:[1,1,0] neg_lo:[0,0,1] neg_hi:[0,0,1]
	s_delay_alu instid0(VALU_DEP_2) | instskip(NEXT) | instid1(VALU_DEP_1)
	v_mov_b32_e32 v27, v37
	v_pk_add_f32 v[26:27], v[2:3], v[26:27]
	global_store_b64 v[24:25], v[26:27], off
.LBB240_31:                             ;   in Loop: Header=BB240_6 Depth=1
	s_and_not1_b32 vcc_lo, exec_lo, s11
	s_cbranch_vccnz .LBB240_33
; %bb.32:                               ;   in Loop: Header=BB240_6 Depth=1
	global_store_b64 v[24:25], v[2:3], off
.LBB240_33:                             ;   in Loop: Header=BB240_6 Depth=1
	s_wait_xcnt 0x0
	s_or_b32 exec_lo, exec_lo, s10
	s_and_saveexec_b32 s10, s30
	s_cbranch_execz .LBB240_5
; %bb.34:                               ;   in Loop: Header=BB240_6 Depth=1
	v_mov_b64_e32 v[2:3], s[4:5]
	v_mov_b64_e32 v[24:25], s[14:15]
	v_lshl_add_u64 v[0:1], v[18:19], 3, v[0:1]
	s_and_not1_b32 vcc_lo, exec_lo, s17
	s_mov_b32 s11, -1
	s_delay_alu instid0(VALU_DEP_3) | instskip(NEXT) | instid1(VALU_DEP_1)
	v_pk_mul_f32 v[2:3], v[30:31], v[2:3] op_sel_hi:[0,1]
	v_pk_fma_f32 v[26:27], v[28:29], v[24:25], v[2:3] op_sel_hi:[0,1,1]
	v_pk_fma_f32 v[2:3], v[28:29], v[24:25], v[2:3] neg_lo:[0,0,1] neg_hi:[0,0,1]
	s_delay_alu instid0(VALU_DEP_2)
	v_mov_b32_e32 v3, v27
	s_cbranch_vccnz .LBB240_36
; %bb.35:                               ;   in Loop: Header=BB240_6 Depth=1
	global_load_b64 v[24:25], v[0:1], off
	v_mov_b64_e32 v[26:27], s[24:25]
	v_mov_b64_e32 v[32:33], s[2:3]
	s_mov_b32 s11, 0
	s_wait_loadcnt 0x0
	s_delay_alu instid0(VALU_DEP_2) | instskip(NEXT) | instid1(VALU_DEP_1)
	v_pk_mul_f32 v[26:27], v[24:25], v[26:27]
	v_pk_fma_f32 v[34:35], v[24:25], v[32:33], v[26:27] op_sel:[0,0,1] op_sel_hi:[1,1,0]
	v_pk_fma_f32 v[24:25], v[24:25], v[32:33], v[26:27] op_sel:[0,0,1] op_sel_hi:[1,1,0] neg_lo:[0,0,1] neg_hi:[0,0,1]
	s_delay_alu instid0(VALU_DEP_2) | instskip(NEXT) | instid1(VALU_DEP_1)
	v_mov_b32_e32 v25, v35
	v_pk_add_f32 v[24:25], v[2:3], v[24:25]
	global_store_b64 v[0:1], v[24:25], off
.LBB240_36:                             ;   in Loop: Header=BB240_6 Depth=1
	s_and_not1_b32 vcc_lo, exec_lo, s11
	s_cbranch_vccnz .LBB240_5
; %bb.37:                               ;   in Loop: Header=BB240_6 Depth=1
	global_store_b64 v[0:1], v[2:3], off
	s_branch .LBB240_5
.LBB240_38:
	s_endpgm
	.section	.rodata,"a",@progbits
	.p2align	6, 0x0
	.amdhsa_kernel _ZL29rocblas_internal_gemmt_kernelIlLi16ELi32ELi8ELc67ELc78ELc85ELb1ELb0E19rocblas_complex_numIfES1_PKS1_PS1_EviT_T9_T10_S5_lS7_S5_lS6_T11_S5_li
		.amdhsa_group_segment_fixed_size 4096
		.amdhsa_private_segment_fixed_size 0
		.amdhsa_kernarg_size 108
		.amdhsa_user_sgpr_count 2
		.amdhsa_user_sgpr_dispatch_ptr 0
		.amdhsa_user_sgpr_queue_ptr 0
		.amdhsa_user_sgpr_kernarg_segment_ptr 1
		.amdhsa_user_sgpr_dispatch_id 0
		.amdhsa_user_sgpr_kernarg_preload_length 0
		.amdhsa_user_sgpr_kernarg_preload_offset 0
		.amdhsa_user_sgpr_private_segment_size 0
		.amdhsa_wavefront_size32 1
		.amdhsa_uses_dynamic_stack 0
		.amdhsa_enable_private_segment 0
		.amdhsa_system_sgpr_workgroup_id_x 1
		.amdhsa_system_sgpr_workgroup_id_y 1
		.amdhsa_system_sgpr_workgroup_id_z 1
		.amdhsa_system_sgpr_workgroup_info 0
		.amdhsa_system_vgpr_workitem_id 1
		.amdhsa_next_free_vgpr 60
		.amdhsa_next_free_sgpr 37
		.amdhsa_named_barrier_count 0
		.amdhsa_reserve_vcc 1
		.amdhsa_float_round_mode_32 0
		.amdhsa_float_round_mode_16_64 0
		.amdhsa_float_denorm_mode_32 3
		.amdhsa_float_denorm_mode_16_64 3
		.amdhsa_fp16_overflow 0
		.amdhsa_memory_ordered 1
		.amdhsa_forward_progress 1
		.amdhsa_inst_pref_size 26
		.amdhsa_round_robin_scheduling 0
		.amdhsa_exception_fp_ieee_invalid_op 0
		.amdhsa_exception_fp_denorm_src 0
		.amdhsa_exception_fp_ieee_div_zero 0
		.amdhsa_exception_fp_ieee_overflow 0
		.amdhsa_exception_fp_ieee_underflow 0
		.amdhsa_exception_fp_ieee_inexact 0
		.amdhsa_exception_int_div_zero 0
	.end_amdhsa_kernel
	.section	.text._ZL29rocblas_internal_gemmt_kernelIlLi16ELi32ELi8ELc67ELc78ELc85ELb1ELb0E19rocblas_complex_numIfES1_PKS1_PS1_EviT_T9_T10_S5_lS7_S5_lS6_T11_S5_li,"axG",@progbits,_ZL29rocblas_internal_gemmt_kernelIlLi16ELi32ELi8ELc67ELc78ELc85ELb1ELb0E19rocblas_complex_numIfES1_PKS1_PS1_EviT_T9_T10_S5_lS7_S5_lS6_T11_S5_li,comdat
.Lfunc_end240:
	.size	_ZL29rocblas_internal_gemmt_kernelIlLi16ELi32ELi8ELc67ELc78ELc85ELb1ELb0E19rocblas_complex_numIfES1_PKS1_PS1_EviT_T9_T10_S5_lS7_S5_lS6_T11_S5_li, .Lfunc_end240-_ZL29rocblas_internal_gemmt_kernelIlLi16ELi32ELi8ELc67ELc78ELc85ELb1ELb0E19rocblas_complex_numIfES1_PKS1_PS1_EviT_T9_T10_S5_lS7_S5_lS6_T11_S5_li
                                        ; -- End function
	.set _ZL29rocblas_internal_gemmt_kernelIlLi16ELi32ELi8ELc67ELc78ELc85ELb1ELb0E19rocblas_complex_numIfES1_PKS1_PS1_EviT_T9_T10_S5_lS7_S5_lS6_T11_S5_li.num_vgpr, 60
	.set _ZL29rocblas_internal_gemmt_kernelIlLi16ELi32ELi8ELc67ELc78ELc85ELb1ELb0E19rocblas_complex_numIfES1_PKS1_PS1_EviT_T9_T10_S5_lS7_S5_lS6_T11_S5_li.num_agpr, 0
	.set _ZL29rocblas_internal_gemmt_kernelIlLi16ELi32ELi8ELc67ELc78ELc85ELb1ELb0E19rocblas_complex_numIfES1_PKS1_PS1_EviT_T9_T10_S5_lS7_S5_lS6_T11_S5_li.numbered_sgpr, 37
	.set _ZL29rocblas_internal_gemmt_kernelIlLi16ELi32ELi8ELc67ELc78ELc85ELb1ELb0E19rocblas_complex_numIfES1_PKS1_PS1_EviT_T9_T10_S5_lS7_S5_lS6_T11_S5_li.num_named_barrier, 0
	.set _ZL29rocblas_internal_gemmt_kernelIlLi16ELi32ELi8ELc67ELc78ELc85ELb1ELb0E19rocblas_complex_numIfES1_PKS1_PS1_EviT_T9_T10_S5_lS7_S5_lS6_T11_S5_li.private_seg_size, 0
	.set _ZL29rocblas_internal_gemmt_kernelIlLi16ELi32ELi8ELc67ELc78ELc85ELb1ELb0E19rocblas_complex_numIfES1_PKS1_PS1_EviT_T9_T10_S5_lS7_S5_lS6_T11_S5_li.uses_vcc, 1
	.set _ZL29rocblas_internal_gemmt_kernelIlLi16ELi32ELi8ELc67ELc78ELc85ELb1ELb0E19rocblas_complex_numIfES1_PKS1_PS1_EviT_T9_T10_S5_lS7_S5_lS6_T11_S5_li.uses_flat_scratch, 0
	.set _ZL29rocblas_internal_gemmt_kernelIlLi16ELi32ELi8ELc67ELc78ELc85ELb1ELb0E19rocblas_complex_numIfES1_PKS1_PS1_EviT_T9_T10_S5_lS7_S5_lS6_T11_S5_li.has_dyn_sized_stack, 0
	.set _ZL29rocblas_internal_gemmt_kernelIlLi16ELi32ELi8ELc67ELc78ELc85ELb1ELb0E19rocblas_complex_numIfES1_PKS1_PS1_EviT_T9_T10_S5_lS7_S5_lS6_T11_S5_li.has_recursion, 0
	.set _ZL29rocblas_internal_gemmt_kernelIlLi16ELi32ELi8ELc67ELc78ELc85ELb1ELb0E19rocblas_complex_numIfES1_PKS1_PS1_EviT_T9_T10_S5_lS7_S5_lS6_T11_S5_li.has_indirect_call, 0
	.section	.AMDGPU.csdata,"",@progbits
; Kernel info:
; codeLenInByte = 3252
; TotalNumSgprs: 39
; NumVgprs: 60
; ScratchSize: 0
; MemoryBound: 0
; FloatMode: 240
; IeeeMode: 1
; LDSByteSize: 4096 bytes/workgroup (compile time only)
; SGPRBlocks: 0
; VGPRBlocks: 3
; NumSGPRsForWavesPerEU: 39
; NumVGPRsForWavesPerEU: 60
; NamedBarCnt: 0
; Occupancy: 16
; WaveLimiterHint : 0
; COMPUTE_PGM_RSRC2:SCRATCH_EN: 0
; COMPUTE_PGM_RSRC2:USER_SGPR: 2
; COMPUTE_PGM_RSRC2:TRAP_HANDLER: 0
; COMPUTE_PGM_RSRC2:TGID_X_EN: 1
; COMPUTE_PGM_RSRC2:TGID_Y_EN: 1
; COMPUTE_PGM_RSRC2:TGID_Z_EN: 1
; COMPUTE_PGM_RSRC2:TIDIG_COMP_CNT: 1
	.section	.text._ZL29rocblas_internal_gemmt_kernelIlLi16ELi32ELi8ELc67ELc84ELc85ELb1ELb0E19rocblas_complex_numIfES1_PKS1_PS1_EviT_T9_T10_S5_lS7_S5_lS6_T11_S5_li,"axG",@progbits,_ZL29rocblas_internal_gemmt_kernelIlLi16ELi32ELi8ELc67ELc84ELc85ELb1ELb0E19rocblas_complex_numIfES1_PKS1_PS1_EviT_T9_T10_S5_lS7_S5_lS6_T11_S5_li,comdat
	.globl	_ZL29rocblas_internal_gemmt_kernelIlLi16ELi32ELi8ELc67ELc84ELc85ELb1ELb0E19rocblas_complex_numIfES1_PKS1_PS1_EviT_T9_T10_S5_lS7_S5_lS6_T11_S5_li ; -- Begin function _ZL29rocblas_internal_gemmt_kernelIlLi16ELi32ELi8ELc67ELc84ELc85ELb1ELb0E19rocblas_complex_numIfES1_PKS1_PS1_EviT_T9_T10_S5_lS7_S5_lS6_T11_S5_li
	.p2align	8
	.type	_ZL29rocblas_internal_gemmt_kernelIlLi16ELi32ELi8ELc67ELc84ELc85ELb1ELb0E19rocblas_complex_numIfES1_PKS1_PS1_EviT_T9_T10_S5_lS7_S5_lS6_T11_S5_li,@function
_ZL29rocblas_internal_gemmt_kernelIlLi16ELi32ELi8ELc67ELc84ELc85ELb1ELb0E19rocblas_complex_numIfES1_PKS1_PS1_EviT_T9_T10_S5_lS7_S5_lS6_T11_S5_li: ; @_ZL29rocblas_internal_gemmt_kernelIlLi16ELi32ELi8ELc67ELc84ELc85ELb1ELb0E19rocblas_complex_numIfES1_PKS1_PS1_EviT_T9_T10_S5_lS7_S5_lS6_T11_S5_li
; %bb.0:
	s_clause 0x1
	s_load_b64 s[24:25], s[0:1], 0x48
	s_load_b128 s[12:15], s[0:1], 0x8
	s_wait_kmcnt 0x0
	s_cmp_neq_f32 s24, 1.0
	s_cselect_b32 s2, -1, 0
	s_and_b32 s4, s25, 0x7fffffff
	s_delay_alu instid0(SALU_CYCLE_1) | instskip(SKIP_3) | instid1(SALU_CYCLE_1)
	s_cmp_eq_u32 s4, 0
	s_cselect_b32 s3, -1, 0
	s_cmp_lg_u32 s4, 0
	s_cselect_b32 s4, -1, 0
	s_or_b32 s2, s2, s4
	s_delay_alu instid0(SALU_CYCLE_1)
	s_and_b32 vcc_lo, exec_lo, s2
	s_cbranch_vccnz .LBB241_2
; %bb.1:
	s_cmp_lg_u64 s[12:13], 0
	s_cselect_b32 s2, -1, 0
	s_cmp_neq_f32 s14, 0
	s_cselect_b32 s4, -1, 0
	s_cmp_neq_f32 s15, 0
	s_cselect_b32 s5, -1, 0
	s_delay_alu instid0(SALU_CYCLE_1) | instskip(NEXT) | instid1(SALU_CYCLE_1)
	s_or_b32 s4, s4, s5
	s_and_b32 s2, s2, s4
.LBB241_2:
	s_delay_alu instid0(SALU_CYCLE_1)
	s_and_not1_b32 vcc_lo, exec_lo, s2
	s_cbranch_vccnz .LBB241_38
; %bb.3:
	s_load_b32 s30, s[0:1], 0x68
	s_bfe_u32 s2, ttmp6, 0x40014
	s_lshr_b32 s4, ttmp7, 16
	s_add_co_i32 s2, s2, 1
	s_bfe_u32 s6, ttmp6, 0x40008
	s_mul_i32 s5, s4, s2
	s_getreg_b32 s2, hwreg(HW_REG_IB_STS2, 6, 4)
	s_add_co_i32 s6, s6, s5
	s_cmp_eq_u32 s2, 0
	s_mov_b32 s27, 0
	s_cselect_b32 s26, s4, s6
	s_wait_kmcnt 0x0
	s_cmp_ge_u32 s26, s30
	s_cbranch_scc1 .LBB241_38
; %bb.4:
	v_and_b32_e32 v7, 0x3ff, v0
	v_bfe_u32 v9, v0, 10, 10
	s_bfe_u32 s17, ttmp6, 0x4000c
	s_bfe_u32 s18, ttmp6, 0x40010
	s_add_co_i32 s17, s17, 1
	s_and_b32 s19, ttmp7, 0xffff
	s_add_co_i32 s18, s18, 1
	s_load_b256 s[4:11], s[0:1], 0x18
	v_lshl_add_u32 v8, v9, 4, v7
	s_and_b32 s16, ttmp6, 15
	s_mul_i32 s17, ttmp9, s17
	s_mul_i32 s18, s19, s18
	s_bfe_u32 s20, ttmp6, 0x40004
	s_add_co_i32 s16, s16, s17
	s_add_co_i32 s20, s20, s18
	s_cmp_eq_u32 s2, 0
	v_and_b32_e32 v10, 31, v8
	s_cselect_b32 s2, ttmp9, s16
	s_cselect_b32 s31, s19, s20
	s_lshl_b32 s2, s2, 5
	s_clause 0x3
	s_load_b32 s33, s[0:1], 0x0
	s_load_b64 s[28:29], s[0:1], 0x60
	s_load_b128 s[16:19], s[0:1], 0x38
	s_load_b128 s[20:23], s[0:1], 0x50
	v_dual_lshlrev_b32 v5, 3, v7 :: v_dual_bitop2_b32 v4, 7, v0 bitop3:0x40
	v_or_b32_e32 v2, s2, v10
	s_wait_xcnt 0x0
	s_lshl_b32 s0, s31, 5
	v_dual_lshrrev_b32 v6, 5, v8 :: v_dual_lshrrev_b32 v11, 3, v8
	v_dual_add_nc_u32 v8, s2, v7 :: v_dual_add_nc_u32 v20, s0, v9
	v_ashrrev_i32_e32 v3, 31, v2
	s_delay_alu instid0(VALU_DEP_3) | instskip(NEXT) | instid1(VALU_DEP_3)
	v_dual_lshlrev_b32 v7, 3, v10 :: v_dual_add_nc_u32 v14, s0, v11
	v_add_nc_u32_e32 v18, 16, v8
	s_delay_alu instid0(VALU_DEP_4)
	v_dual_add_nc_u32 v22, 16, v20 :: v_dual_ashrrev_i32 v21, 31, v20
	s_wait_kmcnt 0x0
	v_mul_u64_e32 v[0:1], s[6:7], v[2:3]
	v_lshlrev_b32_e32 v3, 3, v4
	s_cmp_neq_f32 s14, 0
	v_ashrrev_i32_e32 v23, 31, v22
	v_ashrrev_i32_e32 v15, 31, v14
	v_cmp_gt_i32_e32 vcc_lo, s33, v20
	v_lshl_or_b32 v3, v11, 6, v3
	v_mul_u64_e32 v[10:11], s[22:23], v[20:21]
	v_mul_u64_e32 v[12:13], s[22:23], v[22:23]
	s_cselect_b32 s2, -1, 0
	s_cmp_neq_f32 s15, 0
	v_cmp_gt_i64_e64 s6, s[12:13], 0
	v_cmp_gt_i32_e64 s1, s33, v14
	v_lshl_add_u32 v31, v9, 6, 0x800
	s_cselect_b32 s7, -1, 0
	v_ashrrev_i32_e32 v9, 31, v8
	s_or_b32 s7, s2, s7
	s_cmp_neq_f32 s24, 0
	v_cmp_le_i32_e64 s2, v8, v20
	v_lshl_add_u64 v[14:15], v[14:15], 3, s[10:11]
	v_cmp_gt_i32_e64 s0, s33, v2
	v_cmp_le_i32_e64 s31, s33, v2
	v_lshl_or_b32 v7, v6, 8, v7
	v_add_nc_u32_e32 v29, 0x800, v3
	v_dual_ashrrev_i32 v19, 31, v18 :: v_dual_mov_b32 v21, 0
	v_lshl_add_u64 v[16:17], v[0:1], 3, s[4:5]
	s_cselect_b32 s4, -1, 0
	s_xor_b32 s3, s3, -1
	s_and_b32 s11, vcc_lo, s2
	s_or_b32 s10, s4, s3
	v_cmp_le_i32_e64 s2, v18, v20
	v_cmp_gt_i32_e64 s3, s33, v22
	v_cmp_le_i32_e64 s4, v8, v22
	v_cmp_le_i32_e64 s5, v18, v22
	s_and_b32 s34, s7, s6
	s_and_b32 s22, vcc_lo, s2
	s_mov_b32 s2, s24
	s_and_b32 s23, s3, s4
	s_and_b32 s33, s3, s5
	s_mov_b32 s3, s24
	s_mov_b32 s24, s25
	;; [unrolled: 1-line block ×4, first 2 shown]
                                        ; implicit-def: $vgpr22_vgpr23
	s_branch .LBB241_6
.LBB241_5:                              ;   in Loop: Header=BB241_6 Depth=1
	s_wait_xcnt 0x0
	s_or_b32 exec_lo, exec_lo, s6
	s_add_co_i32 s26, s26, 0x10000
	s_delay_alu instid0(SALU_CYCLE_1)
	s_cmp_lt_u32 s26, s30
	s_cbranch_scc0 .LBB241_38
.LBB241_6:                              ; =>This Loop Header: Depth=1
                                        ;     Child Loop BB241_9 Depth 2
	s_and_not1_b32 vcc_lo, exec_lo, s34
	s_cbranch_vccnz .LBB241_17
; %bb.7:                                ;   in Loop: Header=BB241_6 Depth=1
	s_mul_u64 s[6:7], s[8:9], s[26:27]
	s_mul_u64 s[36:37], s[18:19], s[26:27]
	v_lshl_add_u64 v[24:25], s[6:7], 3, v[16:17]
	v_lshl_add_u64 v[26:27], s[36:37], 3, v[14:15]
	v_dual_mov_b32 v30, 0 :: v_dual_mov_b32 v28, 0
	v_dual_mov_b32 v34, 0 :: v_dual_mov_b32 v32, 0
	;; [unrolled: 1-line block ×4, first 2 shown]
	s_mov_b64 s[6:7], 0
	s_branch .LBB241_9
.LBB241_8:                              ;   in Loop: Header=BB241_9 Depth=2
	s_wait_xcnt 0x0
	s_or_b32 exec_lo, exec_lo, s35
	s_wait_loadcnt 0x0
	ds_store_b64 v29, v[0:1]
	s_wait_dscnt 0x0
	s_barrier_signal -1
	s_barrier_wait -1
	ds_load_b128 v[44:47], v31
	ds_load_b128 v[48:51], v31 offset:16
	ds_load_b128 v[52:55], v31 offset:32
	;; [unrolled: 1-line block ×3, first 2 shown]
	ds_load_2addr_b64 v[56:59], v5 offset1:16
	s_add_nc_u64 s[6:7], s[6:7], 8
	s_delay_alu instid0(SALU_CYCLE_1) | instskip(SKIP_3) | instid1(VALU_DEP_1)
	v_cmp_gt_i64_e64 s35, s[12:13], s[6:7]
	s_and_b32 vcc_lo, exec_lo, s35
	s_wait_dscnt 0x0
	v_dual_mul_f32 v20, v45, v57 :: v_dual_mul_f32 v33, v44, v57
	v_dual_mul_f32 v35, v44, v59 :: v_dual_fma_f32 v20, v44, v56, -v20
	s_delay_alu instid0(VALU_DEP_1) | instskip(NEXT) | instid1(VALU_DEP_1)
	v_dual_fmac_f32 v33, v45, v56 :: v_dual_fmac_f32 v35, v45, v58
	v_dual_add_f32 v20, v40, v20 :: v_dual_add_f32 v40, v42, v33
	v_mul_f32_e32 v33, v45, v59
	s_delay_alu instid0(VALU_DEP_1) | instskip(NEXT) | instid1(VALU_DEP_1)
	v_dual_add_f32 v42, v38, v35 :: v_dual_fma_f32 v33, v44, v58, -v33
	v_add_f32_e32 v41, v36, v33
	ds_load_b128 v[36:39], v31 offset:1024
	s_wait_dscnt 0x0
	v_dual_mul_f32 v33, v37, v57 :: v_dual_mul_f32 v35, v36, v57
	s_delay_alu instid0(VALU_DEP_1) | instskip(NEXT) | instid1(VALU_DEP_1)
	v_dual_fma_f32 v33, v36, v56, -v33 :: v_dual_fmac_f32 v35, v37, v56
	v_dual_add_f32 v43, v32, v33 :: v_dual_add_f32 v44, v34, v35
	v_dual_mul_f32 v32, v37, v59 :: v_dual_mul_f32 v33, v36, v59
	s_delay_alu instid0(VALU_DEP_1) | instskip(NEXT) | instid1(VALU_DEP_1)
	v_dual_fma_f32 v32, v36, v58, -v32 :: v_dual_fmac_f32 v33, v37, v58
	v_dual_add_f32 v28, v28, v32 :: v_dual_add_f32 v30, v30, v33
	ds_load_2addr_b64 v[32:35], v5 offset0:32 offset1:48
	s_wait_dscnt 0x0
	v_dual_mul_f32 v36, v47, v33 :: v_dual_mul_f32 v37, v46, v33
	s_delay_alu instid0(VALU_DEP_1) | instskip(NEXT) | instid1(VALU_DEP_1)
	v_dual_fma_f32 v36, v46, v32, -v36 :: v_dual_fmac_f32 v37, v47, v32
	v_add_f32_e32 v20, v20, v36
	s_delay_alu instid0(VALU_DEP_2) | instskip(NEXT) | instid1(VALU_DEP_1)
	v_dual_add_f32 v36, v40, v37 :: v_dual_mul_f32 v37, v47, v35
	v_dual_fma_f32 v37, v46, v34, -v37 :: v_dual_mul_f32 v40, v46, v35
	s_delay_alu instid0(VALU_DEP_1) | instskip(SKIP_1) | instid1(VALU_DEP_1)
	v_add_f32_e32 v37, v41, v37
	v_dual_mul_f32 v41, v39, v33 :: v_dual_mul_f32 v33, v38, v33
	v_dual_fmac_f32 v40, v47, v34 :: v_dual_fma_f32 v41, v38, v32, -v41
	s_delay_alu instid0(VALU_DEP_2) | instskip(NEXT) | instid1(VALU_DEP_2)
	v_dual_fmac_f32 v33, v39, v32 :: v_dual_mul_f32 v32, v39, v35
	v_dual_add_f32 v40, v42, v40 :: v_dual_add_f32 v41, v43, v41
	s_delay_alu instid0(VALU_DEP_2) | instskip(NEXT) | instid1(VALU_DEP_1)
	v_dual_add_f32 v42, v44, v33 :: v_dual_fma_f32 v32, v38, v34, -v32
	v_dual_mul_f32 v33, v38, v35 :: v_dual_add_f32 v28, v28, v32
	s_delay_alu instid0(VALU_DEP_1) | instskip(NEXT) | instid1(VALU_DEP_1)
	v_fmac_f32_e32 v33, v39, v34
	v_add_f32_e32 v30, v30, v33
	ds_load_2addr_b64 v[32:35], v5 offset0:64 offset1:80
	s_wait_dscnt 0x0
	v_dual_mul_f32 v38, v49, v33 :: v_dual_mul_f32 v39, v48, v33
	s_delay_alu instid0(VALU_DEP_1) | instskip(NEXT) | instid1(VALU_DEP_1)
	v_dual_fma_f32 v38, v48, v32, -v38 :: v_dual_fmac_f32 v39, v49, v32
	v_add_f32_e32 v20, v20, v38
	v_mul_f32_e32 v38, v48, v35
	s_delay_alu instid0(VALU_DEP_3) | instskip(SKIP_1) | instid1(VALU_DEP_1)
	v_add_f32_e32 v43, v36, v39
	v_mul_f32_e32 v36, v49, v35
	v_fma_f32 v36, v48, v34, -v36
	s_delay_alu instid0(VALU_DEP_1) | instskip(SKIP_1) | instid1(VALU_DEP_1)
	v_add_f32_e32 v44, v37, v36
	v_fmac_f32_e32 v38, v49, v34
	v_add_f32_e32 v40, v40, v38
	ds_load_b128 v[36:39], v31 offset:1040
	s_wait_dscnt 0x0
	v_dual_mul_f32 v45, v37, v33 :: v_dual_mul_f32 v33, v36, v33
	s_delay_alu instid0(VALU_DEP_1) | instskip(NEXT) | instid1(VALU_DEP_2)
	v_fma_f32 v45, v36, v32, -v45
	v_dual_fmac_f32 v33, v37, v32 :: v_dual_mul_f32 v32, v37, v35
	s_delay_alu instid0(VALU_DEP_2) | instskip(NEXT) | instid1(VALU_DEP_2)
	v_add_f32_e32 v41, v41, v45
	v_dual_add_f32 v42, v42, v33 :: v_dual_mul_f32 v33, v36, v35
	s_delay_alu instid0(VALU_DEP_1) | instskip(NEXT) | instid1(VALU_DEP_1)
	v_dual_fma_f32 v32, v36, v34, -v32 :: v_dual_fmac_f32 v33, v37, v34
	v_dual_add_f32 v28, v28, v32 :: v_dual_add_f32 v30, v30, v33
	ds_load_2addr_b64 v[32:35], v5 offset0:96 offset1:112
	s_wait_dscnt 0x0
	v_mul_f32_e32 v36, v51, v33
	s_delay_alu instid0(VALU_DEP_1) | instskip(NEXT) | instid1(VALU_DEP_1)
	v_dual_fma_f32 v36, v50, v32, -v36 :: v_dual_mul_f32 v37, v50, v33
	v_add_f32_e32 v20, v20, v36
	s_delay_alu instid0(VALU_DEP_2) | instskip(NEXT) | instid1(VALU_DEP_1)
	v_fmac_f32_e32 v37, v51, v32
	v_dual_add_f32 v36, v43, v37 :: v_dual_mul_f32 v43, v50, v35
	s_delay_alu instid0(VALU_DEP_1) | instskip(NEXT) | instid1(VALU_DEP_1)
	v_dual_mul_f32 v37, v51, v35 :: v_dual_fmac_f32 v43, v51, v34
	v_dual_fma_f32 v37, v50, v34, -v37 :: v_dual_add_f32 v40, v40, v43
	v_mul_f32_e32 v43, v39, v33
	s_delay_alu instid0(VALU_DEP_1) | instskip(NEXT) | instid1(VALU_DEP_1)
	v_dual_add_f32 v37, v44, v37 :: v_dual_fma_f32 v43, v38, v32, -v43
	v_dual_mul_f32 v33, v38, v33 :: v_dual_add_f32 v41, v41, v43
	s_delay_alu instid0(VALU_DEP_1) | instskip(NEXT) | instid1(VALU_DEP_1)
	v_dual_fmac_f32 v33, v39, v32 :: v_dual_mul_f32 v32, v39, v35
	v_add_f32_e32 v42, v42, v33
	s_delay_alu instid0(VALU_DEP_2) | instskip(NEXT) | instid1(VALU_DEP_1)
	v_dual_fma_f32 v32, v38, v34, -v32 :: v_dual_mul_f32 v33, v38, v35
	v_dual_fmac_f32 v33, v39, v34 :: v_dual_add_f32 v28, v28, v32
	s_delay_alu instid0(VALU_DEP_1) | instskip(SKIP_3) | instid1(VALU_DEP_1)
	v_add_f32_e32 v30, v30, v33
	ds_load_2addr_b64 v[32:35], v5 offset0:128 offset1:144
	s_wait_dscnt 0x0
	v_dual_mul_f32 v38, v53, v33 :: v_dual_mul_f32 v39, v52, v33
	v_dual_fma_f32 v38, v52, v32, -v38 :: v_dual_fmac_f32 v39, v53, v32
	s_delay_alu instid0(VALU_DEP_1) | instskip(SKIP_1) | instid1(VALU_DEP_3)
	v_add_f32_e32 v20, v20, v38
	v_mul_f32_e32 v38, v52, v35
	v_add_f32_e32 v43, v36, v39
	v_mul_f32_e32 v36, v53, v35
	s_delay_alu instid0(VALU_DEP_1) | instskip(NEXT) | instid1(VALU_DEP_1)
	v_fma_f32 v36, v52, v34, -v36
	v_add_f32_e32 v44, v37, v36
	v_fmac_f32_e32 v38, v53, v34
	s_delay_alu instid0(VALU_DEP_1) | instskip(SKIP_3) | instid1(VALU_DEP_1)
	v_add_f32_e32 v40, v40, v38
	ds_load_b128 v[36:39], v31 offset:1056
	s_wait_dscnt 0x0
	v_dual_mul_f32 v45, v37, v33 :: v_dual_mul_f32 v33, v36, v33
	v_fma_f32 v45, v36, v32, -v45
	s_delay_alu instid0(VALU_DEP_2) | instskip(NEXT) | instid1(VALU_DEP_2)
	v_dual_fmac_f32 v33, v37, v32 :: v_dual_mul_f32 v32, v37, v35
	v_add_f32_e32 v41, v41, v45
	s_delay_alu instid0(VALU_DEP_2) | instskip(NEXT) | instid1(VALU_DEP_1)
	v_dual_add_f32 v42, v42, v33 :: v_dual_mul_f32 v33, v36, v35
	v_dual_fma_f32 v32, v36, v34, -v32 :: v_dual_fmac_f32 v33, v37, v34
	s_delay_alu instid0(VALU_DEP_1) | instskip(SKIP_3) | instid1(VALU_DEP_1)
	v_dual_add_f32 v28, v28, v32 :: v_dual_add_f32 v30, v30, v33
	ds_load_2addr_b64 v[32:35], v5 offset0:160 offset1:176
	s_wait_dscnt 0x0
	v_mul_f32_e32 v36, v55, v33
	v_dual_fma_f32 v36, v54, v32, -v36 :: v_dual_mul_f32 v37, v54, v33
	s_delay_alu instid0(VALU_DEP_1) | instskip(NEXT) | instid1(VALU_DEP_2)
	v_add_f32_e32 v20, v20, v36
	v_fmac_f32_e32 v37, v55, v32
	s_delay_alu instid0(VALU_DEP_1) | instskip(NEXT) | instid1(VALU_DEP_1)
	v_dual_add_f32 v36, v43, v37 :: v_dual_mul_f32 v43, v54, v35
	v_dual_mul_f32 v37, v55, v35 :: v_dual_fmac_f32 v43, v55, v34
	s_delay_alu instid0(VALU_DEP_1) | instskip(SKIP_1) | instid1(VALU_DEP_1)
	v_dual_fma_f32 v37, v54, v34, -v37 :: v_dual_add_f32 v40, v40, v43
	v_mul_f32_e32 v43, v39, v33
	v_dual_add_f32 v37, v44, v37 :: v_dual_fma_f32 v43, v38, v32, -v43
	s_delay_alu instid0(VALU_DEP_1) | instskip(NEXT) | instid1(VALU_DEP_1)
	v_dual_mul_f32 v33, v38, v33 :: v_dual_add_f32 v41, v41, v43
	v_dual_fmac_f32 v33, v39, v32 :: v_dual_mul_f32 v32, v39, v35
	s_delay_alu instid0(VALU_DEP_1) | instskip(NEXT) | instid1(VALU_DEP_2)
	v_add_f32_e32 v46, v42, v33
	v_dual_fma_f32 v32, v38, v34, -v32 :: v_dual_mul_f32 v33, v38, v35
	ds_load_b128 v[42:45], v31 offset:1072
	v_dual_fmac_f32 v33, v39, v34 :: v_dual_add_f32 v28, v28, v32
	s_delay_alu instid0(VALU_DEP_1) | instskip(SKIP_3) | instid1(VALU_DEP_1)
	v_add_f32_e32 v30, v30, v33
	ds_load_2addr_b64 v[32:35], v5 offset0:192 offset1:208
	s_wait_dscnt 0x0
	v_dual_mul_f32 v38, v1, v33 :: v_dual_mul_f32 v39, v0, v33
	v_dual_fma_f32 v38, v0, v32, -v38 :: v_dual_fmac_f32 v39, v1, v32
	s_delay_alu instid0(VALU_DEP_1) | instskip(NEXT) | instid1(VALU_DEP_1)
	v_dual_add_f32 v20, v20, v38 :: v_dual_mul_f32 v38, v1, v35
	v_dual_fma_f32 v38, v0, v34, -v38 :: v_dual_mul_f32 v0, v0, v35
	s_delay_alu instid0(VALU_DEP_1) | instskip(NEXT) | instid1(VALU_DEP_2)
	v_dual_add_f32 v36, v36, v39 :: v_dual_fmac_f32 v0, v1, v34
	v_dual_add_f32 v1, v37, v38 :: v_dual_mul_f32 v37, v43, v33
	s_delay_alu instid0(VALU_DEP_2) | instskip(NEXT) | instid1(VALU_DEP_2)
	v_dual_mul_f32 v33, v42, v33 :: v_dual_add_f32 v0, v40, v0
	v_fma_f32 v37, v42, v32, -v37
	s_delay_alu instid0(VALU_DEP_1) | instskip(NEXT) | instid1(VALU_DEP_1)
	v_dual_fmac_f32 v33, v43, v32 :: v_dual_add_f32 v32, v41, v37
	v_dual_add_f32 v33, v46, v33 :: v_dual_mul_f32 v37, v43, v35
	ds_load_2addr_b64 v[46:49], v5 offset0:224 offset1:240
	v_mul_f32_e32 v35, v42, v35
	s_wait_dscnt 0x0
	s_barrier_signal -1
	v_fma_f32 v37, v42, v34, -v37
	s_barrier_wait -1
	v_fmac_f32_e32 v35, v43, v34
	s_delay_alu instid0(VALU_DEP_1) | instskip(SKIP_1) | instid1(VALU_DEP_1)
	v_dual_add_f32 v28, v28, v37 :: v_dual_add_f32 v30, v30, v35
	v_dual_mul_f32 v34, v3, v47 :: v_dual_mul_f32 v35, v2, v47
	v_dual_fma_f32 v34, v2, v46, -v34 :: v_dual_fmac_f32 v35, v3, v46
	s_delay_alu instid0(VALU_DEP_1) | instskip(NEXT) | instid1(VALU_DEP_1)
	v_dual_add_f32 v40, v20, v34 :: v_dual_mul_f32 v20, v3, v49
	v_dual_add_f32 v42, v36, v35 :: v_dual_fma_f32 v20, v2, v48, -v20
	s_delay_alu instid0(VALU_DEP_1) | instskip(NEXT) | instid1(VALU_DEP_1)
	v_dual_mul_f32 v2, v2, v49 :: v_dual_add_f32 v36, v1, v20
	v_dual_fmac_f32 v2, v3, v48 :: v_dual_mul_f32 v1, v44, v47
	s_delay_alu instid0(VALU_DEP_1) | instskip(NEXT) | instid1(VALU_DEP_2)
	v_fmac_f32_e32 v1, v45, v46
	v_dual_add_f32 v38, v0, v2 :: v_dual_mul_f32 v0, v45, v47
	s_delay_alu instid0(VALU_DEP_2) | instskip(NEXT) | instid1(VALU_DEP_2)
	v_add_f32_e32 v34, v33, v1
	v_dual_mul_f32 v1, v44, v49 :: v_dual_fma_f32 v0, v44, v46, -v0
	s_delay_alu instid0(VALU_DEP_1) | instskip(NEXT) | instid1(VALU_DEP_2)
	v_fmac_f32_e32 v1, v45, v48
	v_dual_add_f32 v32, v32, v0 :: v_dual_mul_f32 v0, v45, v49
	s_delay_alu instid0(VALU_DEP_1) | instskip(NEXT) | instid1(VALU_DEP_1)
	v_dual_add_f32 v30, v30, v1 :: v_dual_fma_f32 v0, v44, v48, -v0
	v_add_f32_e32 v28, v28, v0
	s_cbranch_vccz .LBB241_18
.LBB241_9:                              ;   Parent Loop BB241_6 Depth=1
                                        ; =>  This Inner Loop Header: Depth=2
	s_mov_b32 s35, 0
	s_mov_b32 s37, s31
	s_and_saveexec_b32 s36, s0
; %bb.10:                               ;   in Loop: Header=BB241_9 Depth=2
	v_add_nc_u32_e32 v20, s6, v6
	s_and_not1_b32 s37, s31, exec_lo
	s_mov_b32 s35, exec_lo
	s_delay_alu instid0(VALU_DEP_1) | instskip(SKIP_2) | instid1(SALU_CYCLE_1)
	v_cmp_le_u64_e32 vcc_lo, s[12:13], v[20:21]
	v_mov_b64_e32 v[22:23], v[20:21]
	s_and_b32 s38, vcc_lo, exec_lo
	s_or_b32 s37, s37, s38
; %bb.11:                               ;   in Loop: Header=BB241_9 Depth=2
	s_or_b32 exec_lo, exec_lo, s36
	s_and_saveexec_b32 s36, s37
	s_delay_alu instid0(SALU_CYCLE_1)
	s_xor_b32 s36, exec_lo, s36
; %bb.12:                               ;   in Loop: Header=BB241_9 Depth=2
	s_and_not1_b32 s35, s35, exec_lo
	ds_store_b32 v7, v21
; %bb.13:                               ;   in Loop: Header=BB241_9 Depth=2
	s_or_b32 exec_lo, exec_lo, s36
	v_dual_mov_b32 v0, 0 :: v_dual_mov_b32 v2, 0
	s_and_saveexec_b32 s36, s35
	s_cbranch_execz .LBB241_15
; %bb.14:                               ;   in Loop: Header=BB241_9 Depth=2
	v_lshl_add_u64 v[2:3], v[22:23], 3, v[24:25]
	global_load_b64 v[44:45], v[2:3], off
	s_wait_loadcnt 0x0
	s_wait_xcnt 0x0
	v_xor_b32_e32 v2, 0x80000000, v45
	ds_store_b32 v7, v44
.LBB241_15:                             ;   in Loop: Header=BB241_9 Depth=2
	s_or_b32 exec_lo, exec_lo, s36
	v_dual_mov_b32 v1, 0 :: v_dual_add_nc_u32 v20, s6, v4
	ds_store_b32 v7, v2 offset:4
	v_cmp_gt_u64_e32 vcc_lo, s[12:13], v[20:21]
	s_and_b32 s36, vcc_lo, s1
	s_delay_alu instid0(SALU_CYCLE_1)
	s_and_saveexec_b32 s35, s36
	s_cbranch_execz .LBB241_8
; %bb.16:                               ;   in Loop: Header=BB241_9 Depth=2
	v_mul_u64_e32 v[0:1], s[16:17], v[20:21]
	s_delay_alu instid0(VALU_DEP_1)
	v_lshl_add_u64 v[0:1], v[0:1], 3, v[26:27]
	global_load_b64 v[0:1], v[0:1], off
	s_branch .LBB241_8
.LBB241_17:                             ;   in Loop: Header=BB241_6 Depth=1
	v_dual_mov_b32 v40, v21 :: v_dual_mov_b32 v42, v21
	v_dual_mov_b32 v36, v21 :: v_dual_mov_b32 v38, v21
	;; [unrolled: 1-line block ×4, first 2 shown]
.LBB241_18:                             ;   in Loop: Header=BB241_6 Depth=1
	s_mul_u64 s[6:7], s[28:29], s[26:27]
	s_delay_alu instid0(SALU_CYCLE_1) | instskip(NEXT) | instid1(SALU_CYCLE_1)
	s_lshl_b64 s[6:7], s[6:7], 3
	s_add_nc_u64 s[6:7], s[20:21], s[6:7]
	s_delay_alu instid0(SALU_CYCLE_1)
	v_lshl_add_u64 v[0:1], v[10:11], 3, s[6:7]
	s_and_saveexec_b32 s35, s11
	s_cbranch_execz .LBB241_23
; %bb.19:                               ;   in Loop: Header=BB241_6 Depth=1
	v_mov_b64_e32 v[2:3], s[4:5]
	v_mov_b64_e32 v[24:25], s[14:15]
	s_and_b32 vcc_lo, exec_lo, s10
	s_mov_b32 s36, -1
	s_delay_alu instid0(VALU_DEP_2) | instskip(NEXT) | instid1(VALU_DEP_1)
	v_pk_mul_f32 v[2:3], v[42:43], v[2:3] op_sel_hi:[0,1]
	v_pk_fma_f32 v[26:27], v[40:41], v[24:25], v[2:3] op_sel_hi:[0,1,1]
	v_pk_fma_f32 v[2:3], v[40:41], v[24:25], v[2:3] neg_lo:[0,0,1] neg_hi:[0,0,1]
	v_lshl_add_u64 v[24:25], v[8:9], 3, v[0:1]
	s_delay_alu instid0(VALU_DEP_3)
	v_mov_b32_e32 v3, v27
	s_cbranch_vccz .LBB241_21
; %bb.20:                               ;   in Loop: Header=BB241_6 Depth=1
	global_load_b64 v[26:27], v[24:25], off
	v_mov_b64_e32 v[40:41], s[24:25]
	v_mov_b64_e32 v[42:43], s[2:3]
	s_mov_b32 s36, 0
	s_wait_loadcnt 0x0
	s_delay_alu instid0(VALU_DEP_2) | instskip(NEXT) | instid1(VALU_DEP_1)
	v_pk_mul_f32 v[40:41], v[26:27], v[40:41]
	v_pk_fma_f32 v[44:45], v[26:27], v[42:43], v[40:41] op_sel:[0,0,1] op_sel_hi:[1,1,0]
	v_pk_fma_f32 v[26:27], v[26:27], v[42:43], v[40:41] op_sel:[0,0,1] op_sel_hi:[1,1,0] neg_lo:[0,0,1] neg_hi:[0,0,1]
	s_delay_alu instid0(VALU_DEP_2) | instskip(NEXT) | instid1(VALU_DEP_1)
	v_mov_b32_e32 v27, v45
	v_pk_add_f32 v[26:27], v[2:3], v[26:27]
	global_store_b64 v[24:25], v[26:27], off
.LBB241_21:                             ;   in Loop: Header=BB241_6 Depth=1
	s_and_not1_b32 vcc_lo, exec_lo, s36
	s_cbranch_vccnz .LBB241_23
; %bb.22:                               ;   in Loop: Header=BB241_6 Depth=1
	global_store_b64 v[24:25], v[2:3], off
.LBB241_23:                             ;   in Loop: Header=BB241_6 Depth=1
	s_wait_xcnt 0x0
	s_or_b32 exec_lo, exec_lo, s35
	s_and_saveexec_b32 s35, s22
	s_cbranch_execz .LBB241_28
; %bb.24:                               ;   in Loop: Header=BB241_6 Depth=1
	v_mov_b64_e32 v[2:3], s[4:5]
	v_mov_b64_e32 v[24:25], s[14:15]
	v_lshl_add_u64 v[0:1], v[18:19], 3, v[0:1]
	s_and_not1_b32 vcc_lo, exec_lo, s10
	s_mov_b32 s36, -1
	s_delay_alu instid0(VALU_DEP_3) | instskip(NEXT) | instid1(VALU_DEP_1)
	v_pk_mul_f32 v[2:3], v[38:39], v[2:3] op_sel_hi:[0,1]
	v_pk_fma_f32 v[26:27], v[36:37], v[24:25], v[2:3] op_sel_hi:[0,1,1]
	v_pk_fma_f32 v[2:3], v[36:37], v[24:25], v[2:3] neg_lo:[0,0,1] neg_hi:[0,0,1]
	s_delay_alu instid0(VALU_DEP_2)
	v_mov_b32_e32 v3, v27
	s_cbranch_vccnz .LBB241_26
; %bb.25:                               ;   in Loop: Header=BB241_6 Depth=1
	global_load_b64 v[24:25], v[0:1], off
	v_mov_b64_e32 v[26:27], s[24:25]
	v_mov_b64_e32 v[36:37], s[2:3]
	s_mov_b32 s36, 0
	s_wait_loadcnt 0x0
	s_delay_alu instid0(VALU_DEP_2) | instskip(NEXT) | instid1(VALU_DEP_1)
	v_pk_mul_f32 v[26:27], v[24:25], v[26:27]
	v_pk_fma_f32 v[38:39], v[24:25], v[36:37], v[26:27] op_sel:[0,0,1] op_sel_hi:[1,1,0]
	v_pk_fma_f32 v[24:25], v[24:25], v[36:37], v[26:27] op_sel:[0,0,1] op_sel_hi:[1,1,0] neg_lo:[0,0,1] neg_hi:[0,0,1]
	s_delay_alu instid0(VALU_DEP_2) | instskip(NEXT) | instid1(VALU_DEP_1)
	v_mov_b32_e32 v25, v39
	v_pk_add_f32 v[24:25], v[2:3], v[24:25]
	global_store_b64 v[0:1], v[24:25], off
.LBB241_26:                             ;   in Loop: Header=BB241_6 Depth=1
	s_and_not1_b32 vcc_lo, exec_lo, s36
	s_cbranch_vccnz .LBB241_28
; %bb.27:                               ;   in Loop: Header=BB241_6 Depth=1
	global_store_b64 v[0:1], v[2:3], off
.LBB241_28:                             ;   in Loop: Header=BB241_6 Depth=1
	s_wait_xcnt 0x0
	s_or_b32 exec_lo, exec_lo, s35
	v_lshl_add_u64 v[0:1], v[12:13], 3, s[6:7]
	s_and_saveexec_b32 s6, s23
	s_cbranch_execz .LBB241_33
; %bb.29:                               ;   in Loop: Header=BB241_6 Depth=1
	v_mov_b64_e32 v[2:3], s[4:5]
	v_mov_b64_e32 v[24:25], s[14:15]
	s_and_not1_b32 vcc_lo, exec_lo, s10
	s_mov_b32 s7, -1
	s_delay_alu instid0(VALU_DEP_2) | instskip(NEXT) | instid1(VALU_DEP_1)
	v_pk_mul_f32 v[2:3], v[34:35], v[2:3] op_sel_hi:[0,1]
	v_pk_fma_f32 v[26:27], v[32:33], v[24:25], v[2:3] op_sel_hi:[0,1,1]
	v_pk_fma_f32 v[2:3], v[32:33], v[24:25], v[2:3] neg_lo:[0,0,1] neg_hi:[0,0,1]
	v_lshl_add_u64 v[24:25], v[8:9], 3, v[0:1]
	s_delay_alu instid0(VALU_DEP_3)
	v_mov_b32_e32 v3, v27
	s_cbranch_vccnz .LBB241_31
; %bb.30:                               ;   in Loop: Header=BB241_6 Depth=1
	global_load_b64 v[26:27], v[24:25], off
	v_mov_b64_e32 v[32:33], s[24:25]
	v_mov_b64_e32 v[34:35], s[2:3]
	s_mov_b32 s7, 0
	s_wait_loadcnt 0x0
	s_delay_alu instid0(VALU_DEP_2) | instskip(NEXT) | instid1(VALU_DEP_1)
	v_pk_mul_f32 v[32:33], v[26:27], v[32:33]
	v_pk_fma_f32 v[36:37], v[26:27], v[34:35], v[32:33] op_sel:[0,0,1] op_sel_hi:[1,1,0]
	v_pk_fma_f32 v[26:27], v[26:27], v[34:35], v[32:33] op_sel:[0,0,1] op_sel_hi:[1,1,0] neg_lo:[0,0,1] neg_hi:[0,0,1]
	s_delay_alu instid0(VALU_DEP_2) | instskip(NEXT) | instid1(VALU_DEP_1)
	v_mov_b32_e32 v27, v37
	v_pk_add_f32 v[26:27], v[2:3], v[26:27]
	global_store_b64 v[24:25], v[26:27], off
.LBB241_31:                             ;   in Loop: Header=BB241_6 Depth=1
	s_and_not1_b32 vcc_lo, exec_lo, s7
	s_cbranch_vccnz .LBB241_33
; %bb.32:                               ;   in Loop: Header=BB241_6 Depth=1
	global_store_b64 v[24:25], v[2:3], off
.LBB241_33:                             ;   in Loop: Header=BB241_6 Depth=1
	s_wait_xcnt 0x0
	s_or_b32 exec_lo, exec_lo, s6
	s_and_saveexec_b32 s6, s33
	s_cbranch_execz .LBB241_5
; %bb.34:                               ;   in Loop: Header=BB241_6 Depth=1
	v_mov_b64_e32 v[2:3], s[4:5]
	v_mov_b64_e32 v[24:25], s[14:15]
	v_lshl_add_u64 v[0:1], v[18:19], 3, v[0:1]
	s_and_not1_b32 vcc_lo, exec_lo, s10
	s_mov_b32 s7, -1
	s_delay_alu instid0(VALU_DEP_3) | instskip(NEXT) | instid1(VALU_DEP_1)
	v_pk_mul_f32 v[2:3], v[30:31], v[2:3] op_sel_hi:[0,1]
	v_pk_fma_f32 v[26:27], v[28:29], v[24:25], v[2:3] op_sel_hi:[0,1,1]
	v_pk_fma_f32 v[2:3], v[28:29], v[24:25], v[2:3] neg_lo:[0,0,1] neg_hi:[0,0,1]
	s_delay_alu instid0(VALU_DEP_2)
	v_mov_b32_e32 v3, v27
	s_cbranch_vccnz .LBB241_36
; %bb.35:                               ;   in Loop: Header=BB241_6 Depth=1
	global_load_b64 v[24:25], v[0:1], off
	v_mov_b64_e32 v[26:27], s[24:25]
	v_mov_b64_e32 v[32:33], s[2:3]
	s_mov_b32 s7, 0
	s_wait_loadcnt 0x0
	s_delay_alu instid0(VALU_DEP_2) | instskip(NEXT) | instid1(VALU_DEP_1)
	v_pk_mul_f32 v[26:27], v[24:25], v[26:27]
	v_pk_fma_f32 v[34:35], v[24:25], v[32:33], v[26:27] op_sel:[0,0,1] op_sel_hi:[1,1,0]
	v_pk_fma_f32 v[24:25], v[24:25], v[32:33], v[26:27] op_sel:[0,0,1] op_sel_hi:[1,1,0] neg_lo:[0,0,1] neg_hi:[0,0,1]
	s_delay_alu instid0(VALU_DEP_2) | instskip(NEXT) | instid1(VALU_DEP_1)
	v_mov_b32_e32 v25, v35
	v_pk_add_f32 v[24:25], v[2:3], v[24:25]
	global_store_b64 v[0:1], v[24:25], off
.LBB241_36:                             ;   in Loop: Header=BB241_6 Depth=1
	s_and_not1_b32 vcc_lo, exec_lo, s7
	s_cbranch_vccnz .LBB241_5
; %bb.37:                               ;   in Loop: Header=BB241_6 Depth=1
	global_store_b64 v[0:1], v[2:3], off
	s_branch .LBB241_5
.LBB241_38:
	s_endpgm
	.section	.rodata,"a",@progbits
	.p2align	6, 0x0
	.amdhsa_kernel _ZL29rocblas_internal_gemmt_kernelIlLi16ELi32ELi8ELc67ELc84ELc85ELb1ELb0E19rocblas_complex_numIfES1_PKS1_PS1_EviT_T9_T10_S5_lS7_S5_lS6_T11_S5_li
		.amdhsa_group_segment_fixed_size 4096
		.amdhsa_private_segment_fixed_size 0
		.amdhsa_kernarg_size 108
		.amdhsa_user_sgpr_count 2
		.amdhsa_user_sgpr_dispatch_ptr 0
		.amdhsa_user_sgpr_queue_ptr 0
		.amdhsa_user_sgpr_kernarg_segment_ptr 1
		.amdhsa_user_sgpr_dispatch_id 0
		.amdhsa_user_sgpr_kernarg_preload_length 0
		.amdhsa_user_sgpr_kernarg_preload_offset 0
		.amdhsa_user_sgpr_private_segment_size 0
		.amdhsa_wavefront_size32 1
		.amdhsa_uses_dynamic_stack 0
		.amdhsa_enable_private_segment 0
		.amdhsa_system_sgpr_workgroup_id_x 1
		.amdhsa_system_sgpr_workgroup_id_y 1
		.amdhsa_system_sgpr_workgroup_id_z 1
		.amdhsa_system_sgpr_workgroup_info 0
		.amdhsa_system_vgpr_workitem_id 1
		.amdhsa_next_free_vgpr 60
		.amdhsa_next_free_sgpr 39
		.amdhsa_named_barrier_count 0
		.amdhsa_reserve_vcc 1
		.amdhsa_float_round_mode_32 0
		.amdhsa_float_round_mode_16_64 0
		.amdhsa_float_denorm_mode_32 3
		.amdhsa_float_denorm_mode_16_64 3
		.amdhsa_fp16_overflow 0
		.amdhsa_memory_ordered 1
		.amdhsa_forward_progress 1
		.amdhsa_inst_pref_size 26
		.amdhsa_round_robin_scheduling 0
		.amdhsa_exception_fp_ieee_invalid_op 0
		.amdhsa_exception_fp_denorm_src 0
		.amdhsa_exception_fp_ieee_div_zero 0
		.amdhsa_exception_fp_ieee_overflow 0
		.amdhsa_exception_fp_ieee_underflow 0
		.amdhsa_exception_fp_ieee_inexact 0
		.amdhsa_exception_int_div_zero 0
	.end_amdhsa_kernel
	.section	.text._ZL29rocblas_internal_gemmt_kernelIlLi16ELi32ELi8ELc67ELc84ELc85ELb1ELb0E19rocblas_complex_numIfES1_PKS1_PS1_EviT_T9_T10_S5_lS7_S5_lS6_T11_S5_li,"axG",@progbits,_ZL29rocblas_internal_gemmt_kernelIlLi16ELi32ELi8ELc67ELc84ELc85ELb1ELb0E19rocblas_complex_numIfES1_PKS1_PS1_EviT_T9_T10_S5_lS7_S5_lS6_T11_S5_li,comdat
.Lfunc_end241:
	.size	_ZL29rocblas_internal_gemmt_kernelIlLi16ELi32ELi8ELc67ELc84ELc85ELb1ELb0E19rocblas_complex_numIfES1_PKS1_PS1_EviT_T9_T10_S5_lS7_S5_lS6_T11_S5_li, .Lfunc_end241-_ZL29rocblas_internal_gemmt_kernelIlLi16ELi32ELi8ELc67ELc84ELc85ELb1ELb0E19rocblas_complex_numIfES1_PKS1_PS1_EviT_T9_T10_S5_lS7_S5_lS6_T11_S5_li
                                        ; -- End function
	.set _ZL29rocblas_internal_gemmt_kernelIlLi16ELi32ELi8ELc67ELc84ELc85ELb1ELb0E19rocblas_complex_numIfES1_PKS1_PS1_EviT_T9_T10_S5_lS7_S5_lS6_T11_S5_li.num_vgpr, 60
	.set _ZL29rocblas_internal_gemmt_kernelIlLi16ELi32ELi8ELc67ELc84ELc85ELb1ELb0E19rocblas_complex_numIfES1_PKS1_PS1_EviT_T9_T10_S5_lS7_S5_lS6_T11_S5_li.num_agpr, 0
	.set _ZL29rocblas_internal_gemmt_kernelIlLi16ELi32ELi8ELc67ELc84ELc85ELb1ELb0E19rocblas_complex_numIfES1_PKS1_PS1_EviT_T9_T10_S5_lS7_S5_lS6_T11_S5_li.numbered_sgpr, 39
	.set _ZL29rocblas_internal_gemmt_kernelIlLi16ELi32ELi8ELc67ELc84ELc85ELb1ELb0E19rocblas_complex_numIfES1_PKS1_PS1_EviT_T9_T10_S5_lS7_S5_lS6_T11_S5_li.num_named_barrier, 0
	.set _ZL29rocblas_internal_gemmt_kernelIlLi16ELi32ELi8ELc67ELc84ELc85ELb1ELb0E19rocblas_complex_numIfES1_PKS1_PS1_EviT_T9_T10_S5_lS7_S5_lS6_T11_S5_li.private_seg_size, 0
	.set _ZL29rocblas_internal_gemmt_kernelIlLi16ELi32ELi8ELc67ELc84ELc85ELb1ELb0E19rocblas_complex_numIfES1_PKS1_PS1_EviT_T9_T10_S5_lS7_S5_lS6_T11_S5_li.uses_vcc, 1
	.set _ZL29rocblas_internal_gemmt_kernelIlLi16ELi32ELi8ELc67ELc84ELc85ELb1ELb0E19rocblas_complex_numIfES1_PKS1_PS1_EviT_T9_T10_S5_lS7_S5_lS6_T11_S5_li.uses_flat_scratch, 0
	.set _ZL29rocblas_internal_gemmt_kernelIlLi16ELi32ELi8ELc67ELc84ELc85ELb1ELb0E19rocblas_complex_numIfES1_PKS1_PS1_EviT_T9_T10_S5_lS7_S5_lS6_T11_S5_li.has_dyn_sized_stack, 0
	.set _ZL29rocblas_internal_gemmt_kernelIlLi16ELi32ELi8ELc67ELc84ELc85ELb1ELb0E19rocblas_complex_numIfES1_PKS1_PS1_EviT_T9_T10_S5_lS7_S5_lS6_T11_S5_li.has_recursion, 0
	.set _ZL29rocblas_internal_gemmt_kernelIlLi16ELi32ELi8ELc67ELc84ELc85ELb1ELb0E19rocblas_complex_numIfES1_PKS1_PS1_EviT_T9_T10_S5_lS7_S5_lS6_T11_S5_li.has_indirect_call, 0
	.section	.AMDGPU.csdata,"",@progbits
; Kernel info:
; codeLenInByte = 3232
; TotalNumSgprs: 41
; NumVgprs: 60
; ScratchSize: 0
; MemoryBound: 0
; FloatMode: 240
; IeeeMode: 1
; LDSByteSize: 4096 bytes/workgroup (compile time only)
; SGPRBlocks: 0
; VGPRBlocks: 3
; NumSGPRsForWavesPerEU: 41
; NumVGPRsForWavesPerEU: 60
; NamedBarCnt: 0
; Occupancy: 16
; WaveLimiterHint : 0
; COMPUTE_PGM_RSRC2:SCRATCH_EN: 0
; COMPUTE_PGM_RSRC2:USER_SGPR: 2
; COMPUTE_PGM_RSRC2:TRAP_HANDLER: 0
; COMPUTE_PGM_RSRC2:TGID_X_EN: 1
; COMPUTE_PGM_RSRC2:TGID_Y_EN: 1
; COMPUTE_PGM_RSRC2:TGID_Z_EN: 1
; COMPUTE_PGM_RSRC2:TIDIG_COMP_CNT: 1
	.section	.text._ZL29rocblas_internal_gemmt_kernelIlLi16ELi32ELi8ELc67ELc67ELc85ELb1ELb1E19rocblas_complex_numIfES1_PKS1_PS1_EviT_T9_T10_S5_lS7_S5_lS6_T11_S5_li,"axG",@progbits,_ZL29rocblas_internal_gemmt_kernelIlLi16ELi32ELi8ELc67ELc67ELc85ELb1ELb1E19rocblas_complex_numIfES1_PKS1_PS1_EviT_T9_T10_S5_lS7_S5_lS6_T11_S5_li,comdat
	.globl	_ZL29rocblas_internal_gemmt_kernelIlLi16ELi32ELi8ELc67ELc67ELc85ELb1ELb1E19rocblas_complex_numIfES1_PKS1_PS1_EviT_T9_T10_S5_lS7_S5_lS6_T11_S5_li ; -- Begin function _ZL29rocblas_internal_gemmt_kernelIlLi16ELi32ELi8ELc67ELc67ELc85ELb1ELb1E19rocblas_complex_numIfES1_PKS1_PS1_EviT_T9_T10_S5_lS7_S5_lS6_T11_S5_li
	.p2align	8
	.type	_ZL29rocblas_internal_gemmt_kernelIlLi16ELi32ELi8ELc67ELc67ELc85ELb1ELb1E19rocblas_complex_numIfES1_PKS1_PS1_EviT_T9_T10_S5_lS7_S5_lS6_T11_S5_li,@function
_ZL29rocblas_internal_gemmt_kernelIlLi16ELi32ELi8ELc67ELc67ELc85ELb1ELb1E19rocblas_complex_numIfES1_PKS1_PS1_EviT_T9_T10_S5_lS7_S5_lS6_T11_S5_li: ; @_ZL29rocblas_internal_gemmt_kernelIlLi16ELi32ELi8ELc67ELc67ELc85ELb1ELb1E19rocblas_complex_numIfES1_PKS1_PS1_EviT_T9_T10_S5_lS7_S5_lS6_T11_S5_li
; %bb.0:
	s_clause 0x1
	s_load_b64 s[24:25], s[0:1], 0x48
	s_load_b128 s[12:15], s[0:1], 0x8
	s_wait_kmcnt 0x0
	s_cmp_neq_f32 s24, 1.0
	s_cselect_b32 s2, -1, 0
	s_and_b32 s4, s25, 0x7fffffff
	s_delay_alu instid0(SALU_CYCLE_1) | instskip(SKIP_3) | instid1(SALU_CYCLE_1)
	s_cmp_eq_u32 s4, 0
	s_cselect_b32 s3, -1, 0
	s_cmp_lg_u32 s4, 0
	s_cselect_b32 s4, -1, 0
	s_or_b32 s2, s2, s4
	s_delay_alu instid0(SALU_CYCLE_1)
	s_and_b32 vcc_lo, exec_lo, s2
	s_cbranch_vccnz .LBB242_2
; %bb.1:
	s_cmp_lg_u64 s[12:13], 0
	s_cselect_b32 s2, -1, 0
	s_cmp_neq_f32 s14, 0
	s_cselect_b32 s4, -1, 0
	s_cmp_neq_f32 s15, 0
	s_cselect_b32 s5, -1, 0
	s_delay_alu instid0(SALU_CYCLE_1) | instskip(NEXT) | instid1(SALU_CYCLE_1)
	s_or_b32 s4, s4, s5
	s_and_b32 s2, s2, s4
.LBB242_2:
	s_delay_alu instid0(SALU_CYCLE_1)
	s_and_not1_b32 vcc_lo, exec_lo, s2
	s_cbranch_vccnz .LBB242_40
; %bb.3:
	s_load_b32 s30, s[0:1], 0x68
	s_bfe_u32 s2, ttmp6, 0x40014
	s_lshr_b32 s4, ttmp7, 16
	s_add_co_i32 s2, s2, 1
	s_bfe_u32 s6, ttmp6, 0x40008
	s_mul_i32 s5, s4, s2
	s_getreg_b32 s2, hwreg(HW_REG_IB_STS2, 6, 4)
	s_add_co_i32 s6, s6, s5
	s_cmp_eq_u32 s2, 0
	s_mov_b32 s27, 0
	s_cselect_b32 s26, s4, s6
	s_wait_kmcnt 0x0
	s_cmp_ge_u32 s26, s30
	s_cbranch_scc1 .LBB242_40
; %bb.4:
	v_and_b32_e32 v7, 0x3ff, v0
	v_bfe_u32 v9, v0, 10, 10
	s_bfe_u32 s17, ttmp6, 0x4000c
	s_bfe_u32 s18, ttmp6, 0x40010
	s_add_co_i32 s17, s17, 1
	s_and_b32 s19, ttmp7, 0xffff
	s_add_co_i32 s18, s18, 1
	s_load_b256 s[4:11], s[0:1], 0x18
	v_lshl_add_u32 v8, v9, 4, v7
	s_and_b32 s16, ttmp6, 15
	s_mul_i32 s17, ttmp9, s17
	s_mul_i32 s18, s19, s18
	s_bfe_u32 s20, ttmp6, 0x40004
	s_add_co_i32 s16, s16, s17
	s_add_co_i32 s20, s20, s18
	s_cmp_eq_u32 s2, 0
	v_and_b32_e32 v10, 31, v8
	s_cselect_b32 s2, ttmp9, s16
	s_cselect_b32 s31, s19, s20
	s_lshl_b32 s2, s2, 5
	s_clause 0x3
	s_load_b32 s33, s[0:1], 0x0
	s_load_b64 s[28:29], s[0:1], 0x60
	s_load_b128 s[16:19], s[0:1], 0x38
	s_load_b128 s[20:23], s[0:1], 0x50
	v_dual_lshlrev_b32 v5, 3, v7 :: v_dual_bitop2_b32 v4, 7, v0 bitop3:0x40
	v_or_b32_e32 v2, s2, v10
	s_wait_xcnt 0x0
	s_lshl_b32 s0, s31, 5
	v_dual_lshrrev_b32 v6, 5, v8 :: v_dual_lshrrev_b32 v11, 3, v8
	v_dual_add_nc_u32 v8, s2, v7 :: v_dual_add_nc_u32 v20, s0, v9
	v_ashrrev_i32_e32 v3, 31, v2
	s_delay_alu instid0(VALU_DEP_3) | instskip(NEXT) | instid1(VALU_DEP_3)
	v_dual_lshlrev_b32 v7, 3, v10 :: v_dual_add_nc_u32 v14, s0, v11
	v_add_nc_u32_e32 v18, 16, v8
	s_delay_alu instid0(VALU_DEP_4)
	v_dual_ashrrev_i32 v21, 31, v20 :: v_dual_add_nc_u32 v22, 16, v20
	s_wait_kmcnt 0x0
	v_mul_u64_e32 v[0:1], s[6:7], v[2:3]
	v_lshlrev_b32_e32 v3, 3, v4
	s_cmp_neq_f32 s14, 0
	v_ashrrev_i32_e32 v15, 31, v14
	v_ashrrev_i32_e32 v23, 31, v22
	v_cmp_gt_i64_e64 s6, s[12:13], 0
	v_lshl_or_b32 v3, v11, 6, v3
	v_mul_u64_e32 v[10:11], s[22:23], v[20:21]
	s_cselect_b32 s1, -1, 0
	v_mul_u64_e32 v[12:13], s[22:23], v[22:23]
	s_cmp_neq_f32 s15, 0
	v_cmp_gt_i32_e32 vcc_lo, s33, v14
	v_lshl_add_u32 v31, v9, 6, 0x800
	v_ashrrev_i32_e32 v9, 31, v8
	s_cselect_b32 s2, -1, 0
	v_lshl_add_u64 v[14:15], v[14:15], 3, s[10:11]
	s_or_b32 s7, s1, s2
	s_cmp_neq_f32 s24, 0
	v_cmp_gt_i32_e64 s1, s33, v20
	v_cmp_le_i32_e64 s2, v8, v20
	v_cmp_gt_i32_e64 s0, s33, v2
	v_cmp_le_i32_e64 s31, s33, v2
	v_lshl_or_b32 v7, v6, 8, v7
	v_add_nc_u32_e32 v29, 0x800, v3
	v_dual_ashrrev_i32 v19, 31, v18 :: v_dual_mov_b32 v21, 0
	v_lshl_add_u64 v[16:17], v[0:1], 3, s[4:5]
	s_cselect_b32 s4, -1, 0
	s_xor_b32 s3, s3, -1
	s_and_b32 s11, s1, s2
	s_or_b32 s10, s4, s3
	v_cmp_le_i32_e64 s2, v18, v20
	v_cmp_gt_i32_e64 s3, s33, v22
	v_cmp_le_i32_e64 s4, v8, v22
	v_cmp_le_i32_e64 s5, v18, v22
	s_and_b32 s33, s7, s6
	s_and_b32 s1, s1, s2
	s_mov_b32 s2, s24
	s_and_b32 s22, s3, s4
	s_and_b32 s23, s3, s5
	s_mov_b32 s3, s24
	s_mov_b32 s24, s25
	;; [unrolled: 1-line block ×4, first 2 shown]
	s_xor_b32 s34, vcc_lo, -1
                                        ; implicit-def: $vgpr22_vgpr23
	s_branch .LBB242_6
.LBB242_5:                              ;   in Loop: Header=BB242_6 Depth=1
	s_wait_xcnt 0x0
	s_or_b32 exec_lo, exec_lo, s6
	s_add_co_i32 s26, s26, 0x10000
	s_delay_alu instid0(SALU_CYCLE_1)
	s_cmp_lt_u32 s26, s30
	s_cbranch_scc0 .LBB242_40
.LBB242_6:                              ; =>This Loop Header: Depth=1
                                        ;     Child Loop BB242_9 Depth 2
	s_and_not1_b32 vcc_lo, exec_lo, s33
	s_cbranch_vccnz .LBB242_19
; %bb.7:                                ;   in Loop: Header=BB242_6 Depth=1
	s_mul_u64 s[6:7], s[8:9], s[26:27]
	s_mul_u64 s[36:37], s[18:19], s[26:27]
	v_lshl_add_u64 v[24:25], s[6:7], 3, v[16:17]
	v_lshl_add_u64 v[26:27], s[36:37], 3, v[14:15]
	v_dual_mov_b32 v30, 0 :: v_dual_mov_b32 v28, 0
	v_dual_mov_b32 v34, 0 :: v_dual_mov_b32 v32, 0
	;; [unrolled: 1-line block ×4, first 2 shown]
	s_mov_b64 s[6:7], 0
	s_branch .LBB242_9
.LBB242_8:                              ;   in Loop: Header=BB242_9 Depth=2
	s_or_b32 exec_lo, exec_lo, s35
	ds_store_b32 v29, v0 offset:4
	s_wait_dscnt 0x0
	s_barrier_signal -1
	s_barrier_wait -1
	ds_load_b128 v[44:47], v31
	ds_load_b128 v[48:51], v31 offset:16
	ds_load_b128 v[52:55], v31 offset:32
	;; [unrolled: 1-line block ×3, first 2 shown]
	ds_load_2addr_b64 v[56:59], v5 offset1:16
	s_add_nc_u64 s[6:7], s[6:7], 8
	s_delay_alu instid0(SALU_CYCLE_1) | instskip(SKIP_3) | instid1(VALU_DEP_1)
	v_cmp_gt_i64_e64 s35, s[12:13], s[6:7]
	s_and_b32 vcc_lo, exec_lo, s35
	s_wait_dscnt 0x0
	v_dual_mul_f32 v20, v45, v57 :: v_dual_mul_f32 v33, v44, v57
	v_dual_mul_f32 v35, v44, v59 :: v_dual_fma_f32 v20, v44, v56, -v20
	s_delay_alu instid0(VALU_DEP_1) | instskip(NEXT) | instid1(VALU_DEP_1)
	v_dual_fmac_f32 v33, v45, v56 :: v_dual_fmac_f32 v35, v45, v58
	v_dual_add_f32 v20, v40, v20 :: v_dual_add_f32 v40, v42, v33
	v_mul_f32_e32 v33, v45, v59
	s_delay_alu instid0(VALU_DEP_1) | instskip(NEXT) | instid1(VALU_DEP_1)
	v_dual_add_f32 v42, v38, v35 :: v_dual_fma_f32 v33, v44, v58, -v33
	v_add_f32_e32 v41, v36, v33
	ds_load_b128 v[36:39], v31 offset:1024
	s_wait_dscnt 0x0
	v_dual_mul_f32 v33, v37, v57 :: v_dual_mul_f32 v35, v36, v57
	s_delay_alu instid0(VALU_DEP_1) | instskip(NEXT) | instid1(VALU_DEP_1)
	v_dual_fma_f32 v33, v36, v56, -v33 :: v_dual_fmac_f32 v35, v37, v56
	v_dual_add_f32 v43, v32, v33 :: v_dual_add_f32 v44, v34, v35
	v_dual_mul_f32 v32, v37, v59 :: v_dual_mul_f32 v33, v36, v59
	s_delay_alu instid0(VALU_DEP_1) | instskip(NEXT) | instid1(VALU_DEP_1)
	v_dual_fma_f32 v32, v36, v58, -v32 :: v_dual_fmac_f32 v33, v37, v58
	v_dual_add_f32 v28, v28, v32 :: v_dual_add_f32 v30, v30, v33
	ds_load_2addr_b64 v[32:35], v5 offset0:32 offset1:48
	s_wait_dscnt 0x0
	v_dual_mul_f32 v36, v47, v33 :: v_dual_mul_f32 v37, v46, v33
	s_delay_alu instid0(VALU_DEP_1) | instskip(NEXT) | instid1(VALU_DEP_1)
	v_dual_fma_f32 v36, v46, v32, -v36 :: v_dual_fmac_f32 v37, v47, v32
	v_add_f32_e32 v20, v20, v36
	s_delay_alu instid0(VALU_DEP_2) | instskip(NEXT) | instid1(VALU_DEP_1)
	v_dual_add_f32 v36, v40, v37 :: v_dual_mul_f32 v37, v47, v35
	v_dual_fma_f32 v37, v46, v34, -v37 :: v_dual_mul_f32 v40, v46, v35
	s_delay_alu instid0(VALU_DEP_1) | instskip(SKIP_1) | instid1(VALU_DEP_1)
	v_add_f32_e32 v37, v41, v37
	v_dual_mul_f32 v41, v39, v33 :: v_dual_mul_f32 v33, v38, v33
	v_dual_fmac_f32 v40, v47, v34 :: v_dual_fma_f32 v41, v38, v32, -v41
	s_delay_alu instid0(VALU_DEP_2) | instskip(NEXT) | instid1(VALU_DEP_2)
	v_dual_fmac_f32 v33, v39, v32 :: v_dual_mul_f32 v32, v39, v35
	v_dual_add_f32 v40, v42, v40 :: v_dual_add_f32 v41, v43, v41
	s_delay_alu instid0(VALU_DEP_2) | instskip(NEXT) | instid1(VALU_DEP_1)
	v_dual_add_f32 v42, v44, v33 :: v_dual_fma_f32 v32, v38, v34, -v32
	v_dual_mul_f32 v33, v38, v35 :: v_dual_add_f32 v28, v28, v32
	s_delay_alu instid0(VALU_DEP_1) | instskip(NEXT) | instid1(VALU_DEP_1)
	v_fmac_f32_e32 v33, v39, v34
	v_add_f32_e32 v30, v30, v33
	ds_load_2addr_b64 v[32:35], v5 offset0:64 offset1:80
	s_wait_dscnt 0x0
	v_dual_mul_f32 v38, v49, v33 :: v_dual_mul_f32 v39, v48, v33
	s_delay_alu instid0(VALU_DEP_1) | instskip(NEXT) | instid1(VALU_DEP_1)
	v_dual_fma_f32 v38, v48, v32, -v38 :: v_dual_fmac_f32 v39, v49, v32
	v_add_f32_e32 v20, v20, v38
	v_mul_f32_e32 v38, v48, v35
	s_delay_alu instid0(VALU_DEP_3) | instskip(SKIP_1) | instid1(VALU_DEP_1)
	v_add_f32_e32 v43, v36, v39
	v_mul_f32_e32 v36, v49, v35
	v_fma_f32 v36, v48, v34, -v36
	s_delay_alu instid0(VALU_DEP_1) | instskip(SKIP_1) | instid1(VALU_DEP_1)
	v_add_f32_e32 v44, v37, v36
	v_fmac_f32_e32 v38, v49, v34
	v_add_f32_e32 v40, v40, v38
	ds_load_b128 v[36:39], v31 offset:1040
	s_wait_dscnt 0x0
	v_dual_mul_f32 v45, v37, v33 :: v_dual_mul_f32 v33, v36, v33
	s_delay_alu instid0(VALU_DEP_1) | instskip(NEXT) | instid1(VALU_DEP_2)
	v_fma_f32 v45, v36, v32, -v45
	v_dual_fmac_f32 v33, v37, v32 :: v_dual_mul_f32 v32, v37, v35
	s_delay_alu instid0(VALU_DEP_2) | instskip(NEXT) | instid1(VALU_DEP_2)
	v_add_f32_e32 v41, v41, v45
	v_dual_add_f32 v42, v42, v33 :: v_dual_mul_f32 v33, v36, v35
	s_delay_alu instid0(VALU_DEP_1) | instskip(NEXT) | instid1(VALU_DEP_1)
	v_dual_fma_f32 v32, v36, v34, -v32 :: v_dual_fmac_f32 v33, v37, v34
	v_dual_add_f32 v28, v28, v32 :: v_dual_add_f32 v30, v30, v33
	ds_load_2addr_b64 v[32:35], v5 offset0:96 offset1:112
	s_wait_dscnt 0x0
	v_mul_f32_e32 v36, v51, v33
	s_delay_alu instid0(VALU_DEP_1) | instskip(NEXT) | instid1(VALU_DEP_1)
	v_dual_fma_f32 v36, v50, v32, -v36 :: v_dual_mul_f32 v37, v50, v33
	v_add_f32_e32 v20, v20, v36
	s_delay_alu instid0(VALU_DEP_2) | instskip(NEXT) | instid1(VALU_DEP_1)
	v_fmac_f32_e32 v37, v51, v32
	v_dual_add_f32 v36, v43, v37 :: v_dual_mul_f32 v43, v50, v35
	s_delay_alu instid0(VALU_DEP_1) | instskip(NEXT) | instid1(VALU_DEP_1)
	v_dual_mul_f32 v37, v51, v35 :: v_dual_fmac_f32 v43, v51, v34
	v_dual_fma_f32 v37, v50, v34, -v37 :: v_dual_add_f32 v40, v40, v43
	v_mul_f32_e32 v43, v39, v33
	s_delay_alu instid0(VALU_DEP_1) | instskip(NEXT) | instid1(VALU_DEP_1)
	v_dual_add_f32 v37, v44, v37 :: v_dual_fma_f32 v43, v38, v32, -v43
	v_dual_mul_f32 v33, v38, v33 :: v_dual_add_f32 v41, v41, v43
	s_delay_alu instid0(VALU_DEP_1) | instskip(NEXT) | instid1(VALU_DEP_1)
	v_dual_fmac_f32 v33, v39, v32 :: v_dual_mul_f32 v32, v39, v35
	v_add_f32_e32 v42, v42, v33
	s_delay_alu instid0(VALU_DEP_2) | instskip(NEXT) | instid1(VALU_DEP_1)
	v_dual_fma_f32 v32, v38, v34, -v32 :: v_dual_mul_f32 v33, v38, v35
	v_dual_fmac_f32 v33, v39, v34 :: v_dual_add_f32 v28, v28, v32
	s_delay_alu instid0(VALU_DEP_1) | instskip(SKIP_3) | instid1(VALU_DEP_1)
	v_add_f32_e32 v30, v30, v33
	ds_load_2addr_b64 v[32:35], v5 offset0:128 offset1:144
	s_wait_dscnt 0x0
	v_dual_mul_f32 v38, v53, v33 :: v_dual_mul_f32 v39, v52, v33
	v_dual_fma_f32 v38, v52, v32, -v38 :: v_dual_fmac_f32 v39, v53, v32
	s_delay_alu instid0(VALU_DEP_1) | instskip(SKIP_1) | instid1(VALU_DEP_3)
	v_add_f32_e32 v20, v20, v38
	v_mul_f32_e32 v38, v52, v35
	v_add_f32_e32 v43, v36, v39
	v_mul_f32_e32 v36, v53, v35
	s_delay_alu instid0(VALU_DEP_1) | instskip(NEXT) | instid1(VALU_DEP_1)
	v_fma_f32 v36, v52, v34, -v36
	v_add_f32_e32 v44, v37, v36
	v_fmac_f32_e32 v38, v53, v34
	s_delay_alu instid0(VALU_DEP_1) | instskip(SKIP_3) | instid1(VALU_DEP_1)
	v_add_f32_e32 v40, v40, v38
	ds_load_b128 v[36:39], v31 offset:1056
	s_wait_dscnt 0x0
	v_dual_mul_f32 v45, v37, v33 :: v_dual_mul_f32 v33, v36, v33
	v_fma_f32 v45, v36, v32, -v45
	s_delay_alu instid0(VALU_DEP_2) | instskip(NEXT) | instid1(VALU_DEP_2)
	v_dual_fmac_f32 v33, v37, v32 :: v_dual_mul_f32 v32, v37, v35
	v_add_f32_e32 v41, v41, v45
	s_delay_alu instid0(VALU_DEP_2) | instskip(NEXT) | instid1(VALU_DEP_1)
	v_dual_add_f32 v42, v42, v33 :: v_dual_mul_f32 v33, v36, v35
	v_dual_fma_f32 v32, v36, v34, -v32 :: v_dual_fmac_f32 v33, v37, v34
	s_delay_alu instid0(VALU_DEP_1) | instskip(SKIP_3) | instid1(VALU_DEP_1)
	v_dual_add_f32 v28, v28, v32 :: v_dual_add_f32 v30, v30, v33
	ds_load_2addr_b64 v[32:35], v5 offset0:160 offset1:176
	s_wait_dscnt 0x0
	v_mul_f32_e32 v36, v55, v33
	v_dual_fma_f32 v36, v54, v32, -v36 :: v_dual_mul_f32 v37, v54, v33
	s_delay_alu instid0(VALU_DEP_1) | instskip(NEXT) | instid1(VALU_DEP_2)
	v_add_f32_e32 v20, v20, v36
	v_fmac_f32_e32 v37, v55, v32
	s_delay_alu instid0(VALU_DEP_1) | instskip(NEXT) | instid1(VALU_DEP_1)
	v_dual_add_f32 v36, v43, v37 :: v_dual_mul_f32 v43, v54, v35
	v_dual_mul_f32 v37, v55, v35 :: v_dual_fmac_f32 v43, v55, v34
	s_delay_alu instid0(VALU_DEP_1) | instskip(SKIP_1) | instid1(VALU_DEP_1)
	v_dual_fma_f32 v37, v54, v34, -v37 :: v_dual_add_f32 v40, v40, v43
	v_mul_f32_e32 v43, v39, v33
	v_dual_add_f32 v37, v44, v37 :: v_dual_fma_f32 v43, v38, v32, -v43
	s_delay_alu instid0(VALU_DEP_1) | instskip(NEXT) | instid1(VALU_DEP_1)
	v_dual_mul_f32 v33, v38, v33 :: v_dual_add_f32 v41, v41, v43
	v_dual_fmac_f32 v33, v39, v32 :: v_dual_mul_f32 v32, v39, v35
	s_delay_alu instid0(VALU_DEP_1) | instskip(NEXT) | instid1(VALU_DEP_2)
	v_add_f32_e32 v46, v42, v33
	v_dual_fma_f32 v32, v38, v34, -v32 :: v_dual_mul_f32 v33, v38, v35
	ds_load_b128 v[42:45], v31 offset:1072
	v_dual_fmac_f32 v33, v39, v34 :: v_dual_add_f32 v28, v28, v32
	s_delay_alu instid0(VALU_DEP_1) | instskip(SKIP_3) | instid1(VALU_DEP_1)
	v_add_f32_e32 v30, v30, v33
	ds_load_2addr_b64 v[32:35], v5 offset0:192 offset1:208
	s_wait_dscnt 0x0
	v_dual_mul_f32 v38, v1, v33 :: v_dual_mul_f32 v39, v0, v33
	v_dual_fma_f32 v38, v0, v32, -v38 :: v_dual_fmac_f32 v39, v1, v32
	s_delay_alu instid0(VALU_DEP_1) | instskip(NEXT) | instid1(VALU_DEP_1)
	v_dual_add_f32 v20, v20, v38 :: v_dual_mul_f32 v38, v1, v35
	v_dual_fma_f32 v38, v0, v34, -v38 :: v_dual_mul_f32 v0, v0, v35
	s_delay_alu instid0(VALU_DEP_1) | instskip(NEXT) | instid1(VALU_DEP_2)
	v_dual_add_f32 v36, v36, v39 :: v_dual_fmac_f32 v0, v1, v34
	v_dual_add_f32 v1, v37, v38 :: v_dual_mul_f32 v37, v43, v33
	s_delay_alu instid0(VALU_DEP_2) | instskip(NEXT) | instid1(VALU_DEP_2)
	v_dual_mul_f32 v33, v42, v33 :: v_dual_add_f32 v0, v40, v0
	v_fma_f32 v37, v42, v32, -v37
	s_delay_alu instid0(VALU_DEP_1) | instskip(NEXT) | instid1(VALU_DEP_1)
	v_dual_fmac_f32 v33, v43, v32 :: v_dual_add_f32 v32, v41, v37
	v_dual_add_f32 v33, v46, v33 :: v_dual_mul_f32 v37, v43, v35
	ds_load_2addr_b64 v[46:49], v5 offset0:224 offset1:240
	v_mul_f32_e32 v35, v42, v35
	s_wait_dscnt 0x0
	s_barrier_signal -1
	v_fma_f32 v37, v42, v34, -v37
	s_barrier_wait -1
	v_fmac_f32_e32 v35, v43, v34
	s_delay_alu instid0(VALU_DEP_1) | instskip(SKIP_1) | instid1(VALU_DEP_1)
	v_dual_add_f32 v28, v28, v37 :: v_dual_add_f32 v30, v30, v35
	v_dual_mul_f32 v34, v3, v47 :: v_dual_mul_f32 v35, v2, v47
	v_dual_fma_f32 v34, v2, v46, -v34 :: v_dual_fmac_f32 v35, v3, v46
	s_delay_alu instid0(VALU_DEP_1) | instskip(NEXT) | instid1(VALU_DEP_1)
	v_dual_add_f32 v40, v20, v34 :: v_dual_mul_f32 v20, v3, v49
	v_dual_add_f32 v42, v36, v35 :: v_dual_fma_f32 v20, v2, v48, -v20
	s_delay_alu instid0(VALU_DEP_1) | instskip(NEXT) | instid1(VALU_DEP_1)
	v_dual_mul_f32 v2, v2, v49 :: v_dual_add_f32 v36, v1, v20
	v_dual_fmac_f32 v2, v3, v48 :: v_dual_mul_f32 v1, v44, v47
	s_delay_alu instid0(VALU_DEP_1) | instskip(NEXT) | instid1(VALU_DEP_2)
	v_fmac_f32_e32 v1, v45, v46
	v_dual_add_f32 v38, v0, v2 :: v_dual_mul_f32 v0, v45, v47
	s_delay_alu instid0(VALU_DEP_2) | instskip(NEXT) | instid1(VALU_DEP_2)
	v_add_f32_e32 v34, v33, v1
	v_dual_mul_f32 v1, v44, v49 :: v_dual_fma_f32 v0, v44, v46, -v0
	s_delay_alu instid0(VALU_DEP_1) | instskip(NEXT) | instid1(VALU_DEP_2)
	v_fmac_f32_e32 v1, v45, v48
	v_dual_add_f32 v32, v32, v0 :: v_dual_mul_f32 v0, v45, v49
	s_delay_alu instid0(VALU_DEP_1) | instskip(NEXT) | instid1(VALU_DEP_1)
	v_dual_add_f32 v30, v30, v1 :: v_dual_fma_f32 v0, v44, v48, -v0
	v_add_f32_e32 v28, v28, v0
	s_cbranch_vccz .LBB242_20
.LBB242_9:                              ;   Parent Loop BB242_6 Depth=1
                                        ; =>  This Inner Loop Header: Depth=2
	s_mov_b32 s35, 0
	s_mov_b32 s37, s31
	s_and_saveexec_b32 s36, s0
	s_cbranch_execnz .LBB242_17
; %bb.10:                               ;   in Loop: Header=BB242_9 Depth=2
	s_or_b32 exec_lo, exec_lo, s36
	s_and_saveexec_b32 s36, s37
	s_delay_alu instid0(SALU_CYCLE_1)
	s_xor_b32 s36, exec_lo, s36
	s_cbranch_execnz .LBB242_18
.LBB242_11:                             ;   in Loop: Header=BB242_9 Depth=2
	s_or_b32 exec_lo, exec_lo, s36
	v_mov_b32_e32 v0, 0
	s_and_saveexec_b32 s36, s35
	s_cbranch_execz .LBB242_13
.LBB242_12:                             ;   in Loop: Header=BB242_9 Depth=2
	v_lshl_add_u64 v[0:1], v[22:23], 3, v[24:25]
	global_load_b64 v[2:3], v[0:1], off
	s_wait_loadcnt 0x0
	s_wait_xcnt 0x0
	v_xor_b32_e32 v0, 0x80000000, v3
	ds_store_b32 v7, v2
.LBB242_13:                             ;   in Loop: Header=BB242_9 Depth=2
	s_or_b32 exec_lo, exec_lo, s36
	v_add_nc_u32_e32 v20, s6, v4
	ds_store_b32 v7, v0 offset:4
	v_cmp_le_u64_e32 vcc_lo, s[12:13], v[20:21]
	s_or_b32 s35, vcc_lo, s34
	s_delay_alu instid0(SALU_CYCLE_1) | instskip(NEXT) | instid1(SALU_CYCLE_1)
	s_and_saveexec_b32 s36, s35
	s_xor_b32 s35, exec_lo, s36
; %bb.14:                               ;   in Loop: Header=BB242_9 Depth=2
	ds_store_b32 v29, v21
; %bb.15:                               ;   in Loop: Header=BB242_9 Depth=2
	s_or_saveexec_b32 s35, s35
	v_mov_b32_e32 v0, 0
	s_xor_b32 exec_lo, exec_lo, s35
	s_cbranch_execz .LBB242_8
; %bb.16:                               ;   in Loop: Header=BB242_9 Depth=2
	v_mul_u64_e32 v[0:1], s[16:17], v[20:21]
	s_delay_alu instid0(VALU_DEP_1)
	v_lshl_add_u64 v[0:1], v[0:1], 3, v[26:27]
	global_load_b64 v[2:3], v[0:1], off
	s_wait_loadcnt 0x0
	s_wait_xcnt 0x0
	v_xor_b32_e32 v0, 0x80000000, v3
	ds_store_b32 v29, v2
	s_branch .LBB242_8
.LBB242_17:                             ;   in Loop: Header=BB242_9 Depth=2
	v_add_nc_u32_e32 v20, s6, v6
	s_and_not1_b32 s37, s31, exec_lo
	s_mov_b32 s35, exec_lo
	s_delay_alu instid0(VALU_DEP_1) | instskip(SKIP_2) | instid1(SALU_CYCLE_1)
	v_cmp_le_u64_e32 vcc_lo, s[12:13], v[20:21]
	v_mov_b64_e32 v[22:23], v[20:21]
	s_and_b32 s38, vcc_lo, exec_lo
	s_or_b32 s37, s37, s38
	s_or_b32 exec_lo, exec_lo, s36
	s_and_saveexec_b32 s36, s37
	s_delay_alu instid0(SALU_CYCLE_1)
	s_xor_b32 s36, exec_lo, s36
	s_cbranch_execz .LBB242_11
.LBB242_18:                             ;   in Loop: Header=BB242_9 Depth=2
	s_and_not1_b32 s35, s35, exec_lo
	ds_store_b32 v7, v21
	s_or_b32 exec_lo, exec_lo, s36
	v_mov_b32_e32 v0, 0
	s_and_saveexec_b32 s36, s35
	s_cbranch_execnz .LBB242_12
	s_branch .LBB242_13
.LBB242_19:                             ;   in Loop: Header=BB242_6 Depth=1
	v_dual_mov_b32 v40, v21 :: v_dual_mov_b32 v42, v21
	v_dual_mov_b32 v36, v21 :: v_dual_mov_b32 v38, v21
	;; [unrolled: 1-line block ×4, first 2 shown]
.LBB242_20:                             ;   in Loop: Header=BB242_6 Depth=1
	s_mul_u64 s[6:7], s[28:29], s[26:27]
	s_delay_alu instid0(SALU_CYCLE_1) | instskip(NEXT) | instid1(SALU_CYCLE_1)
	s_lshl_b64 s[6:7], s[6:7], 3
	s_add_nc_u64 s[6:7], s[20:21], s[6:7]
	s_delay_alu instid0(SALU_CYCLE_1)
	v_lshl_add_u64 v[0:1], v[10:11], 3, s[6:7]
	s_and_saveexec_b32 s35, s11
	s_cbranch_execz .LBB242_25
; %bb.21:                               ;   in Loop: Header=BB242_6 Depth=1
	v_mov_b64_e32 v[2:3], s[4:5]
	v_mov_b64_e32 v[24:25], s[14:15]
	s_and_b32 vcc_lo, exec_lo, s10
	s_mov_b32 s36, -1
	s_delay_alu instid0(VALU_DEP_2) | instskip(NEXT) | instid1(VALU_DEP_1)
	v_pk_mul_f32 v[2:3], v[42:43], v[2:3] op_sel_hi:[0,1]
	v_pk_fma_f32 v[26:27], v[40:41], v[24:25], v[2:3] op_sel_hi:[0,1,1]
	v_pk_fma_f32 v[2:3], v[40:41], v[24:25], v[2:3] neg_lo:[0,0,1] neg_hi:[0,0,1]
	v_lshl_add_u64 v[24:25], v[8:9], 3, v[0:1]
	s_delay_alu instid0(VALU_DEP_3)
	v_mov_b32_e32 v3, v27
	s_cbranch_vccz .LBB242_23
; %bb.22:                               ;   in Loop: Header=BB242_6 Depth=1
	global_load_b64 v[26:27], v[24:25], off
	v_mov_b64_e32 v[40:41], s[24:25]
	v_mov_b64_e32 v[42:43], s[2:3]
	s_mov_b32 s36, 0
	s_wait_loadcnt 0x0
	s_delay_alu instid0(VALU_DEP_2) | instskip(NEXT) | instid1(VALU_DEP_1)
	v_pk_mul_f32 v[40:41], v[26:27], v[40:41]
	v_pk_fma_f32 v[44:45], v[26:27], v[42:43], v[40:41] op_sel:[0,0,1] op_sel_hi:[1,1,0]
	v_pk_fma_f32 v[26:27], v[26:27], v[42:43], v[40:41] op_sel:[0,0,1] op_sel_hi:[1,1,0] neg_lo:[0,0,1] neg_hi:[0,0,1]
	s_delay_alu instid0(VALU_DEP_2) | instskip(NEXT) | instid1(VALU_DEP_1)
	v_mov_b32_e32 v27, v45
	v_pk_add_f32 v[26:27], v[2:3], v[26:27]
	global_store_b64 v[24:25], v[26:27], off
.LBB242_23:                             ;   in Loop: Header=BB242_6 Depth=1
	s_and_not1_b32 vcc_lo, exec_lo, s36
	s_cbranch_vccnz .LBB242_25
; %bb.24:                               ;   in Loop: Header=BB242_6 Depth=1
	global_store_b64 v[24:25], v[2:3], off
.LBB242_25:                             ;   in Loop: Header=BB242_6 Depth=1
	s_wait_xcnt 0x0
	s_or_b32 exec_lo, exec_lo, s35
	s_and_saveexec_b32 s35, s1
	s_cbranch_execz .LBB242_30
; %bb.26:                               ;   in Loop: Header=BB242_6 Depth=1
	v_mov_b64_e32 v[2:3], s[4:5]
	v_mov_b64_e32 v[24:25], s[14:15]
	v_lshl_add_u64 v[0:1], v[18:19], 3, v[0:1]
	s_and_not1_b32 vcc_lo, exec_lo, s10
	s_mov_b32 s36, -1
	s_delay_alu instid0(VALU_DEP_3) | instskip(NEXT) | instid1(VALU_DEP_1)
	v_pk_mul_f32 v[2:3], v[38:39], v[2:3] op_sel_hi:[0,1]
	v_pk_fma_f32 v[26:27], v[36:37], v[24:25], v[2:3] op_sel_hi:[0,1,1]
	v_pk_fma_f32 v[2:3], v[36:37], v[24:25], v[2:3] neg_lo:[0,0,1] neg_hi:[0,0,1]
	s_delay_alu instid0(VALU_DEP_2)
	v_mov_b32_e32 v3, v27
	s_cbranch_vccnz .LBB242_28
; %bb.27:                               ;   in Loop: Header=BB242_6 Depth=1
	global_load_b64 v[24:25], v[0:1], off
	v_mov_b64_e32 v[26:27], s[24:25]
	v_mov_b64_e32 v[36:37], s[2:3]
	s_mov_b32 s36, 0
	s_wait_loadcnt 0x0
	s_delay_alu instid0(VALU_DEP_2) | instskip(NEXT) | instid1(VALU_DEP_1)
	v_pk_mul_f32 v[26:27], v[24:25], v[26:27]
	v_pk_fma_f32 v[38:39], v[24:25], v[36:37], v[26:27] op_sel:[0,0,1] op_sel_hi:[1,1,0]
	v_pk_fma_f32 v[24:25], v[24:25], v[36:37], v[26:27] op_sel:[0,0,1] op_sel_hi:[1,1,0] neg_lo:[0,0,1] neg_hi:[0,0,1]
	s_delay_alu instid0(VALU_DEP_2) | instskip(NEXT) | instid1(VALU_DEP_1)
	v_mov_b32_e32 v25, v39
	v_pk_add_f32 v[24:25], v[2:3], v[24:25]
	global_store_b64 v[0:1], v[24:25], off
.LBB242_28:                             ;   in Loop: Header=BB242_6 Depth=1
	s_and_not1_b32 vcc_lo, exec_lo, s36
	s_cbranch_vccnz .LBB242_30
; %bb.29:                               ;   in Loop: Header=BB242_6 Depth=1
	global_store_b64 v[0:1], v[2:3], off
.LBB242_30:                             ;   in Loop: Header=BB242_6 Depth=1
	s_wait_xcnt 0x0
	s_or_b32 exec_lo, exec_lo, s35
	v_lshl_add_u64 v[0:1], v[12:13], 3, s[6:7]
	s_and_saveexec_b32 s6, s22
	s_cbranch_execz .LBB242_35
; %bb.31:                               ;   in Loop: Header=BB242_6 Depth=1
	v_mov_b64_e32 v[2:3], s[4:5]
	v_mov_b64_e32 v[24:25], s[14:15]
	s_and_not1_b32 vcc_lo, exec_lo, s10
	s_mov_b32 s7, -1
	s_delay_alu instid0(VALU_DEP_2) | instskip(NEXT) | instid1(VALU_DEP_1)
	v_pk_mul_f32 v[2:3], v[34:35], v[2:3] op_sel_hi:[0,1]
	v_pk_fma_f32 v[26:27], v[32:33], v[24:25], v[2:3] op_sel_hi:[0,1,1]
	v_pk_fma_f32 v[2:3], v[32:33], v[24:25], v[2:3] neg_lo:[0,0,1] neg_hi:[0,0,1]
	v_lshl_add_u64 v[24:25], v[8:9], 3, v[0:1]
	s_delay_alu instid0(VALU_DEP_3)
	v_mov_b32_e32 v3, v27
	s_cbranch_vccnz .LBB242_33
; %bb.32:                               ;   in Loop: Header=BB242_6 Depth=1
	global_load_b64 v[26:27], v[24:25], off
	v_mov_b64_e32 v[32:33], s[24:25]
	v_mov_b64_e32 v[34:35], s[2:3]
	s_mov_b32 s7, 0
	s_wait_loadcnt 0x0
	s_delay_alu instid0(VALU_DEP_2) | instskip(NEXT) | instid1(VALU_DEP_1)
	v_pk_mul_f32 v[32:33], v[26:27], v[32:33]
	v_pk_fma_f32 v[36:37], v[26:27], v[34:35], v[32:33] op_sel:[0,0,1] op_sel_hi:[1,1,0]
	v_pk_fma_f32 v[26:27], v[26:27], v[34:35], v[32:33] op_sel:[0,0,1] op_sel_hi:[1,1,0] neg_lo:[0,0,1] neg_hi:[0,0,1]
	s_delay_alu instid0(VALU_DEP_2) | instskip(NEXT) | instid1(VALU_DEP_1)
	v_mov_b32_e32 v27, v37
	v_pk_add_f32 v[26:27], v[2:3], v[26:27]
	global_store_b64 v[24:25], v[26:27], off
.LBB242_33:                             ;   in Loop: Header=BB242_6 Depth=1
	s_and_not1_b32 vcc_lo, exec_lo, s7
	s_cbranch_vccnz .LBB242_35
; %bb.34:                               ;   in Loop: Header=BB242_6 Depth=1
	global_store_b64 v[24:25], v[2:3], off
.LBB242_35:                             ;   in Loop: Header=BB242_6 Depth=1
	s_wait_xcnt 0x0
	s_or_b32 exec_lo, exec_lo, s6
	s_and_saveexec_b32 s6, s23
	s_cbranch_execz .LBB242_5
; %bb.36:                               ;   in Loop: Header=BB242_6 Depth=1
	v_mov_b64_e32 v[2:3], s[4:5]
	v_mov_b64_e32 v[24:25], s[14:15]
	v_lshl_add_u64 v[0:1], v[18:19], 3, v[0:1]
	s_and_not1_b32 vcc_lo, exec_lo, s10
	s_mov_b32 s7, -1
	s_delay_alu instid0(VALU_DEP_3) | instskip(NEXT) | instid1(VALU_DEP_1)
	v_pk_mul_f32 v[2:3], v[30:31], v[2:3] op_sel_hi:[0,1]
	v_pk_fma_f32 v[26:27], v[28:29], v[24:25], v[2:3] op_sel_hi:[0,1,1]
	v_pk_fma_f32 v[2:3], v[28:29], v[24:25], v[2:3] neg_lo:[0,0,1] neg_hi:[0,0,1]
	s_delay_alu instid0(VALU_DEP_2)
	v_mov_b32_e32 v3, v27
	s_cbranch_vccnz .LBB242_38
; %bb.37:                               ;   in Loop: Header=BB242_6 Depth=1
	global_load_b64 v[24:25], v[0:1], off
	v_mov_b64_e32 v[26:27], s[24:25]
	v_mov_b64_e32 v[32:33], s[2:3]
	s_mov_b32 s7, 0
	s_wait_loadcnt 0x0
	s_delay_alu instid0(VALU_DEP_2) | instskip(NEXT) | instid1(VALU_DEP_1)
	v_pk_mul_f32 v[26:27], v[24:25], v[26:27]
	v_pk_fma_f32 v[34:35], v[24:25], v[32:33], v[26:27] op_sel:[0,0,1] op_sel_hi:[1,1,0]
	v_pk_fma_f32 v[24:25], v[24:25], v[32:33], v[26:27] op_sel:[0,0,1] op_sel_hi:[1,1,0] neg_lo:[0,0,1] neg_hi:[0,0,1]
	s_delay_alu instid0(VALU_DEP_2) | instskip(NEXT) | instid1(VALU_DEP_1)
	v_mov_b32_e32 v25, v35
	v_pk_add_f32 v[24:25], v[2:3], v[24:25]
	global_store_b64 v[0:1], v[24:25], off
.LBB242_38:                             ;   in Loop: Header=BB242_6 Depth=1
	s_and_not1_b32 vcc_lo, exec_lo, s7
	s_cbranch_vccnz .LBB242_5
; %bb.39:                               ;   in Loop: Header=BB242_6 Depth=1
	global_store_b64 v[0:1], v[2:3], off
	s_branch .LBB242_5
.LBB242_40:
	s_endpgm
	.section	.rodata,"a",@progbits
	.p2align	6, 0x0
	.amdhsa_kernel _ZL29rocblas_internal_gemmt_kernelIlLi16ELi32ELi8ELc67ELc67ELc85ELb1ELb1E19rocblas_complex_numIfES1_PKS1_PS1_EviT_T9_T10_S5_lS7_S5_lS6_T11_S5_li
		.amdhsa_group_segment_fixed_size 4096
		.amdhsa_private_segment_fixed_size 0
		.amdhsa_kernarg_size 108
		.amdhsa_user_sgpr_count 2
		.amdhsa_user_sgpr_dispatch_ptr 0
		.amdhsa_user_sgpr_queue_ptr 0
		.amdhsa_user_sgpr_kernarg_segment_ptr 1
		.amdhsa_user_sgpr_dispatch_id 0
		.amdhsa_user_sgpr_kernarg_preload_length 0
		.amdhsa_user_sgpr_kernarg_preload_offset 0
		.amdhsa_user_sgpr_private_segment_size 0
		.amdhsa_wavefront_size32 1
		.amdhsa_uses_dynamic_stack 0
		.amdhsa_enable_private_segment 0
		.amdhsa_system_sgpr_workgroup_id_x 1
		.amdhsa_system_sgpr_workgroup_id_y 1
		.amdhsa_system_sgpr_workgroup_id_z 1
		.amdhsa_system_sgpr_workgroup_info 0
		.amdhsa_system_vgpr_workitem_id 1
		.amdhsa_next_free_vgpr 60
		.amdhsa_next_free_sgpr 39
		.amdhsa_named_barrier_count 0
		.amdhsa_reserve_vcc 1
		.amdhsa_float_round_mode_32 0
		.amdhsa_float_round_mode_16_64 0
		.amdhsa_float_denorm_mode_32 3
		.amdhsa_float_denorm_mode_16_64 3
		.amdhsa_fp16_overflow 0
		.amdhsa_memory_ordered 1
		.amdhsa_forward_progress 1
		.amdhsa_inst_pref_size 26
		.amdhsa_round_robin_scheduling 0
		.amdhsa_exception_fp_ieee_invalid_op 0
		.amdhsa_exception_fp_denorm_src 0
		.amdhsa_exception_fp_ieee_div_zero 0
		.amdhsa_exception_fp_ieee_overflow 0
		.amdhsa_exception_fp_ieee_underflow 0
		.amdhsa_exception_fp_ieee_inexact 0
		.amdhsa_exception_int_div_zero 0
	.end_amdhsa_kernel
	.section	.text._ZL29rocblas_internal_gemmt_kernelIlLi16ELi32ELi8ELc67ELc67ELc85ELb1ELb1E19rocblas_complex_numIfES1_PKS1_PS1_EviT_T9_T10_S5_lS7_S5_lS6_T11_S5_li,"axG",@progbits,_ZL29rocblas_internal_gemmt_kernelIlLi16ELi32ELi8ELc67ELc67ELc85ELb1ELb1E19rocblas_complex_numIfES1_PKS1_PS1_EviT_T9_T10_S5_lS7_S5_lS6_T11_S5_li,comdat
.Lfunc_end242:
	.size	_ZL29rocblas_internal_gemmt_kernelIlLi16ELi32ELi8ELc67ELc67ELc85ELb1ELb1E19rocblas_complex_numIfES1_PKS1_PS1_EviT_T9_T10_S5_lS7_S5_lS6_T11_S5_li, .Lfunc_end242-_ZL29rocblas_internal_gemmt_kernelIlLi16ELi32ELi8ELc67ELc67ELc85ELb1ELb1E19rocblas_complex_numIfES1_PKS1_PS1_EviT_T9_T10_S5_lS7_S5_lS6_T11_S5_li
                                        ; -- End function
	.set _ZL29rocblas_internal_gemmt_kernelIlLi16ELi32ELi8ELc67ELc67ELc85ELb1ELb1E19rocblas_complex_numIfES1_PKS1_PS1_EviT_T9_T10_S5_lS7_S5_lS6_T11_S5_li.num_vgpr, 60
	.set _ZL29rocblas_internal_gemmt_kernelIlLi16ELi32ELi8ELc67ELc67ELc85ELb1ELb1E19rocblas_complex_numIfES1_PKS1_PS1_EviT_T9_T10_S5_lS7_S5_lS6_T11_S5_li.num_agpr, 0
	.set _ZL29rocblas_internal_gemmt_kernelIlLi16ELi32ELi8ELc67ELc67ELc85ELb1ELb1E19rocblas_complex_numIfES1_PKS1_PS1_EviT_T9_T10_S5_lS7_S5_lS6_T11_S5_li.numbered_sgpr, 39
	.set _ZL29rocblas_internal_gemmt_kernelIlLi16ELi32ELi8ELc67ELc67ELc85ELb1ELb1E19rocblas_complex_numIfES1_PKS1_PS1_EviT_T9_T10_S5_lS7_S5_lS6_T11_S5_li.num_named_barrier, 0
	.set _ZL29rocblas_internal_gemmt_kernelIlLi16ELi32ELi8ELc67ELc67ELc85ELb1ELb1E19rocblas_complex_numIfES1_PKS1_PS1_EviT_T9_T10_S5_lS7_S5_lS6_T11_S5_li.private_seg_size, 0
	.set _ZL29rocblas_internal_gemmt_kernelIlLi16ELi32ELi8ELc67ELc67ELc85ELb1ELb1E19rocblas_complex_numIfES1_PKS1_PS1_EviT_T9_T10_S5_lS7_S5_lS6_T11_S5_li.uses_vcc, 1
	.set _ZL29rocblas_internal_gemmt_kernelIlLi16ELi32ELi8ELc67ELc67ELc85ELb1ELb1E19rocblas_complex_numIfES1_PKS1_PS1_EviT_T9_T10_S5_lS7_S5_lS6_T11_S5_li.uses_flat_scratch, 0
	.set _ZL29rocblas_internal_gemmt_kernelIlLi16ELi32ELi8ELc67ELc67ELc85ELb1ELb1E19rocblas_complex_numIfES1_PKS1_PS1_EviT_T9_T10_S5_lS7_S5_lS6_T11_S5_li.has_dyn_sized_stack, 0
	.set _ZL29rocblas_internal_gemmt_kernelIlLi16ELi32ELi8ELc67ELc67ELc85ELb1ELb1E19rocblas_complex_numIfES1_PKS1_PS1_EviT_T9_T10_S5_lS7_S5_lS6_T11_S5_li.has_recursion, 0
	.set _ZL29rocblas_internal_gemmt_kernelIlLi16ELi32ELi8ELc67ELc67ELc85ELb1ELb1E19rocblas_complex_numIfES1_PKS1_PS1_EviT_T9_T10_S5_lS7_S5_lS6_T11_S5_li.has_indirect_call, 0
	.section	.AMDGPU.csdata,"",@progbits
; Kernel info:
; codeLenInByte = 3312
; TotalNumSgprs: 41
; NumVgprs: 60
; ScratchSize: 0
; MemoryBound: 0
; FloatMode: 240
; IeeeMode: 1
; LDSByteSize: 4096 bytes/workgroup (compile time only)
; SGPRBlocks: 0
; VGPRBlocks: 3
; NumSGPRsForWavesPerEU: 41
; NumVGPRsForWavesPerEU: 60
; NamedBarCnt: 0
; Occupancy: 16
; WaveLimiterHint : 0
; COMPUTE_PGM_RSRC2:SCRATCH_EN: 0
; COMPUTE_PGM_RSRC2:USER_SGPR: 2
; COMPUTE_PGM_RSRC2:TRAP_HANDLER: 0
; COMPUTE_PGM_RSRC2:TGID_X_EN: 1
; COMPUTE_PGM_RSRC2:TGID_Y_EN: 1
; COMPUTE_PGM_RSRC2:TGID_Z_EN: 1
; COMPUTE_PGM_RSRC2:TIDIG_COMP_CNT: 1
	.section	.text._ZL29rocblas_internal_gemmt_kernelIlLi16ELi32ELi8ELc78ELc78ELc76ELb0ELb0E19rocblas_complex_numIfES1_PKS1_PS1_EviT_T9_T10_S5_lS7_S5_lS6_T11_S5_li,"axG",@progbits,_ZL29rocblas_internal_gemmt_kernelIlLi16ELi32ELi8ELc78ELc78ELc76ELb0ELb0E19rocblas_complex_numIfES1_PKS1_PS1_EviT_T9_T10_S5_lS7_S5_lS6_T11_S5_li,comdat
	.globl	_ZL29rocblas_internal_gemmt_kernelIlLi16ELi32ELi8ELc78ELc78ELc76ELb0ELb0E19rocblas_complex_numIfES1_PKS1_PS1_EviT_T9_T10_S5_lS7_S5_lS6_T11_S5_li ; -- Begin function _ZL29rocblas_internal_gemmt_kernelIlLi16ELi32ELi8ELc78ELc78ELc76ELb0ELb0E19rocblas_complex_numIfES1_PKS1_PS1_EviT_T9_T10_S5_lS7_S5_lS6_T11_S5_li
	.p2align	8
	.type	_ZL29rocblas_internal_gemmt_kernelIlLi16ELi32ELi8ELc78ELc78ELc76ELb0ELb0E19rocblas_complex_numIfES1_PKS1_PS1_EviT_T9_T10_S5_lS7_S5_lS6_T11_S5_li,@function
_ZL29rocblas_internal_gemmt_kernelIlLi16ELi32ELi8ELc78ELc78ELc76ELb0ELb0E19rocblas_complex_numIfES1_PKS1_PS1_EviT_T9_T10_S5_lS7_S5_lS6_T11_S5_li: ; @_ZL29rocblas_internal_gemmt_kernelIlLi16ELi32ELi8ELc78ELc78ELc76ELb0ELb0E19rocblas_complex_numIfES1_PKS1_PS1_EviT_T9_T10_S5_lS7_S5_lS6_T11_S5_li
; %bb.0:
	s_clause 0x1
	s_load_b64 s[24:25], s[0:1], 0x48
	s_load_b128 s[12:15], s[0:1], 0x8
	s_wait_kmcnt 0x0
	s_cmp_neq_f32 s24, 1.0
	s_cselect_b32 s3, -1, 0
	s_and_b32 s4, s25, 0x7fffffff
	s_delay_alu instid0(SALU_CYCLE_1) | instskip(SKIP_3) | instid1(SALU_CYCLE_1)
	s_cmp_eq_u32 s4, 0
	s_cselect_b32 s2, -1, 0
	s_cmp_lg_u32 s4, 0
	s_cselect_b32 s4, -1, 0
	s_or_b32 s3, s3, s4
	s_delay_alu instid0(SALU_CYCLE_1)
	s_and_b32 vcc_lo, exec_lo, s3
	s_cbranch_vccnz .LBB243_2
; %bb.1:
	s_cmp_lg_u64 s[12:13], 0
	s_cselect_b32 s3, -1, 0
	s_cmp_neq_f32 s14, 0
	s_cselect_b32 s4, -1, 0
	s_cmp_neq_f32 s15, 0
	s_cselect_b32 s5, -1, 0
	s_delay_alu instid0(SALU_CYCLE_1) | instskip(NEXT) | instid1(SALU_CYCLE_1)
	s_or_b32 s4, s4, s5
	s_and_b32 s3, s3, s4
.LBB243_2:
	s_delay_alu instid0(SALU_CYCLE_1)
	s_and_not1_b32 vcc_lo, exec_lo, s3
	s_cbranch_vccnz .LBB243_35
; %bb.3:
	s_load_b32 s28, s[0:1], 0x68
	s_bfe_u32 s3, ttmp6, 0x40014
	s_lshr_b32 s4, ttmp7, 16
	s_add_co_i32 s3, s3, 1
	s_bfe_u32 s6, ttmp6, 0x40008
	s_mul_i32 s5, s4, s3
	s_getreg_b32 s3, hwreg(HW_REG_IB_STS2, 6, 4)
	s_add_co_i32 s6, s6, s5
	s_cmp_eq_u32 s3, 0
	s_mov_b32 s27, 0
	s_cselect_b32 s26, s4, s6
	s_wait_kmcnt 0x0
	s_cmp_ge_u32 s26, s28
	s_cbranch_scc1 .LBB243_35
; %bb.4:
	v_and_b32_e32 v7, 0x3ff, v0
	v_bfe_u32 v9, v0, 10, 10
	s_bfe_u32 s5, ttmp6, 0x4000c
	s_bfe_u32 s6, ttmp6, 0x40010
	s_add_co_i32 s5, s5, 1
	s_and_b32 s7, ttmp7, 0xffff
	s_add_co_i32 s6, s6, 1
	s_load_b128 s[16:19], s[0:1], 0x38
	v_lshl_add_u32 v8, v9, 4, v7
	s_and_b32 s4, ttmp6, 15
	s_mul_i32 s5, ttmp9, s5
	s_mul_i32 s6, s7, s6
	s_bfe_u32 s8, ttmp6, 0x40004
	s_add_co_i32 s4, s4, s5
	s_add_co_i32 s8, s8, s6
	s_cmp_eq_u32 s3, 0
	v_lshrrev_b32_e32 v10, 3, v8
	s_cselect_b32 s3, s7, s8
	s_cselect_b32 s29, ttmp9, s4
	s_lshl_b32 s3, s3, 5
	s_delay_alu instid0(VALU_DEP_1) | instid1(SALU_CYCLE_1)
	v_dual_add_nc_u32 v2, s3, v10 :: v_dual_bitop2_b32 v4, 7, v0 bitop3:0x40
	s_clause 0x1
	s_load_b32 s30, s[0:1], 0x0
	s_load_b128 s[20:23], s[0:1], 0x50
	v_dual_lshrrev_b32 v6, 5, v8 :: v_dual_bitop2_b32 v11, 31, v8 bitop3:0x40
	v_dual_lshlrev_b32 v5, 3, v7 :: v_dual_ashrrev_i32 v3, 31, v2
	v_add_nc_u32_e32 v20, s3, v9
	v_lshl_add_u32 v29, v9, 6, 0x800
	v_cmp_gt_i64_e64 s33, s[12:13], 0
	s_wait_kmcnt 0x0
	v_mul_u64_e32 v[0:1], s[16:17], v[2:3]
	s_clause 0x1
	s_load_b256 s[4:11], s[0:1], 0x18
	s_load_b64 s[16:17], s[0:1], 0x60
	s_wait_xcnt 0x0
	s_lshl_b32 s0, s29, 5
	v_dual_add_nc_u32 v22, 16, v20 :: v_dual_ashrrev_i32 v21, 31, v20
	v_dual_add_nc_u32 v8, s0, v7 :: v_dual_lshlrev_b32 v3, 3, v4
	v_dual_lshlrev_b32 v7, 3, v11 :: v_dual_bitop2_b32 v14, s0, v11 bitop3:0x54
	s_delay_alu instid0(VALU_DEP_2) | instskip(NEXT) | instid1(VALU_DEP_3)
	v_dual_ashrrev_i32 v23, 31, v22 :: v_dual_add_nc_u32 v18, 16, v8
	v_lshl_or_b32 v3, v10, 6, v3
	v_mul_u64_e32 v[10:11], s[22:23], v[20:21]
	s_cmp_neq_f32 s14, 0
	s_delay_alu instid0(VALU_DEP_3)
	v_mul_u64_e32 v[12:13], s[22:23], v[22:23]
	v_dual_ashrrev_i32 v15, 31, v14 :: v_dual_ashrrev_i32 v9, 31, v8
	s_cselect_b32 s1, -1, 0
	s_cmp_neq_f32 s15, 0
	v_cmp_gt_i32_e64 s0, s30, v14
	s_wait_kmcnt 0x0
	v_lshl_add_u64 v[14:15], v[14:15], 3, s[4:5]
	v_cmp_le_i32_e32 vcc_lo, v20, v8
	s_cselect_b32 s3, -1, 0
	v_cmp_le_i32_e64 s5, v22, v18
	s_or_b32 s34, s1, s3
	s_cmp_neq_f32 s24, 0
	v_lshl_or_b32 v7, v6, 8, v7
	v_cmp_gt_i32_e64 s1, s30, v2
	v_add_nc_u32_e32 v27, 0x800, v3
	s_cselect_b32 s3, -1, 0
	s_xor_b32 s4, s2, -1
	v_cmp_gt_i32_e64 s2, s30, v8
	s_or_b32 s22, s3, s4
	v_cmp_le_i32_e64 s3, v20, v18
	v_cmp_gt_i32_e64 s4, s30, v18
	v_lshl_add_u64 v[16:17], v[0:1], 3, s[10:11]
	s_and_b32 s23, vcc_lo, s2
	v_cmp_le_i32_e32 vcc_lo, v22, v8
	v_dual_ashrrev_i32 v19, 31, v18 :: v_dual_mov_b32 v21, 0
	s_and_b32 s29, s3, s4
	s_and_b32 s31, s5, s4
	s_and_b32 s30, vcc_lo, s2
	s_mov_b32 s2, s24
	s_mov_b32 s3, s24
	s_and_b32 s33, s34, s33
	s_mov_b32 s24, s25
	s_mov_b32 s4, s15
	;; [unrolled: 1-line block ×3, first 2 shown]
	s_branch .LBB243_6
.LBB243_5:                              ;   in Loop: Header=BB243_6 Depth=1
	s_wait_xcnt 0x0
	s_or_b32 exec_lo, exec_lo, s10
	s_add_co_i32 s26, s26, 0x10000
	s_delay_alu instid0(SALU_CYCLE_1)
	s_cmp_lt_u32 s26, s28
	s_cbranch_scc0 .LBB243_35
.LBB243_6:                              ; =>This Loop Header: Depth=1
                                        ;     Child Loop BB243_9 Depth 2
	v_dual_mov_b32 v38, v21 :: v_dual_mov_b32 v40, v21
	v_dual_mov_b32 v34, v21 :: v_dual_mov_b32 v36, v21
	;; [unrolled: 1-line block ×4, first 2 shown]
	s_and_not1_b32 vcc_lo, exec_lo, s33
	s_cbranch_vccnz .LBB243_15
; %bb.7:                                ;   in Loop: Header=BB243_6 Depth=1
	s_mul_u64 s[10:11], s[8:9], s[26:27]
	s_mul_u64 s[34:35], s[18:19], s[26:27]
	v_lshl_add_u64 v[22:23], s[10:11], 3, v[14:15]
	v_lshl_add_u64 v[24:25], s[34:35], 3, v[16:17]
	v_dual_mov_b32 v28, 0 :: v_dual_mov_b32 v26, 0
	v_dual_mov_b32 v32, 0 :: v_dual_mov_b32 v30, 0
	;; [unrolled: 1-line block ×4, first 2 shown]
	s_mov_b64 s[10:11], 0
	s_branch .LBB243_9
.LBB243_8:                              ;   in Loop: Header=BB243_9 Depth=2
	s_wait_xcnt 0x0
	s_or_b32 exec_lo, exec_lo, s34
	s_wait_loadcnt 0x0
	ds_store_b64 v27, v[2:3]
	s_wait_dscnt 0x0
	s_barrier_signal -1
	s_barrier_wait -1
	ds_load_b128 v[42:45], v29
	ds_load_b128 v[46:49], v29 offset:16
	ds_load_b128 v[50:53], v29 offset:32
	;; [unrolled: 1-line block ×3, first 2 shown]
	ds_load_2addr_b64 v[54:57], v5 offset1:16
	s_add_nc_u64 s[10:11], s[10:11], 8
	s_delay_alu instid0(SALU_CYCLE_1) | instskip(SKIP_3) | instid1(VALU_DEP_1)
	v_cmp_gt_i64_e64 s34, s[12:13], s[10:11]
	s_and_b32 vcc_lo, exec_lo, s34
	s_wait_dscnt 0x0
	v_dual_mul_f32 v20, v43, v55 :: v_dual_mul_f32 v31, v42, v55
	v_dual_mul_f32 v33, v42, v57 :: v_dual_fma_f32 v20, v42, v54, -v20
	s_delay_alu instid0(VALU_DEP_1) | instskip(NEXT) | instid1(VALU_DEP_1)
	v_dual_fmac_f32 v31, v43, v54 :: v_dual_fmac_f32 v33, v43, v56
	v_dual_add_f32 v20, v38, v20 :: v_dual_add_f32 v38, v40, v31
	v_mul_f32_e32 v31, v43, v57
	s_delay_alu instid0(VALU_DEP_1) | instskip(NEXT) | instid1(VALU_DEP_1)
	v_dual_add_f32 v40, v36, v33 :: v_dual_fma_f32 v31, v42, v56, -v31
	v_add_f32_e32 v39, v34, v31
	ds_load_b128 v[34:37], v29 offset:1024
	s_wait_dscnt 0x0
	v_dual_mul_f32 v31, v35, v55 :: v_dual_mul_f32 v33, v34, v55
	s_delay_alu instid0(VALU_DEP_1) | instskip(NEXT) | instid1(VALU_DEP_1)
	v_dual_fma_f32 v31, v34, v54, -v31 :: v_dual_fmac_f32 v33, v35, v54
	v_dual_add_f32 v41, v30, v31 :: v_dual_add_f32 v42, v32, v33
	v_dual_mul_f32 v30, v35, v57 :: v_dual_mul_f32 v31, v34, v57
	s_delay_alu instid0(VALU_DEP_1) | instskip(NEXT) | instid1(VALU_DEP_1)
	v_dual_fma_f32 v30, v34, v56, -v30 :: v_dual_fmac_f32 v31, v35, v56
	v_dual_add_f32 v26, v26, v30 :: v_dual_add_f32 v28, v28, v31
	ds_load_2addr_b64 v[30:33], v5 offset0:32 offset1:48
	s_wait_dscnt 0x0
	v_dual_mul_f32 v34, v45, v31 :: v_dual_mul_f32 v35, v44, v31
	s_delay_alu instid0(VALU_DEP_1) | instskip(NEXT) | instid1(VALU_DEP_1)
	v_dual_fma_f32 v34, v44, v30, -v34 :: v_dual_fmac_f32 v35, v45, v30
	v_dual_add_f32 v20, v20, v34 :: v_dual_add_f32 v34, v38, v35
	v_dual_mul_f32 v35, v45, v33 :: v_dual_mul_f32 v38, v44, v33
	s_delay_alu instid0(VALU_DEP_1) | instskip(NEXT) | instid1(VALU_DEP_1)
	v_dual_fma_f32 v35, v44, v32, -v35 :: v_dual_fmac_f32 v38, v45, v32
	v_dual_add_f32 v35, v39, v35 :: v_dual_add_f32 v38, v40, v38
	v_dual_mul_f32 v39, v37, v31 :: v_dual_mul_f32 v31, v36, v31
	s_delay_alu instid0(VALU_DEP_1) | instskip(NEXT) | instid1(VALU_DEP_2)
	v_fmac_f32_e32 v31, v37, v30
	v_dual_fma_f32 v39, v36, v30, -v39 :: v_dual_mul_f32 v30, v37, v33
	s_delay_alu instid0(VALU_DEP_2) | instskip(NEXT) | instid1(VALU_DEP_2)
	v_add_f32_e32 v40, v42, v31
	v_dual_add_f32 v39, v41, v39 :: v_dual_fma_f32 v30, v36, v32, -v30
	s_delay_alu instid0(VALU_DEP_1) | instskip(NEXT) | instid1(VALU_DEP_1)
	v_dual_mul_f32 v31, v36, v33 :: v_dual_add_f32 v26, v26, v30
	v_fmac_f32_e32 v31, v37, v32
	s_delay_alu instid0(VALU_DEP_1) | instskip(SKIP_3) | instid1(VALU_DEP_1)
	v_add_f32_e32 v28, v28, v31
	ds_load_2addr_b64 v[30:33], v5 offset0:64 offset1:80
	s_wait_dscnt 0x0
	v_mul_f32_e32 v36, v47, v31
	v_dual_fma_f32 v36, v46, v30, -v36 :: v_dual_mul_f32 v37, v46, v31
	s_delay_alu instid0(VALU_DEP_1) | instskip(SKIP_1) | instid1(VALU_DEP_2)
	v_dual_add_f32 v20, v20, v36 :: v_dual_fmac_f32 v37, v47, v30
	v_mul_f32_e32 v36, v46, v33
	v_add_f32_e32 v41, v34, v37
	v_mul_f32_e32 v34, v47, v33
	s_delay_alu instid0(VALU_DEP_1) | instskip(NEXT) | instid1(VALU_DEP_1)
	v_fma_f32 v34, v46, v32, -v34
	v_add_f32_e32 v42, v35, v34
	v_fmac_f32_e32 v36, v47, v32
	s_delay_alu instid0(VALU_DEP_1) | instskip(SKIP_3) | instid1(VALU_DEP_1)
	v_add_f32_e32 v38, v38, v36
	ds_load_b128 v[34:37], v29 offset:1040
	s_wait_dscnt 0x0
	v_dual_mul_f32 v43, v35, v31 :: v_dual_mul_f32 v31, v34, v31
	v_fma_f32 v43, v34, v30, -v43
	s_delay_alu instid0(VALU_DEP_2) | instskip(NEXT) | instid1(VALU_DEP_2)
	v_dual_fmac_f32 v31, v35, v30 :: v_dual_mul_f32 v30, v35, v33
	v_add_f32_e32 v39, v39, v43
	s_delay_alu instid0(VALU_DEP_2) | instskip(NEXT) | instid1(VALU_DEP_1)
	v_dual_add_f32 v40, v40, v31 :: v_dual_mul_f32 v31, v34, v33
	v_dual_fma_f32 v30, v34, v32, -v30 :: v_dual_fmac_f32 v31, v35, v32
	s_delay_alu instid0(VALU_DEP_1) | instskip(SKIP_3) | instid1(VALU_DEP_1)
	v_dual_add_f32 v26, v26, v30 :: v_dual_add_f32 v28, v28, v31
	ds_load_2addr_b64 v[30:33], v5 offset0:96 offset1:112
	s_wait_dscnt 0x0
	v_dual_mul_f32 v34, v49, v31 :: v_dual_mul_f32 v35, v48, v31
	v_dual_fma_f32 v34, v48, v30, -v34 :: v_dual_fmac_f32 v35, v49, v30
	s_delay_alu instid0(VALU_DEP_1) | instskip(SKIP_1) | instid1(VALU_DEP_1)
	v_dual_add_f32 v20, v20, v34 :: v_dual_add_f32 v34, v41, v35
	v_mul_f32_e32 v41, v48, v33
	v_fmac_f32_e32 v41, v49, v32
	s_delay_alu instid0(VALU_DEP_1) | instskip(SKIP_1) | instid1(VALU_DEP_2)
	v_dual_add_f32 v38, v38, v41 :: v_dual_mul_f32 v41, v37, v31
	v_dual_mul_f32 v35, v49, v33 :: v_dual_mul_f32 v31, v36, v31
	v_fma_f32 v41, v36, v30, -v41
	s_delay_alu instid0(VALU_DEP_2) | instskip(NEXT) | instid1(VALU_DEP_3)
	v_fma_f32 v35, v48, v32, -v35
	v_dual_fmac_f32 v31, v37, v30 :: v_dual_mul_f32 v30, v37, v33
	s_delay_alu instid0(VALU_DEP_2) | instskip(NEXT) | instid1(VALU_DEP_2)
	v_dual_add_f32 v39, v39, v41 :: v_dual_add_f32 v35, v42, v35
	v_add_f32_e32 v40, v40, v31
	s_delay_alu instid0(VALU_DEP_3) | instskip(NEXT) | instid1(VALU_DEP_1)
	v_dual_fma_f32 v30, v36, v32, -v30 :: v_dual_mul_f32 v31, v36, v33
	v_dual_fmac_f32 v31, v37, v32 :: v_dual_add_f32 v26, v26, v30
	s_delay_alu instid0(VALU_DEP_1) | instskip(SKIP_3) | instid1(VALU_DEP_1)
	v_add_f32_e32 v28, v28, v31
	ds_load_2addr_b64 v[30:33], v5 offset0:128 offset1:144
	s_wait_dscnt 0x0
	v_dual_mul_f32 v36, v51, v31 :: v_dual_mul_f32 v37, v50, v31
	v_dual_fma_f32 v36, v50, v30, -v36 :: v_dual_fmac_f32 v37, v51, v30
	s_delay_alu instid0(VALU_DEP_1) | instskip(SKIP_1) | instid1(VALU_DEP_1)
	v_dual_add_f32 v20, v20, v36 :: v_dual_add_f32 v41, v34, v37
	v_dual_mul_f32 v34, v51, v33 :: v_dual_mul_f32 v36, v50, v33
	v_dual_fma_f32 v34, v50, v32, -v34 :: v_dual_fmac_f32 v36, v51, v32
	s_delay_alu instid0(VALU_DEP_1) | instskip(SKIP_3) | instid1(VALU_DEP_1)
	v_dual_add_f32 v42, v35, v34 :: v_dual_add_f32 v38, v38, v36
	ds_load_b128 v[34:37], v29 offset:1056
	s_wait_dscnt 0x0
	v_dual_mul_f32 v43, v35, v31 :: v_dual_mul_f32 v31, v34, v31
	v_fmac_f32_e32 v31, v35, v30
	s_delay_alu instid0(VALU_DEP_2) | instskip(NEXT) | instid1(VALU_DEP_2)
	v_dual_fma_f32 v43, v34, v30, -v43 :: v_dual_mul_f32 v30, v35, v33
	v_dual_add_f32 v40, v40, v31 :: v_dual_mul_f32 v31, v34, v33
	s_delay_alu instid0(VALU_DEP_2) | instskip(NEXT) | instid1(VALU_DEP_1)
	v_dual_add_f32 v39, v39, v43 :: v_dual_fma_f32 v30, v34, v32, -v30
	v_dual_fmac_f32 v31, v35, v32 :: v_dual_add_f32 v26, v26, v30
	s_delay_alu instid0(VALU_DEP_1) | instskip(SKIP_3) | instid1(VALU_DEP_1)
	v_add_f32_e32 v28, v28, v31
	ds_load_2addr_b64 v[30:33], v5 offset0:160 offset1:176
	s_wait_dscnt 0x0
	v_dual_mul_f32 v34, v53, v31 :: v_dual_mul_f32 v35, v52, v31
	v_dual_fma_f32 v34, v52, v30, -v34 :: v_dual_fmac_f32 v35, v53, v30
	s_delay_alu instid0(VALU_DEP_1) | instskip(SKIP_1) | instid1(VALU_DEP_1)
	v_dual_add_f32 v20, v20, v34 :: v_dual_add_f32 v34, v41, v35
	v_mul_f32_e32 v41, v52, v33
	v_fmac_f32_e32 v41, v53, v32
	s_delay_alu instid0(VALU_DEP_1) | instskip(SKIP_1) | instid1(VALU_DEP_2)
	v_dual_add_f32 v38, v38, v41 :: v_dual_mul_f32 v41, v37, v31
	v_dual_mul_f32 v35, v53, v33 :: v_dual_mul_f32 v31, v36, v31
	v_fma_f32 v41, v36, v30, -v41
	s_delay_alu instid0(VALU_DEP_2) | instskip(NEXT) | instid1(VALU_DEP_3)
	v_fma_f32 v35, v52, v32, -v35
	v_dual_fmac_f32 v31, v37, v30 :: v_dual_mul_f32 v30, v37, v33
	s_delay_alu instid0(VALU_DEP_2) | instskip(NEXT) | instid1(VALU_DEP_2)
	v_dual_add_f32 v39, v39, v41 :: v_dual_add_f32 v35, v42, v35
	v_add_f32_e32 v44, v40, v31
	s_delay_alu instid0(VALU_DEP_3) | instskip(SKIP_2) | instid1(VALU_DEP_1)
	v_dual_fma_f32 v30, v36, v32, -v30 :: v_dual_mul_f32 v31, v36, v33
	ds_load_b128 v[40:43], v29 offset:1072
	v_dual_fmac_f32 v31, v37, v32 :: v_dual_add_f32 v26, v26, v30
	v_add_f32_e32 v28, v28, v31
	ds_load_2addr_b64 v[30:33], v5 offset0:192 offset1:208
	s_wait_dscnt 0x0
	v_dual_mul_f32 v36, v1, v31 :: v_dual_mul_f32 v37, v0, v31
	s_delay_alu instid0(VALU_DEP_1) | instskip(NEXT) | instid1(VALU_DEP_1)
	v_dual_fma_f32 v36, v0, v30, -v36 :: v_dual_fmac_f32 v37, v1, v30
	v_dual_add_f32 v20, v20, v36 :: v_dual_add_f32 v34, v34, v37
	v_mul_f32_e32 v36, v1, v33
	s_delay_alu instid0(VALU_DEP_1) | instskip(NEXT) | instid1(VALU_DEP_1)
	v_dual_fma_f32 v36, v0, v32, -v36 :: v_dual_mul_f32 v0, v0, v33
	v_fmac_f32_e32 v0, v1, v32
	s_delay_alu instid0(VALU_DEP_2) | instskip(NEXT) | instid1(VALU_DEP_1)
	v_dual_add_f32 v1, v35, v36 :: v_dual_mul_f32 v35, v41, v31
	v_dual_mul_f32 v31, v40, v31 :: v_dual_fma_f32 v35, v40, v30, -v35
	s_delay_alu instid0(VALU_DEP_1) | instskip(NEXT) | instid1(VALU_DEP_2)
	v_dual_add_f32 v0, v38, v0 :: v_dual_fmac_f32 v31, v41, v30
	v_dual_add_f32 v30, v39, v35 :: v_dual_mul_f32 v35, v41, v33
	v_mul_f32_e32 v33, v40, v33
	s_delay_alu instid0(VALU_DEP_3)
	v_add_f32_e32 v31, v44, v31
	ds_load_2addr_b64 v[44:47], v5 offset0:224 offset1:240
	s_wait_dscnt 0x0
	v_dual_fma_f32 v35, v40, v32, -v35 :: v_dual_fmac_f32 v33, v41, v32
	s_barrier_signal -1
	s_barrier_wait -1
	s_delay_alu instid0(VALU_DEP_1) | instskip(SKIP_1) | instid1(VALU_DEP_1)
	v_dual_add_f32 v26, v26, v35 :: v_dual_add_f32 v28, v28, v33
	v_dual_mul_f32 v32, v3, v45 :: v_dual_mul_f32 v33, v2, v45
	v_dual_fma_f32 v32, v2, v44, -v32 :: v_dual_fmac_f32 v33, v3, v44
	s_delay_alu instid0(VALU_DEP_1) | instskip(SKIP_1) | instid1(VALU_DEP_1)
	v_dual_add_f32 v38, v20, v32 :: v_dual_add_f32 v40, v34, v33
	v_mul_f32_e32 v20, v3, v47
	v_dual_fma_f32 v20, v2, v46, -v20 :: v_dual_mul_f32 v2, v2, v47
	s_delay_alu instid0(VALU_DEP_1) | instskip(NEXT) | instid1(VALU_DEP_1)
	v_dual_fmac_f32 v2, v3, v46 :: v_dual_add_f32 v34, v1, v20
	v_dual_mul_f32 v1, v42, v45 :: v_dual_add_f32 v36, v0, v2
	s_delay_alu instid0(VALU_DEP_1) | instskip(NEXT) | instid1(VALU_DEP_1)
	v_dual_mul_f32 v0, v43, v45 :: v_dual_fmac_f32 v1, v43, v44
	v_dual_fma_f32 v0, v42, v44, -v0 :: v_dual_add_f32 v32, v31, v1
	v_mul_f32_e32 v1, v42, v47
	s_delay_alu instid0(VALU_DEP_2) | instskip(NEXT) | instid1(VALU_DEP_1)
	v_dual_add_f32 v30, v30, v0 :: v_dual_mul_f32 v0, v43, v47
	v_dual_fmac_f32 v1, v43, v46 :: v_dual_fma_f32 v0, v42, v46, -v0
	s_delay_alu instid0(VALU_DEP_1)
	v_dual_add_f32 v28, v28, v1 :: v_dual_add_f32 v26, v26, v0
	s_cbranch_vccz .LBB243_15
.LBB243_9:                              ;   Parent Loop BB243_6 Depth=1
                                        ; =>  This Inner Loop Header: Depth=2
	v_dual_mov_b32 v0, 0 :: v_dual_mov_b32 v1, 0
	s_and_saveexec_b32 s34, s0
	s_cbranch_execz .LBB243_13
; %bb.10:                               ;   in Loop: Header=BB243_9 Depth=2
	v_dual_mov_b32 v1, 0 :: v_dual_add_nc_u32 v20, s10, v6
	v_mov_b32_e32 v0, 0
	s_mov_b32 s35, exec_lo
	s_delay_alu instid0(VALU_DEP_2)
	v_cmpx_gt_u64_e64 s[12:13], v[20:21]
	s_cbranch_execz .LBB243_12
; %bb.11:                               ;   in Loop: Header=BB243_9 Depth=2
	v_mul_u64_e32 v[0:1], s[6:7], v[20:21]
	s_delay_alu instid0(VALU_DEP_1)
	v_lshl_add_u64 v[0:1], v[0:1], 3, v[22:23]
	global_load_b64 v[0:1], v[0:1], off
.LBB243_12:                             ;   in Loop: Header=BB243_9 Depth=2
	s_wait_xcnt 0x0
	s_or_b32 exec_lo, exec_lo, s35
.LBB243_13:                             ;   in Loop: Header=BB243_9 Depth=2
	s_delay_alu instid0(SALU_CYCLE_1)
	s_or_b32 exec_lo, exec_lo, s34
	v_dual_add_nc_u32 v20, s10, v4 :: v_dual_mov_b32 v2, 0
	v_mov_b32_e32 v3, 0
	s_wait_loadcnt 0x0
	ds_store_b64 v7, v[0:1]
	v_cmp_gt_u64_e32 vcc_lo, s[12:13], v[20:21]
	s_and_b32 s35, vcc_lo, s1
	s_delay_alu instid0(SALU_CYCLE_1)
	s_and_saveexec_b32 s34, s35
	s_cbranch_execz .LBB243_8
; %bb.14:                               ;   in Loop: Header=BB243_9 Depth=2
	v_lshl_add_u64 v[0:1], v[20:21], 3, v[24:25]
	global_load_b64 v[2:3], v[0:1], off
	s_branch .LBB243_8
.LBB243_15:                             ;   in Loop: Header=BB243_6 Depth=1
	s_mul_u64 s[10:11], s[16:17], s[26:27]
	s_delay_alu instid0(SALU_CYCLE_1) | instskip(NEXT) | instid1(SALU_CYCLE_1)
	s_lshl_b64 s[10:11], s[10:11], 3
	s_add_nc_u64 s[10:11], s[20:21], s[10:11]
	s_delay_alu instid0(SALU_CYCLE_1)
	v_lshl_add_u64 v[0:1], v[10:11], 3, s[10:11]
	s_and_saveexec_b32 s34, s23
	s_cbranch_execz .LBB243_20
; %bb.16:                               ;   in Loop: Header=BB243_6 Depth=1
	v_mov_b64_e32 v[2:3], s[4:5]
	v_mov_b64_e32 v[22:23], s[14:15]
	s_and_b32 vcc_lo, exec_lo, s22
	s_mov_b32 s35, -1
	s_delay_alu instid0(VALU_DEP_2) | instskip(NEXT) | instid1(VALU_DEP_1)
	v_pk_mul_f32 v[2:3], v[40:41], v[2:3] op_sel_hi:[0,1]
	v_pk_fma_f32 v[24:25], v[38:39], v[22:23], v[2:3] op_sel_hi:[0,1,1]
	v_pk_fma_f32 v[2:3], v[38:39], v[22:23], v[2:3] neg_lo:[0,0,1] neg_hi:[0,0,1]
	v_lshl_add_u64 v[22:23], v[8:9], 3, v[0:1]
	s_delay_alu instid0(VALU_DEP_3)
	v_mov_b32_e32 v3, v25
	s_cbranch_vccz .LBB243_18
; %bb.17:                               ;   in Loop: Header=BB243_6 Depth=1
	global_load_b64 v[24:25], v[22:23], off
	v_mov_b64_e32 v[38:39], s[24:25]
	v_mov_b64_e32 v[40:41], s[2:3]
	s_mov_b32 s35, 0
	s_wait_loadcnt 0x0
	s_delay_alu instid0(VALU_DEP_2) | instskip(NEXT) | instid1(VALU_DEP_1)
	v_pk_mul_f32 v[38:39], v[24:25], v[38:39]
	v_pk_fma_f32 v[42:43], v[24:25], v[40:41], v[38:39] op_sel:[0,0,1] op_sel_hi:[1,1,0]
	v_pk_fma_f32 v[24:25], v[24:25], v[40:41], v[38:39] op_sel:[0,0,1] op_sel_hi:[1,1,0] neg_lo:[0,0,1] neg_hi:[0,0,1]
	s_delay_alu instid0(VALU_DEP_2) | instskip(NEXT) | instid1(VALU_DEP_1)
	v_mov_b32_e32 v25, v43
	v_pk_add_f32 v[24:25], v[2:3], v[24:25]
	global_store_b64 v[22:23], v[24:25], off
.LBB243_18:                             ;   in Loop: Header=BB243_6 Depth=1
	s_and_not1_b32 vcc_lo, exec_lo, s35
	s_cbranch_vccnz .LBB243_20
; %bb.19:                               ;   in Loop: Header=BB243_6 Depth=1
	global_store_b64 v[22:23], v[2:3], off
.LBB243_20:                             ;   in Loop: Header=BB243_6 Depth=1
	s_wait_xcnt 0x0
	s_or_b32 exec_lo, exec_lo, s34
	s_and_saveexec_b32 s34, s29
	s_cbranch_execz .LBB243_25
; %bb.21:                               ;   in Loop: Header=BB243_6 Depth=1
	v_mov_b64_e32 v[2:3], s[4:5]
	v_mov_b64_e32 v[22:23], s[14:15]
	v_lshl_add_u64 v[0:1], v[18:19], 3, v[0:1]
	s_and_not1_b32 vcc_lo, exec_lo, s22
	s_mov_b32 s35, -1
	s_delay_alu instid0(VALU_DEP_3) | instskip(NEXT) | instid1(VALU_DEP_1)
	v_pk_mul_f32 v[2:3], v[36:37], v[2:3] op_sel_hi:[0,1]
	v_pk_fma_f32 v[24:25], v[34:35], v[22:23], v[2:3] op_sel_hi:[0,1,1]
	v_pk_fma_f32 v[2:3], v[34:35], v[22:23], v[2:3] neg_lo:[0,0,1] neg_hi:[0,0,1]
	s_delay_alu instid0(VALU_DEP_2)
	v_mov_b32_e32 v3, v25
	s_cbranch_vccnz .LBB243_23
; %bb.22:                               ;   in Loop: Header=BB243_6 Depth=1
	global_load_b64 v[22:23], v[0:1], off
	v_mov_b64_e32 v[24:25], s[24:25]
	v_mov_b64_e32 v[34:35], s[2:3]
	s_mov_b32 s35, 0
	s_wait_loadcnt 0x0
	s_delay_alu instid0(VALU_DEP_2) | instskip(NEXT) | instid1(VALU_DEP_1)
	v_pk_mul_f32 v[24:25], v[22:23], v[24:25]
	v_pk_fma_f32 v[36:37], v[22:23], v[34:35], v[24:25] op_sel:[0,0,1] op_sel_hi:[1,1,0]
	v_pk_fma_f32 v[22:23], v[22:23], v[34:35], v[24:25] op_sel:[0,0,1] op_sel_hi:[1,1,0] neg_lo:[0,0,1] neg_hi:[0,0,1]
	s_delay_alu instid0(VALU_DEP_2) | instskip(NEXT) | instid1(VALU_DEP_1)
	v_mov_b32_e32 v23, v37
	v_pk_add_f32 v[22:23], v[2:3], v[22:23]
	global_store_b64 v[0:1], v[22:23], off
.LBB243_23:                             ;   in Loop: Header=BB243_6 Depth=1
	s_and_not1_b32 vcc_lo, exec_lo, s35
	s_cbranch_vccnz .LBB243_25
; %bb.24:                               ;   in Loop: Header=BB243_6 Depth=1
	global_store_b64 v[0:1], v[2:3], off
.LBB243_25:                             ;   in Loop: Header=BB243_6 Depth=1
	s_wait_xcnt 0x0
	s_or_b32 exec_lo, exec_lo, s34
	v_lshl_add_u64 v[0:1], v[12:13], 3, s[10:11]
	s_and_saveexec_b32 s10, s30
	s_cbranch_execz .LBB243_30
; %bb.26:                               ;   in Loop: Header=BB243_6 Depth=1
	v_mov_b64_e32 v[2:3], s[4:5]
	v_mov_b64_e32 v[22:23], s[14:15]
	s_and_not1_b32 vcc_lo, exec_lo, s22
	s_mov_b32 s11, -1
	s_delay_alu instid0(VALU_DEP_2) | instskip(NEXT) | instid1(VALU_DEP_1)
	v_pk_mul_f32 v[2:3], v[32:33], v[2:3] op_sel_hi:[0,1]
	v_pk_fma_f32 v[24:25], v[30:31], v[22:23], v[2:3] op_sel_hi:[0,1,1]
	v_pk_fma_f32 v[2:3], v[30:31], v[22:23], v[2:3] neg_lo:[0,0,1] neg_hi:[0,0,1]
	v_lshl_add_u64 v[22:23], v[8:9], 3, v[0:1]
	s_delay_alu instid0(VALU_DEP_3)
	v_mov_b32_e32 v3, v25
	s_cbranch_vccnz .LBB243_28
; %bb.27:                               ;   in Loop: Header=BB243_6 Depth=1
	global_load_b64 v[24:25], v[22:23], off
	v_mov_b64_e32 v[30:31], s[24:25]
	v_mov_b64_e32 v[32:33], s[2:3]
	s_mov_b32 s11, 0
	s_wait_loadcnt 0x0
	s_delay_alu instid0(VALU_DEP_2) | instskip(NEXT) | instid1(VALU_DEP_1)
	v_pk_mul_f32 v[30:31], v[24:25], v[30:31]
	v_pk_fma_f32 v[34:35], v[24:25], v[32:33], v[30:31] op_sel:[0,0,1] op_sel_hi:[1,1,0]
	v_pk_fma_f32 v[24:25], v[24:25], v[32:33], v[30:31] op_sel:[0,0,1] op_sel_hi:[1,1,0] neg_lo:[0,0,1] neg_hi:[0,0,1]
	s_delay_alu instid0(VALU_DEP_2) | instskip(NEXT) | instid1(VALU_DEP_1)
	v_mov_b32_e32 v25, v35
	v_pk_add_f32 v[24:25], v[2:3], v[24:25]
	global_store_b64 v[22:23], v[24:25], off
.LBB243_28:                             ;   in Loop: Header=BB243_6 Depth=1
	s_and_not1_b32 vcc_lo, exec_lo, s11
	s_cbranch_vccnz .LBB243_30
; %bb.29:                               ;   in Loop: Header=BB243_6 Depth=1
	global_store_b64 v[22:23], v[2:3], off
.LBB243_30:                             ;   in Loop: Header=BB243_6 Depth=1
	s_wait_xcnt 0x0
	s_or_b32 exec_lo, exec_lo, s10
	s_and_saveexec_b32 s10, s31
	s_cbranch_execz .LBB243_5
; %bb.31:                               ;   in Loop: Header=BB243_6 Depth=1
	v_mov_b64_e32 v[2:3], s[4:5]
	v_mov_b64_e32 v[22:23], s[14:15]
	v_lshl_add_u64 v[0:1], v[18:19], 3, v[0:1]
	s_and_not1_b32 vcc_lo, exec_lo, s22
	s_mov_b32 s11, -1
	s_delay_alu instid0(VALU_DEP_3) | instskip(NEXT) | instid1(VALU_DEP_1)
	v_pk_mul_f32 v[2:3], v[28:29], v[2:3] op_sel_hi:[0,1]
	v_pk_fma_f32 v[24:25], v[26:27], v[22:23], v[2:3] op_sel_hi:[0,1,1]
	v_pk_fma_f32 v[2:3], v[26:27], v[22:23], v[2:3] neg_lo:[0,0,1] neg_hi:[0,0,1]
	s_delay_alu instid0(VALU_DEP_2)
	v_mov_b32_e32 v3, v25
	s_cbranch_vccnz .LBB243_33
; %bb.32:                               ;   in Loop: Header=BB243_6 Depth=1
	global_load_b64 v[22:23], v[0:1], off
	v_mov_b64_e32 v[24:25], s[24:25]
	v_mov_b64_e32 v[30:31], s[2:3]
	s_mov_b32 s11, 0
	s_wait_loadcnt 0x0
	s_delay_alu instid0(VALU_DEP_2) | instskip(NEXT) | instid1(VALU_DEP_1)
	v_pk_mul_f32 v[24:25], v[22:23], v[24:25]
	v_pk_fma_f32 v[32:33], v[22:23], v[30:31], v[24:25] op_sel:[0,0,1] op_sel_hi:[1,1,0]
	v_pk_fma_f32 v[22:23], v[22:23], v[30:31], v[24:25] op_sel:[0,0,1] op_sel_hi:[1,1,0] neg_lo:[0,0,1] neg_hi:[0,0,1]
	s_delay_alu instid0(VALU_DEP_2) | instskip(NEXT) | instid1(VALU_DEP_1)
	v_mov_b32_e32 v23, v33
	v_pk_add_f32 v[22:23], v[2:3], v[22:23]
	global_store_b64 v[0:1], v[22:23], off
.LBB243_33:                             ;   in Loop: Header=BB243_6 Depth=1
	s_and_not1_b32 vcc_lo, exec_lo, s11
	s_cbranch_vccnz .LBB243_5
; %bb.34:                               ;   in Loop: Header=BB243_6 Depth=1
	global_store_b64 v[0:1], v[2:3], off
	s_branch .LBB243_5
.LBB243_35:
	s_endpgm
	.section	.rodata,"a",@progbits
	.p2align	6, 0x0
	.amdhsa_kernel _ZL29rocblas_internal_gemmt_kernelIlLi16ELi32ELi8ELc78ELc78ELc76ELb0ELb0E19rocblas_complex_numIfES1_PKS1_PS1_EviT_T9_T10_S5_lS7_S5_lS6_T11_S5_li
		.amdhsa_group_segment_fixed_size 4096
		.amdhsa_private_segment_fixed_size 0
		.amdhsa_kernarg_size 108
		.amdhsa_user_sgpr_count 2
		.amdhsa_user_sgpr_dispatch_ptr 0
		.amdhsa_user_sgpr_queue_ptr 0
		.amdhsa_user_sgpr_kernarg_segment_ptr 1
		.amdhsa_user_sgpr_dispatch_id 0
		.amdhsa_user_sgpr_kernarg_preload_length 0
		.amdhsa_user_sgpr_kernarg_preload_offset 0
		.amdhsa_user_sgpr_private_segment_size 0
		.amdhsa_wavefront_size32 1
		.amdhsa_uses_dynamic_stack 0
		.amdhsa_enable_private_segment 0
		.amdhsa_system_sgpr_workgroup_id_x 1
		.amdhsa_system_sgpr_workgroup_id_y 1
		.amdhsa_system_sgpr_workgroup_id_z 1
		.amdhsa_system_sgpr_workgroup_info 0
		.amdhsa_system_vgpr_workitem_id 1
		.amdhsa_next_free_vgpr 58
		.amdhsa_next_free_sgpr 36
		.amdhsa_named_barrier_count 0
		.amdhsa_reserve_vcc 1
		.amdhsa_float_round_mode_32 0
		.amdhsa_float_round_mode_16_64 0
		.amdhsa_float_denorm_mode_32 3
		.amdhsa_float_denorm_mode_16_64 3
		.amdhsa_fp16_overflow 0
		.amdhsa_memory_ordered 1
		.amdhsa_forward_progress 1
		.amdhsa_inst_pref_size 25
		.amdhsa_round_robin_scheduling 0
		.amdhsa_exception_fp_ieee_invalid_op 0
		.amdhsa_exception_fp_denorm_src 0
		.amdhsa_exception_fp_ieee_div_zero 0
		.amdhsa_exception_fp_ieee_overflow 0
		.amdhsa_exception_fp_ieee_underflow 0
		.amdhsa_exception_fp_ieee_inexact 0
		.amdhsa_exception_int_div_zero 0
	.end_amdhsa_kernel
	.section	.text._ZL29rocblas_internal_gemmt_kernelIlLi16ELi32ELi8ELc78ELc78ELc76ELb0ELb0E19rocblas_complex_numIfES1_PKS1_PS1_EviT_T9_T10_S5_lS7_S5_lS6_T11_S5_li,"axG",@progbits,_ZL29rocblas_internal_gemmt_kernelIlLi16ELi32ELi8ELc78ELc78ELc76ELb0ELb0E19rocblas_complex_numIfES1_PKS1_PS1_EviT_T9_T10_S5_lS7_S5_lS6_T11_S5_li,comdat
.Lfunc_end243:
	.size	_ZL29rocblas_internal_gemmt_kernelIlLi16ELi32ELi8ELc78ELc78ELc76ELb0ELb0E19rocblas_complex_numIfES1_PKS1_PS1_EviT_T9_T10_S5_lS7_S5_lS6_T11_S5_li, .Lfunc_end243-_ZL29rocblas_internal_gemmt_kernelIlLi16ELi32ELi8ELc78ELc78ELc76ELb0ELb0E19rocblas_complex_numIfES1_PKS1_PS1_EviT_T9_T10_S5_lS7_S5_lS6_T11_S5_li
                                        ; -- End function
	.set _ZL29rocblas_internal_gemmt_kernelIlLi16ELi32ELi8ELc78ELc78ELc76ELb0ELb0E19rocblas_complex_numIfES1_PKS1_PS1_EviT_T9_T10_S5_lS7_S5_lS6_T11_S5_li.num_vgpr, 58
	.set _ZL29rocblas_internal_gemmt_kernelIlLi16ELi32ELi8ELc78ELc78ELc76ELb0ELb0E19rocblas_complex_numIfES1_PKS1_PS1_EviT_T9_T10_S5_lS7_S5_lS6_T11_S5_li.num_agpr, 0
	.set _ZL29rocblas_internal_gemmt_kernelIlLi16ELi32ELi8ELc78ELc78ELc76ELb0ELb0E19rocblas_complex_numIfES1_PKS1_PS1_EviT_T9_T10_S5_lS7_S5_lS6_T11_S5_li.numbered_sgpr, 36
	.set _ZL29rocblas_internal_gemmt_kernelIlLi16ELi32ELi8ELc78ELc78ELc76ELb0ELb0E19rocblas_complex_numIfES1_PKS1_PS1_EviT_T9_T10_S5_lS7_S5_lS6_T11_S5_li.num_named_barrier, 0
	.set _ZL29rocblas_internal_gemmt_kernelIlLi16ELi32ELi8ELc78ELc78ELc76ELb0ELb0E19rocblas_complex_numIfES1_PKS1_PS1_EviT_T9_T10_S5_lS7_S5_lS6_T11_S5_li.private_seg_size, 0
	.set _ZL29rocblas_internal_gemmt_kernelIlLi16ELi32ELi8ELc78ELc78ELc76ELb0ELb0E19rocblas_complex_numIfES1_PKS1_PS1_EviT_T9_T10_S5_lS7_S5_lS6_T11_S5_li.uses_vcc, 1
	.set _ZL29rocblas_internal_gemmt_kernelIlLi16ELi32ELi8ELc78ELc78ELc76ELb0ELb0E19rocblas_complex_numIfES1_PKS1_PS1_EviT_T9_T10_S5_lS7_S5_lS6_T11_S5_li.uses_flat_scratch, 0
	.set _ZL29rocblas_internal_gemmt_kernelIlLi16ELi32ELi8ELc78ELc78ELc76ELb0ELb0E19rocblas_complex_numIfES1_PKS1_PS1_EviT_T9_T10_S5_lS7_S5_lS6_T11_S5_li.has_dyn_sized_stack, 0
	.set _ZL29rocblas_internal_gemmt_kernelIlLi16ELi32ELi8ELc78ELc78ELc76ELb0ELb0E19rocblas_complex_numIfES1_PKS1_PS1_EviT_T9_T10_S5_lS7_S5_lS6_T11_S5_li.has_recursion, 0
	.set _ZL29rocblas_internal_gemmt_kernelIlLi16ELi32ELi8ELc78ELc78ELc76ELb0ELb0E19rocblas_complex_numIfES1_PKS1_PS1_EviT_T9_T10_S5_lS7_S5_lS6_T11_S5_li.has_indirect_call, 0
	.section	.AMDGPU.csdata,"",@progbits
; Kernel info:
; codeLenInByte = 3192
; TotalNumSgprs: 38
; NumVgprs: 58
; ScratchSize: 0
; MemoryBound: 0
; FloatMode: 240
; IeeeMode: 1
; LDSByteSize: 4096 bytes/workgroup (compile time only)
; SGPRBlocks: 0
; VGPRBlocks: 3
; NumSGPRsForWavesPerEU: 38
; NumVGPRsForWavesPerEU: 58
; NamedBarCnt: 0
; Occupancy: 16
; WaveLimiterHint : 0
; COMPUTE_PGM_RSRC2:SCRATCH_EN: 0
; COMPUTE_PGM_RSRC2:USER_SGPR: 2
; COMPUTE_PGM_RSRC2:TRAP_HANDLER: 0
; COMPUTE_PGM_RSRC2:TGID_X_EN: 1
; COMPUTE_PGM_RSRC2:TGID_Y_EN: 1
; COMPUTE_PGM_RSRC2:TGID_Z_EN: 1
; COMPUTE_PGM_RSRC2:TIDIG_COMP_CNT: 1
	.section	.text._ZL29rocblas_internal_gemmt_kernelIlLi16ELi32ELi8ELc78ELc84ELc76ELb0ELb0E19rocblas_complex_numIfES1_PKS1_PS1_EviT_T9_T10_S5_lS7_S5_lS6_T11_S5_li,"axG",@progbits,_ZL29rocblas_internal_gemmt_kernelIlLi16ELi32ELi8ELc78ELc84ELc76ELb0ELb0E19rocblas_complex_numIfES1_PKS1_PS1_EviT_T9_T10_S5_lS7_S5_lS6_T11_S5_li,comdat
	.globl	_ZL29rocblas_internal_gemmt_kernelIlLi16ELi32ELi8ELc78ELc84ELc76ELb0ELb0E19rocblas_complex_numIfES1_PKS1_PS1_EviT_T9_T10_S5_lS7_S5_lS6_T11_S5_li ; -- Begin function _ZL29rocblas_internal_gemmt_kernelIlLi16ELi32ELi8ELc78ELc84ELc76ELb0ELb0E19rocblas_complex_numIfES1_PKS1_PS1_EviT_T9_T10_S5_lS7_S5_lS6_T11_S5_li
	.p2align	8
	.type	_ZL29rocblas_internal_gemmt_kernelIlLi16ELi32ELi8ELc78ELc84ELc76ELb0ELb0E19rocblas_complex_numIfES1_PKS1_PS1_EviT_T9_T10_S5_lS7_S5_lS6_T11_S5_li,@function
_ZL29rocblas_internal_gemmt_kernelIlLi16ELi32ELi8ELc78ELc84ELc76ELb0ELb0E19rocblas_complex_numIfES1_PKS1_PS1_EviT_T9_T10_S5_lS7_S5_lS6_T11_S5_li: ; @_ZL29rocblas_internal_gemmt_kernelIlLi16ELi32ELi8ELc78ELc84ELc76ELb0ELb0E19rocblas_complex_numIfES1_PKS1_PS1_EviT_T9_T10_S5_lS7_S5_lS6_T11_S5_li
; %bb.0:
	s_clause 0x1
	s_load_b64 s[24:25], s[0:1], 0x48
	s_load_b128 s[12:15], s[0:1], 0x8
	s_wait_kmcnt 0x0
	s_cmp_neq_f32 s24, 1.0
	s_cselect_b32 s3, -1, 0
	s_and_b32 s4, s25, 0x7fffffff
	s_delay_alu instid0(SALU_CYCLE_1) | instskip(SKIP_3) | instid1(SALU_CYCLE_1)
	s_cmp_eq_u32 s4, 0
	s_cselect_b32 s2, -1, 0
	s_cmp_lg_u32 s4, 0
	s_cselect_b32 s4, -1, 0
	s_or_b32 s3, s3, s4
	s_delay_alu instid0(SALU_CYCLE_1)
	s_and_b32 vcc_lo, exec_lo, s3
	s_cbranch_vccnz .LBB244_2
; %bb.1:
	s_cmp_lg_u64 s[12:13], 0
	s_cselect_b32 s3, -1, 0
	s_cmp_neq_f32 s14, 0
	s_cselect_b32 s4, -1, 0
	s_cmp_neq_f32 s15, 0
	s_cselect_b32 s5, -1, 0
	s_delay_alu instid0(SALU_CYCLE_1) | instskip(NEXT) | instid1(SALU_CYCLE_1)
	s_or_b32 s4, s4, s5
	s_and_b32 s3, s3, s4
.LBB244_2:
	s_delay_alu instid0(SALU_CYCLE_1)
	s_and_not1_b32 vcc_lo, exec_lo, s3
	s_cbranch_vccnz .LBB244_35
; %bb.3:
	s_load_b32 s30, s[0:1], 0x68
	s_bfe_u32 s3, ttmp6, 0x40014
	s_lshr_b32 s4, ttmp7, 16
	s_add_co_i32 s3, s3, 1
	s_bfe_u32 s6, ttmp6, 0x40008
	s_mul_i32 s5, s4, s3
	s_getreg_b32 s3, hwreg(HW_REG_IB_STS2, 6, 4)
	s_add_co_i32 s6, s6, s5
	s_cmp_eq_u32 s3, 0
	s_mov_b32 s27, 0
	s_cselect_b32 s26, s4, s6
	s_wait_kmcnt 0x0
	s_cmp_ge_u32 s26, s30
	s_cbranch_scc1 .LBB244_35
; %bb.4:
	s_bfe_u32 s5, ttmp6, 0x4000c
	s_bfe_u32 s7, ttmp6, 0x40010
	s_and_b32 s6, ttmp7, 0xffff
	s_add_co_i32 s5, s5, 1
	s_add_co_i32 s7, s7, 1
	v_and_b32_e32 v15, 0x3ff, v0
	v_bfe_u32 v19, v0, 10, 10
	s_and_b32 s4, ttmp6, 15
	s_mul_i32 s5, ttmp9, s5
	s_mul_i32 s7, s6, s7
	s_bfe_u32 s8, ttmp6, 0x40004
	s_add_co_i32 s4, s4, s5
	s_add_co_i32 s8, s8, s7
	s_cmp_eq_u32 s3, 0
	v_and_b32_e32 v4, 7, v0
	v_lshl_add_u32 v0, v19, 4, v15
	s_cselect_b32 s3, ttmp9, s4
	s_cselect_b32 s4, s6, s8
	s_clause 0x2
	s_load_b128 s[16:19], s[0:1], 0x38
	s_load_b128 s[20:23], s[0:1], 0x50
	s_load_b64 s[28:29], s[0:1], 0x60
	s_lshl_b32 s33, s4, 5
	v_dual_lshrrev_b32 v3, 3, v0 :: v_dual_bitop2_b32 v1, 31, v0 bitop3:0x40
	v_add_nc_u32_e32 v20, s33, v19
	s_lshl_b32 s3, s3, 5
	s_delay_alu instid0(VALU_DEP_2) | instskip(NEXT) | instid1(VALU_DEP_3)
	v_dual_lshrrev_b32 v6, 5, v0 :: v_dual_add_nc_u32 v2, s33, v3
	v_dual_lshlrev_b32 v5, 3, v1 :: v_dual_bitop2_b32 v0, s3, v1 bitop3:0x54
	s_delay_alu instid0(VALU_DEP_3) | instskip(SKIP_1) | instid1(VALU_DEP_2)
	v_dual_add_nc_u32 v22, 16, v20 :: v_dual_ashrrev_i32 v21, 31, v20
	s_load_b32 s31, s[0:1], 0x0
	v_ashrrev_i32_e32 v1, 31, v0
	s_load_b256 s[4:11], s[0:1], 0x18
	s_delay_alu instid0(VALU_DEP_2)
	v_ashrrev_i32_e32 v23, 31, v22
	s_cmp_neq_f32 s14, 0
	v_dual_add_nc_u32 v14, s3, v15 :: v_dual_lshlrev_b32 v27, 3, v15
	s_wait_kmcnt 0x0
	v_mul_u64_e32 v[10:11], s[22:23], v[20:21]
	v_mul_u64_e32 v[12:13], s[22:23], v[22:23]
	s_cselect_b32 s34, -1, 0
	s_cmp_neq_f32 s15, 0
	v_dual_lshlrev_b32 v7, 3, v4 :: v_dual_add_nc_u32 v18, 16, v14
	v_ashrrev_i32_e32 v15, 31, v14
	s_cselect_b32 s0, -1, 0
	v_cmp_le_i32_e32 vcc_lo, v20, v14
	s_or_b32 s35, s34, s0
	s_cmp_neq_f32 s24, 0
	v_cmp_gt_i64_e64 s36, s[12:13], 0
	v_lshl_or_b32 v5, v6, 8, v5
	v_cmp_gt_i32_e64 s0, s31, v0
	s_cselect_b32 s3, -1, 0
	v_lshl_add_u64 v[8:9], v[0:1], 3, s[4:5]
	s_xor_b32 s4, s2, -1
	v_cmp_gt_i32_e64 s2, s31, v14
	v_lshl_or_b32 v0, v3, 6, v7
	v_ashrrev_i32_e32 v3, 31, v2
	s_or_b32 s22, s3, s4
	v_cmp_le_i32_e64 s3, v20, v18
	v_cmp_gt_i32_e64 s4, s31, v18
	s_and_b32 s23, vcc_lo, s2
	v_cmp_le_i32_e32 vcc_lo, v22, v14
	v_cmp_le_i32_e64 s5, v22, v18
	v_cmp_gt_i32_e64 s1, s31, v2
	v_add_nc_u32_e32 v7, 0x800, v0
	v_lshl_add_u64 v[16:17], v[2:3], 3, s[10:11]
	v_lshl_add_u32 v29, v19, 6, 0x800
	v_dual_ashrrev_i32 v19, 31, v18 :: v_dual_mov_b32 v21, 0
	s_and_b32 s31, s3, s4
	s_and_b32 s33, vcc_lo, s2
	s_and_b32 s34, s5, s4
	s_mov_b32 s2, s24
	s_mov_b32 s3, s24
	s_and_b32 s35, s35, s36
	s_mov_b32 s24, s25
	s_mov_b32 s4, s15
	;; [unrolled: 1-line block ×3, first 2 shown]
	s_branch .LBB244_6
.LBB244_5:                              ;   in Loop: Header=BB244_6 Depth=1
	s_wait_xcnt 0x0
	s_or_b32 exec_lo, exec_lo, s10
	s_add_co_i32 s26, s26, 0x10000
	s_delay_alu instid0(SALU_CYCLE_1)
	s_cmp_lt_u32 s26, s30
	s_cbranch_scc0 .LBB244_35
.LBB244_6:                              ; =>This Loop Header: Depth=1
                                        ;     Child Loop BB244_9 Depth 2
	v_dual_mov_b32 v38, v21 :: v_dual_mov_b32 v40, v21
	v_dual_mov_b32 v34, v21 :: v_dual_mov_b32 v36, v21
	v_dual_mov_b32 v30, v21 :: v_dual_mov_b32 v32, v21
	v_dual_mov_b32 v26, v21 :: v_dual_mov_b32 v28, v21
	s_and_not1_b32 vcc_lo, exec_lo, s35
	s_cbranch_vccnz .LBB244_15
; %bb.7:                                ;   in Loop: Header=BB244_6 Depth=1
	s_mul_u64 s[10:11], s[8:9], s[26:27]
	s_mul_u64 s[36:37], s[18:19], s[26:27]
	v_lshl_add_u64 v[22:23], s[10:11], 3, v[8:9]
	v_lshl_add_u64 v[24:25], s[36:37], 3, v[16:17]
	v_dual_mov_b32 v28, 0 :: v_dual_mov_b32 v26, 0
	v_dual_mov_b32 v32, 0 :: v_dual_mov_b32 v30, 0
	;; [unrolled: 1-line block ×4, first 2 shown]
	s_mov_b64 s[10:11], 0
	s_branch .LBB244_9
.LBB244_8:                              ;   in Loop: Header=BB244_9 Depth=2
	s_wait_xcnt 0x0
	s_or_b32 exec_lo, exec_lo, s36
	s_wait_loadcnt 0x0
	ds_store_b64 v7, v[2:3]
	s_wait_dscnt 0x0
	s_barrier_signal -1
	s_barrier_wait -1
	ds_load_b128 v[42:45], v29
	ds_load_b128 v[46:49], v29 offset:16
	ds_load_b128 v[50:53], v29 offset:32
	;; [unrolled: 1-line block ×3, first 2 shown]
	ds_load_2addr_b64 v[54:57], v27 offset1:16
	s_add_nc_u64 s[10:11], s[10:11], 8
	s_delay_alu instid0(SALU_CYCLE_1) | instskip(SKIP_3) | instid1(VALU_DEP_1)
	v_cmp_gt_i64_e64 s36, s[12:13], s[10:11]
	s_and_b32 vcc_lo, exec_lo, s36
	s_wait_dscnt 0x0
	v_dual_mul_f32 v20, v43, v55 :: v_dual_mul_f32 v31, v42, v55
	v_dual_mul_f32 v33, v42, v57 :: v_dual_fma_f32 v20, v42, v54, -v20
	s_delay_alu instid0(VALU_DEP_1) | instskip(NEXT) | instid1(VALU_DEP_1)
	v_dual_fmac_f32 v31, v43, v54 :: v_dual_fmac_f32 v33, v43, v56
	v_dual_add_f32 v20, v38, v20 :: v_dual_add_f32 v38, v40, v31
	v_mul_f32_e32 v31, v43, v57
	s_delay_alu instid0(VALU_DEP_1) | instskip(NEXT) | instid1(VALU_DEP_1)
	v_dual_add_f32 v40, v36, v33 :: v_dual_fma_f32 v31, v42, v56, -v31
	v_add_f32_e32 v39, v34, v31
	ds_load_b128 v[34:37], v29 offset:1024
	s_wait_dscnt 0x0
	v_dual_mul_f32 v31, v35, v55 :: v_dual_mul_f32 v33, v34, v55
	s_delay_alu instid0(VALU_DEP_1) | instskip(NEXT) | instid1(VALU_DEP_1)
	v_dual_fma_f32 v31, v34, v54, -v31 :: v_dual_fmac_f32 v33, v35, v54
	v_dual_add_f32 v41, v30, v31 :: v_dual_add_f32 v42, v32, v33
	v_dual_mul_f32 v30, v35, v57 :: v_dual_mul_f32 v31, v34, v57
	s_delay_alu instid0(VALU_DEP_1) | instskip(NEXT) | instid1(VALU_DEP_1)
	v_dual_fma_f32 v30, v34, v56, -v30 :: v_dual_fmac_f32 v31, v35, v56
	v_dual_add_f32 v26, v26, v30 :: v_dual_add_f32 v28, v28, v31
	ds_load_2addr_b64 v[30:33], v27 offset0:32 offset1:48
	s_wait_dscnt 0x0
	v_dual_mul_f32 v34, v45, v31 :: v_dual_mul_f32 v35, v44, v31
	s_delay_alu instid0(VALU_DEP_1) | instskip(NEXT) | instid1(VALU_DEP_1)
	v_dual_fma_f32 v34, v44, v30, -v34 :: v_dual_fmac_f32 v35, v45, v30
	v_dual_add_f32 v20, v20, v34 :: v_dual_add_f32 v34, v38, v35
	v_dual_mul_f32 v35, v45, v33 :: v_dual_mul_f32 v38, v44, v33
	s_delay_alu instid0(VALU_DEP_1) | instskip(NEXT) | instid1(VALU_DEP_1)
	v_dual_fma_f32 v35, v44, v32, -v35 :: v_dual_fmac_f32 v38, v45, v32
	v_dual_add_f32 v35, v39, v35 :: v_dual_add_f32 v38, v40, v38
	v_dual_mul_f32 v39, v37, v31 :: v_dual_mul_f32 v31, v36, v31
	s_delay_alu instid0(VALU_DEP_1) | instskip(NEXT) | instid1(VALU_DEP_2)
	v_fmac_f32_e32 v31, v37, v30
	v_dual_fma_f32 v39, v36, v30, -v39 :: v_dual_mul_f32 v30, v37, v33
	s_delay_alu instid0(VALU_DEP_2) | instskip(NEXT) | instid1(VALU_DEP_2)
	v_add_f32_e32 v40, v42, v31
	v_dual_add_f32 v39, v41, v39 :: v_dual_fma_f32 v30, v36, v32, -v30
	s_delay_alu instid0(VALU_DEP_1) | instskip(NEXT) | instid1(VALU_DEP_1)
	v_dual_mul_f32 v31, v36, v33 :: v_dual_add_f32 v26, v26, v30
	v_fmac_f32_e32 v31, v37, v32
	s_delay_alu instid0(VALU_DEP_1) | instskip(SKIP_3) | instid1(VALU_DEP_1)
	v_add_f32_e32 v28, v28, v31
	ds_load_2addr_b64 v[30:33], v27 offset0:64 offset1:80
	s_wait_dscnt 0x0
	v_mul_f32_e32 v36, v47, v31
	v_dual_fma_f32 v36, v46, v30, -v36 :: v_dual_mul_f32 v37, v46, v31
	s_delay_alu instid0(VALU_DEP_1) | instskip(SKIP_1) | instid1(VALU_DEP_2)
	v_dual_add_f32 v20, v20, v36 :: v_dual_fmac_f32 v37, v47, v30
	v_mul_f32_e32 v36, v46, v33
	v_add_f32_e32 v41, v34, v37
	v_mul_f32_e32 v34, v47, v33
	s_delay_alu instid0(VALU_DEP_1) | instskip(NEXT) | instid1(VALU_DEP_1)
	v_fma_f32 v34, v46, v32, -v34
	v_add_f32_e32 v42, v35, v34
	v_fmac_f32_e32 v36, v47, v32
	s_delay_alu instid0(VALU_DEP_1) | instskip(SKIP_3) | instid1(VALU_DEP_1)
	v_add_f32_e32 v38, v38, v36
	ds_load_b128 v[34:37], v29 offset:1040
	s_wait_dscnt 0x0
	v_dual_mul_f32 v43, v35, v31 :: v_dual_mul_f32 v31, v34, v31
	v_fma_f32 v43, v34, v30, -v43
	s_delay_alu instid0(VALU_DEP_2) | instskip(NEXT) | instid1(VALU_DEP_2)
	v_dual_fmac_f32 v31, v35, v30 :: v_dual_mul_f32 v30, v35, v33
	v_add_f32_e32 v39, v39, v43
	s_delay_alu instid0(VALU_DEP_2) | instskip(NEXT) | instid1(VALU_DEP_1)
	v_dual_add_f32 v40, v40, v31 :: v_dual_mul_f32 v31, v34, v33
	v_dual_fma_f32 v30, v34, v32, -v30 :: v_dual_fmac_f32 v31, v35, v32
	s_delay_alu instid0(VALU_DEP_1) | instskip(SKIP_3) | instid1(VALU_DEP_1)
	v_dual_add_f32 v26, v26, v30 :: v_dual_add_f32 v28, v28, v31
	ds_load_2addr_b64 v[30:33], v27 offset0:96 offset1:112
	s_wait_dscnt 0x0
	v_dual_mul_f32 v34, v49, v31 :: v_dual_mul_f32 v35, v48, v31
	v_dual_fma_f32 v34, v48, v30, -v34 :: v_dual_fmac_f32 v35, v49, v30
	s_delay_alu instid0(VALU_DEP_1) | instskip(SKIP_1) | instid1(VALU_DEP_1)
	v_dual_add_f32 v20, v20, v34 :: v_dual_add_f32 v34, v41, v35
	v_mul_f32_e32 v41, v48, v33
	v_fmac_f32_e32 v41, v49, v32
	s_delay_alu instid0(VALU_DEP_1) | instskip(SKIP_1) | instid1(VALU_DEP_2)
	v_dual_add_f32 v38, v38, v41 :: v_dual_mul_f32 v41, v37, v31
	v_dual_mul_f32 v35, v49, v33 :: v_dual_mul_f32 v31, v36, v31
	v_fma_f32 v41, v36, v30, -v41
	s_delay_alu instid0(VALU_DEP_2) | instskip(NEXT) | instid1(VALU_DEP_3)
	v_fma_f32 v35, v48, v32, -v35
	v_dual_fmac_f32 v31, v37, v30 :: v_dual_mul_f32 v30, v37, v33
	s_delay_alu instid0(VALU_DEP_2) | instskip(NEXT) | instid1(VALU_DEP_2)
	v_dual_add_f32 v39, v39, v41 :: v_dual_add_f32 v35, v42, v35
	v_add_f32_e32 v40, v40, v31
	s_delay_alu instid0(VALU_DEP_3) | instskip(NEXT) | instid1(VALU_DEP_1)
	v_dual_fma_f32 v30, v36, v32, -v30 :: v_dual_mul_f32 v31, v36, v33
	v_dual_fmac_f32 v31, v37, v32 :: v_dual_add_f32 v26, v26, v30
	s_delay_alu instid0(VALU_DEP_1) | instskip(SKIP_3) | instid1(VALU_DEP_1)
	v_add_f32_e32 v28, v28, v31
	ds_load_2addr_b64 v[30:33], v27 offset0:128 offset1:144
	s_wait_dscnt 0x0
	v_dual_mul_f32 v36, v51, v31 :: v_dual_mul_f32 v37, v50, v31
	v_dual_fma_f32 v36, v50, v30, -v36 :: v_dual_fmac_f32 v37, v51, v30
	s_delay_alu instid0(VALU_DEP_1) | instskip(SKIP_1) | instid1(VALU_DEP_1)
	v_dual_add_f32 v20, v20, v36 :: v_dual_add_f32 v41, v34, v37
	v_dual_mul_f32 v34, v51, v33 :: v_dual_mul_f32 v36, v50, v33
	v_dual_fma_f32 v34, v50, v32, -v34 :: v_dual_fmac_f32 v36, v51, v32
	s_delay_alu instid0(VALU_DEP_1) | instskip(SKIP_3) | instid1(VALU_DEP_1)
	v_dual_add_f32 v42, v35, v34 :: v_dual_add_f32 v38, v38, v36
	ds_load_b128 v[34:37], v29 offset:1056
	s_wait_dscnt 0x0
	v_dual_mul_f32 v43, v35, v31 :: v_dual_mul_f32 v31, v34, v31
	v_fmac_f32_e32 v31, v35, v30
	s_delay_alu instid0(VALU_DEP_2) | instskip(NEXT) | instid1(VALU_DEP_2)
	v_dual_fma_f32 v43, v34, v30, -v43 :: v_dual_mul_f32 v30, v35, v33
	v_dual_add_f32 v40, v40, v31 :: v_dual_mul_f32 v31, v34, v33
	s_delay_alu instid0(VALU_DEP_2) | instskip(NEXT) | instid1(VALU_DEP_1)
	v_dual_add_f32 v39, v39, v43 :: v_dual_fma_f32 v30, v34, v32, -v30
	v_dual_fmac_f32 v31, v35, v32 :: v_dual_add_f32 v26, v26, v30
	s_delay_alu instid0(VALU_DEP_1) | instskip(SKIP_3) | instid1(VALU_DEP_1)
	v_add_f32_e32 v28, v28, v31
	ds_load_2addr_b64 v[30:33], v27 offset0:160 offset1:176
	s_wait_dscnt 0x0
	v_dual_mul_f32 v34, v53, v31 :: v_dual_mul_f32 v35, v52, v31
	v_dual_fma_f32 v34, v52, v30, -v34 :: v_dual_fmac_f32 v35, v53, v30
	s_delay_alu instid0(VALU_DEP_1) | instskip(SKIP_1) | instid1(VALU_DEP_1)
	v_dual_add_f32 v20, v20, v34 :: v_dual_add_f32 v34, v41, v35
	v_mul_f32_e32 v41, v52, v33
	v_fmac_f32_e32 v41, v53, v32
	s_delay_alu instid0(VALU_DEP_1) | instskip(SKIP_1) | instid1(VALU_DEP_2)
	v_dual_add_f32 v38, v38, v41 :: v_dual_mul_f32 v41, v37, v31
	v_dual_mul_f32 v35, v53, v33 :: v_dual_mul_f32 v31, v36, v31
	v_fma_f32 v41, v36, v30, -v41
	s_delay_alu instid0(VALU_DEP_2) | instskip(NEXT) | instid1(VALU_DEP_3)
	v_fma_f32 v35, v52, v32, -v35
	v_dual_fmac_f32 v31, v37, v30 :: v_dual_mul_f32 v30, v37, v33
	s_delay_alu instid0(VALU_DEP_2) | instskip(NEXT) | instid1(VALU_DEP_2)
	v_dual_add_f32 v39, v39, v41 :: v_dual_add_f32 v35, v42, v35
	v_add_f32_e32 v44, v40, v31
	s_delay_alu instid0(VALU_DEP_3) | instskip(SKIP_2) | instid1(VALU_DEP_1)
	v_dual_fma_f32 v30, v36, v32, -v30 :: v_dual_mul_f32 v31, v36, v33
	ds_load_b128 v[40:43], v29 offset:1072
	v_dual_fmac_f32 v31, v37, v32 :: v_dual_add_f32 v26, v26, v30
	v_add_f32_e32 v28, v28, v31
	ds_load_2addr_b64 v[30:33], v27 offset0:192 offset1:208
	s_wait_dscnt 0x0
	v_dual_mul_f32 v36, v1, v31 :: v_dual_mul_f32 v37, v0, v31
	s_delay_alu instid0(VALU_DEP_1) | instskip(NEXT) | instid1(VALU_DEP_1)
	v_dual_fma_f32 v36, v0, v30, -v36 :: v_dual_fmac_f32 v37, v1, v30
	v_dual_add_f32 v20, v20, v36 :: v_dual_add_f32 v34, v34, v37
	v_mul_f32_e32 v36, v1, v33
	s_delay_alu instid0(VALU_DEP_1) | instskip(NEXT) | instid1(VALU_DEP_1)
	v_dual_fma_f32 v36, v0, v32, -v36 :: v_dual_mul_f32 v0, v0, v33
	v_fmac_f32_e32 v0, v1, v32
	s_delay_alu instid0(VALU_DEP_2) | instskip(NEXT) | instid1(VALU_DEP_1)
	v_dual_add_f32 v1, v35, v36 :: v_dual_mul_f32 v35, v41, v31
	v_dual_mul_f32 v31, v40, v31 :: v_dual_fma_f32 v35, v40, v30, -v35
	s_delay_alu instid0(VALU_DEP_1) | instskip(NEXT) | instid1(VALU_DEP_2)
	v_dual_add_f32 v0, v38, v0 :: v_dual_fmac_f32 v31, v41, v30
	v_dual_add_f32 v30, v39, v35 :: v_dual_mul_f32 v35, v41, v33
	v_mul_f32_e32 v33, v40, v33
	s_delay_alu instid0(VALU_DEP_3)
	v_add_f32_e32 v31, v44, v31
	ds_load_2addr_b64 v[44:47], v27 offset0:224 offset1:240
	s_wait_dscnt 0x0
	v_dual_fma_f32 v35, v40, v32, -v35 :: v_dual_fmac_f32 v33, v41, v32
	s_barrier_signal -1
	s_barrier_wait -1
	s_delay_alu instid0(VALU_DEP_1) | instskip(SKIP_1) | instid1(VALU_DEP_1)
	v_dual_add_f32 v26, v26, v35 :: v_dual_add_f32 v28, v28, v33
	v_dual_mul_f32 v32, v3, v45 :: v_dual_mul_f32 v33, v2, v45
	v_dual_fma_f32 v32, v2, v44, -v32 :: v_dual_fmac_f32 v33, v3, v44
	s_delay_alu instid0(VALU_DEP_1) | instskip(SKIP_1) | instid1(VALU_DEP_1)
	v_dual_add_f32 v38, v20, v32 :: v_dual_add_f32 v40, v34, v33
	v_mul_f32_e32 v20, v3, v47
	v_dual_fma_f32 v20, v2, v46, -v20 :: v_dual_mul_f32 v2, v2, v47
	s_delay_alu instid0(VALU_DEP_1) | instskip(NEXT) | instid1(VALU_DEP_1)
	v_dual_fmac_f32 v2, v3, v46 :: v_dual_add_f32 v34, v1, v20
	v_dual_mul_f32 v1, v42, v45 :: v_dual_add_f32 v36, v0, v2
	s_delay_alu instid0(VALU_DEP_1) | instskip(NEXT) | instid1(VALU_DEP_1)
	v_dual_mul_f32 v0, v43, v45 :: v_dual_fmac_f32 v1, v43, v44
	v_dual_fma_f32 v0, v42, v44, -v0 :: v_dual_add_f32 v32, v31, v1
	v_mul_f32_e32 v1, v42, v47
	s_delay_alu instid0(VALU_DEP_2) | instskip(NEXT) | instid1(VALU_DEP_1)
	v_dual_add_f32 v30, v30, v0 :: v_dual_mul_f32 v0, v43, v47
	v_dual_fmac_f32 v1, v43, v46 :: v_dual_fma_f32 v0, v42, v46, -v0
	s_delay_alu instid0(VALU_DEP_1)
	v_dual_add_f32 v28, v28, v1 :: v_dual_add_f32 v26, v26, v0
	s_cbranch_vccz .LBB244_15
.LBB244_9:                              ;   Parent Loop BB244_6 Depth=1
                                        ; =>  This Inner Loop Header: Depth=2
	v_dual_mov_b32 v0, 0 :: v_dual_mov_b32 v1, 0
	s_and_saveexec_b32 s36, s0
	s_cbranch_execz .LBB244_13
; %bb.10:                               ;   in Loop: Header=BB244_9 Depth=2
	v_dual_mov_b32 v1, 0 :: v_dual_add_nc_u32 v20, s10, v6
	v_mov_b32_e32 v0, 0
	s_mov_b32 s37, exec_lo
	s_delay_alu instid0(VALU_DEP_2)
	v_cmpx_gt_u64_e64 s[12:13], v[20:21]
	s_cbranch_execz .LBB244_12
; %bb.11:                               ;   in Loop: Header=BB244_9 Depth=2
	v_mul_u64_e32 v[0:1], s[6:7], v[20:21]
	s_delay_alu instid0(VALU_DEP_1)
	v_lshl_add_u64 v[0:1], v[0:1], 3, v[22:23]
	global_load_b64 v[0:1], v[0:1], off
.LBB244_12:                             ;   in Loop: Header=BB244_9 Depth=2
	s_wait_xcnt 0x0
	s_or_b32 exec_lo, exec_lo, s37
.LBB244_13:                             ;   in Loop: Header=BB244_9 Depth=2
	s_delay_alu instid0(SALU_CYCLE_1)
	s_or_b32 exec_lo, exec_lo, s36
	v_dual_add_nc_u32 v20, s10, v4 :: v_dual_mov_b32 v2, 0
	v_mov_b32_e32 v3, 0
	s_wait_loadcnt 0x0
	ds_store_b64 v5, v[0:1]
	v_cmp_gt_u64_e32 vcc_lo, s[12:13], v[20:21]
	s_and_b32 s37, vcc_lo, s1
	s_delay_alu instid0(SALU_CYCLE_1)
	s_and_saveexec_b32 s36, s37
	s_cbranch_execz .LBB244_8
; %bb.14:                               ;   in Loop: Header=BB244_9 Depth=2
	v_mul_u64_e32 v[0:1], s[16:17], v[20:21]
	s_delay_alu instid0(VALU_DEP_1)
	v_lshl_add_u64 v[0:1], v[0:1], 3, v[24:25]
	global_load_b64 v[2:3], v[0:1], off
	s_branch .LBB244_8
.LBB244_15:                             ;   in Loop: Header=BB244_6 Depth=1
	s_mul_u64 s[10:11], s[28:29], s[26:27]
	s_delay_alu instid0(SALU_CYCLE_1) | instskip(NEXT) | instid1(SALU_CYCLE_1)
	s_lshl_b64 s[10:11], s[10:11], 3
	s_add_nc_u64 s[10:11], s[20:21], s[10:11]
	s_delay_alu instid0(SALU_CYCLE_1)
	v_lshl_add_u64 v[0:1], v[10:11], 3, s[10:11]
	s_and_saveexec_b32 s36, s23
	s_cbranch_execz .LBB244_20
; %bb.16:                               ;   in Loop: Header=BB244_6 Depth=1
	v_mov_b64_e32 v[2:3], s[4:5]
	v_mov_b64_e32 v[22:23], s[14:15]
	s_and_b32 vcc_lo, exec_lo, s22
	s_mov_b32 s37, -1
	s_delay_alu instid0(VALU_DEP_2) | instskip(NEXT) | instid1(VALU_DEP_1)
	v_pk_mul_f32 v[2:3], v[40:41], v[2:3] op_sel_hi:[0,1]
	v_pk_fma_f32 v[24:25], v[38:39], v[22:23], v[2:3] op_sel_hi:[0,1,1]
	v_pk_fma_f32 v[2:3], v[38:39], v[22:23], v[2:3] neg_lo:[0,0,1] neg_hi:[0,0,1]
	v_lshl_add_u64 v[22:23], v[14:15], 3, v[0:1]
	s_delay_alu instid0(VALU_DEP_3)
	v_mov_b32_e32 v3, v25
	s_cbranch_vccz .LBB244_18
; %bb.17:                               ;   in Loop: Header=BB244_6 Depth=1
	global_load_b64 v[24:25], v[22:23], off
	v_mov_b64_e32 v[38:39], s[24:25]
	v_mov_b64_e32 v[40:41], s[2:3]
	s_mov_b32 s37, 0
	s_wait_loadcnt 0x0
	s_delay_alu instid0(VALU_DEP_2) | instskip(NEXT) | instid1(VALU_DEP_1)
	v_pk_mul_f32 v[38:39], v[24:25], v[38:39]
	v_pk_fma_f32 v[42:43], v[24:25], v[40:41], v[38:39] op_sel:[0,0,1] op_sel_hi:[1,1,0]
	v_pk_fma_f32 v[24:25], v[24:25], v[40:41], v[38:39] op_sel:[0,0,1] op_sel_hi:[1,1,0] neg_lo:[0,0,1] neg_hi:[0,0,1]
	s_delay_alu instid0(VALU_DEP_2) | instskip(NEXT) | instid1(VALU_DEP_1)
	v_mov_b32_e32 v25, v43
	v_pk_add_f32 v[24:25], v[2:3], v[24:25]
	global_store_b64 v[22:23], v[24:25], off
.LBB244_18:                             ;   in Loop: Header=BB244_6 Depth=1
	s_and_not1_b32 vcc_lo, exec_lo, s37
	s_cbranch_vccnz .LBB244_20
; %bb.19:                               ;   in Loop: Header=BB244_6 Depth=1
	global_store_b64 v[22:23], v[2:3], off
.LBB244_20:                             ;   in Loop: Header=BB244_6 Depth=1
	s_wait_xcnt 0x0
	s_or_b32 exec_lo, exec_lo, s36
	s_and_saveexec_b32 s36, s31
	s_cbranch_execz .LBB244_25
; %bb.21:                               ;   in Loop: Header=BB244_6 Depth=1
	v_mov_b64_e32 v[2:3], s[4:5]
	v_mov_b64_e32 v[22:23], s[14:15]
	v_lshl_add_u64 v[0:1], v[18:19], 3, v[0:1]
	s_and_not1_b32 vcc_lo, exec_lo, s22
	s_mov_b32 s37, -1
	s_delay_alu instid0(VALU_DEP_3) | instskip(NEXT) | instid1(VALU_DEP_1)
	v_pk_mul_f32 v[2:3], v[36:37], v[2:3] op_sel_hi:[0,1]
	v_pk_fma_f32 v[24:25], v[34:35], v[22:23], v[2:3] op_sel_hi:[0,1,1]
	v_pk_fma_f32 v[2:3], v[34:35], v[22:23], v[2:3] neg_lo:[0,0,1] neg_hi:[0,0,1]
	s_delay_alu instid0(VALU_DEP_2)
	v_mov_b32_e32 v3, v25
	s_cbranch_vccnz .LBB244_23
; %bb.22:                               ;   in Loop: Header=BB244_6 Depth=1
	global_load_b64 v[22:23], v[0:1], off
	v_mov_b64_e32 v[24:25], s[24:25]
	v_mov_b64_e32 v[34:35], s[2:3]
	s_mov_b32 s37, 0
	s_wait_loadcnt 0x0
	s_delay_alu instid0(VALU_DEP_2) | instskip(NEXT) | instid1(VALU_DEP_1)
	v_pk_mul_f32 v[24:25], v[22:23], v[24:25]
	v_pk_fma_f32 v[36:37], v[22:23], v[34:35], v[24:25] op_sel:[0,0,1] op_sel_hi:[1,1,0]
	v_pk_fma_f32 v[22:23], v[22:23], v[34:35], v[24:25] op_sel:[0,0,1] op_sel_hi:[1,1,0] neg_lo:[0,0,1] neg_hi:[0,0,1]
	s_delay_alu instid0(VALU_DEP_2) | instskip(NEXT) | instid1(VALU_DEP_1)
	v_mov_b32_e32 v23, v37
	v_pk_add_f32 v[22:23], v[2:3], v[22:23]
	global_store_b64 v[0:1], v[22:23], off
.LBB244_23:                             ;   in Loop: Header=BB244_6 Depth=1
	s_and_not1_b32 vcc_lo, exec_lo, s37
	s_cbranch_vccnz .LBB244_25
; %bb.24:                               ;   in Loop: Header=BB244_6 Depth=1
	global_store_b64 v[0:1], v[2:3], off
.LBB244_25:                             ;   in Loop: Header=BB244_6 Depth=1
	s_wait_xcnt 0x0
	s_or_b32 exec_lo, exec_lo, s36
	v_lshl_add_u64 v[0:1], v[12:13], 3, s[10:11]
	s_and_saveexec_b32 s10, s33
	s_cbranch_execz .LBB244_30
; %bb.26:                               ;   in Loop: Header=BB244_6 Depth=1
	v_mov_b64_e32 v[2:3], s[4:5]
	v_mov_b64_e32 v[22:23], s[14:15]
	s_and_not1_b32 vcc_lo, exec_lo, s22
	s_mov_b32 s11, -1
	s_delay_alu instid0(VALU_DEP_2) | instskip(NEXT) | instid1(VALU_DEP_1)
	v_pk_mul_f32 v[2:3], v[32:33], v[2:3] op_sel_hi:[0,1]
	v_pk_fma_f32 v[24:25], v[30:31], v[22:23], v[2:3] op_sel_hi:[0,1,1]
	v_pk_fma_f32 v[2:3], v[30:31], v[22:23], v[2:3] neg_lo:[0,0,1] neg_hi:[0,0,1]
	v_lshl_add_u64 v[22:23], v[14:15], 3, v[0:1]
	s_delay_alu instid0(VALU_DEP_3)
	v_mov_b32_e32 v3, v25
	s_cbranch_vccnz .LBB244_28
; %bb.27:                               ;   in Loop: Header=BB244_6 Depth=1
	global_load_b64 v[24:25], v[22:23], off
	v_mov_b64_e32 v[30:31], s[24:25]
	v_mov_b64_e32 v[32:33], s[2:3]
	s_mov_b32 s11, 0
	s_wait_loadcnt 0x0
	s_delay_alu instid0(VALU_DEP_2) | instskip(NEXT) | instid1(VALU_DEP_1)
	v_pk_mul_f32 v[30:31], v[24:25], v[30:31]
	v_pk_fma_f32 v[34:35], v[24:25], v[32:33], v[30:31] op_sel:[0,0,1] op_sel_hi:[1,1,0]
	v_pk_fma_f32 v[24:25], v[24:25], v[32:33], v[30:31] op_sel:[0,0,1] op_sel_hi:[1,1,0] neg_lo:[0,0,1] neg_hi:[0,0,1]
	s_delay_alu instid0(VALU_DEP_2) | instskip(NEXT) | instid1(VALU_DEP_1)
	v_mov_b32_e32 v25, v35
	v_pk_add_f32 v[24:25], v[2:3], v[24:25]
	global_store_b64 v[22:23], v[24:25], off
.LBB244_28:                             ;   in Loop: Header=BB244_6 Depth=1
	s_and_not1_b32 vcc_lo, exec_lo, s11
	s_cbranch_vccnz .LBB244_30
; %bb.29:                               ;   in Loop: Header=BB244_6 Depth=1
	global_store_b64 v[22:23], v[2:3], off
.LBB244_30:                             ;   in Loop: Header=BB244_6 Depth=1
	s_wait_xcnt 0x0
	s_or_b32 exec_lo, exec_lo, s10
	s_and_saveexec_b32 s10, s34
	s_cbranch_execz .LBB244_5
; %bb.31:                               ;   in Loop: Header=BB244_6 Depth=1
	v_mov_b64_e32 v[2:3], s[4:5]
	v_mov_b64_e32 v[22:23], s[14:15]
	v_lshl_add_u64 v[0:1], v[18:19], 3, v[0:1]
	s_and_not1_b32 vcc_lo, exec_lo, s22
	s_mov_b32 s11, -1
	s_delay_alu instid0(VALU_DEP_3) | instskip(NEXT) | instid1(VALU_DEP_1)
	v_pk_mul_f32 v[2:3], v[28:29], v[2:3] op_sel_hi:[0,1]
	v_pk_fma_f32 v[24:25], v[26:27], v[22:23], v[2:3] op_sel_hi:[0,1,1]
	v_pk_fma_f32 v[2:3], v[26:27], v[22:23], v[2:3] neg_lo:[0,0,1] neg_hi:[0,0,1]
	s_delay_alu instid0(VALU_DEP_2)
	v_mov_b32_e32 v3, v25
	s_cbranch_vccnz .LBB244_33
; %bb.32:                               ;   in Loop: Header=BB244_6 Depth=1
	global_load_b64 v[22:23], v[0:1], off
	v_mov_b64_e32 v[24:25], s[24:25]
	v_mov_b64_e32 v[30:31], s[2:3]
	s_mov_b32 s11, 0
	s_wait_loadcnt 0x0
	s_delay_alu instid0(VALU_DEP_2) | instskip(NEXT) | instid1(VALU_DEP_1)
	v_pk_mul_f32 v[24:25], v[22:23], v[24:25]
	v_pk_fma_f32 v[32:33], v[22:23], v[30:31], v[24:25] op_sel:[0,0,1] op_sel_hi:[1,1,0]
	v_pk_fma_f32 v[22:23], v[22:23], v[30:31], v[24:25] op_sel:[0,0,1] op_sel_hi:[1,1,0] neg_lo:[0,0,1] neg_hi:[0,0,1]
	s_delay_alu instid0(VALU_DEP_2) | instskip(NEXT) | instid1(VALU_DEP_1)
	v_mov_b32_e32 v23, v33
	v_pk_add_f32 v[22:23], v[2:3], v[22:23]
	global_store_b64 v[0:1], v[22:23], off
.LBB244_33:                             ;   in Loop: Header=BB244_6 Depth=1
	s_and_not1_b32 vcc_lo, exec_lo, s11
	s_cbranch_vccnz .LBB244_5
; %bb.34:                               ;   in Loop: Header=BB244_6 Depth=1
	global_store_b64 v[0:1], v[2:3], off
	s_branch .LBB244_5
.LBB244_35:
	s_endpgm
	.section	.rodata,"a",@progbits
	.p2align	6, 0x0
	.amdhsa_kernel _ZL29rocblas_internal_gemmt_kernelIlLi16ELi32ELi8ELc78ELc84ELc76ELb0ELb0E19rocblas_complex_numIfES1_PKS1_PS1_EviT_T9_T10_S5_lS7_S5_lS6_T11_S5_li
		.amdhsa_group_segment_fixed_size 4096
		.amdhsa_private_segment_fixed_size 0
		.amdhsa_kernarg_size 108
		.amdhsa_user_sgpr_count 2
		.amdhsa_user_sgpr_dispatch_ptr 0
		.amdhsa_user_sgpr_queue_ptr 0
		.amdhsa_user_sgpr_kernarg_segment_ptr 1
		.amdhsa_user_sgpr_dispatch_id 0
		.amdhsa_user_sgpr_kernarg_preload_length 0
		.amdhsa_user_sgpr_kernarg_preload_offset 0
		.amdhsa_user_sgpr_private_segment_size 0
		.amdhsa_wavefront_size32 1
		.amdhsa_uses_dynamic_stack 0
		.amdhsa_enable_private_segment 0
		.amdhsa_system_sgpr_workgroup_id_x 1
		.amdhsa_system_sgpr_workgroup_id_y 1
		.amdhsa_system_sgpr_workgroup_id_z 1
		.amdhsa_system_sgpr_workgroup_info 0
		.amdhsa_system_vgpr_workitem_id 1
		.amdhsa_next_free_vgpr 58
		.amdhsa_next_free_sgpr 38
		.amdhsa_named_barrier_count 0
		.amdhsa_reserve_vcc 1
		.amdhsa_float_round_mode_32 0
		.amdhsa_float_round_mode_16_64 0
		.amdhsa_float_denorm_mode_32 3
		.amdhsa_float_denorm_mode_16_64 3
		.amdhsa_fp16_overflow 0
		.amdhsa_memory_ordered 1
		.amdhsa_forward_progress 1
		.amdhsa_inst_pref_size 25
		.amdhsa_round_robin_scheduling 0
		.amdhsa_exception_fp_ieee_invalid_op 0
		.amdhsa_exception_fp_denorm_src 0
		.amdhsa_exception_fp_ieee_div_zero 0
		.amdhsa_exception_fp_ieee_overflow 0
		.amdhsa_exception_fp_ieee_underflow 0
		.amdhsa_exception_fp_ieee_inexact 0
		.amdhsa_exception_int_div_zero 0
	.end_amdhsa_kernel
	.section	.text._ZL29rocblas_internal_gemmt_kernelIlLi16ELi32ELi8ELc78ELc84ELc76ELb0ELb0E19rocblas_complex_numIfES1_PKS1_PS1_EviT_T9_T10_S5_lS7_S5_lS6_T11_S5_li,"axG",@progbits,_ZL29rocblas_internal_gemmt_kernelIlLi16ELi32ELi8ELc78ELc84ELc76ELb0ELb0E19rocblas_complex_numIfES1_PKS1_PS1_EviT_T9_T10_S5_lS7_S5_lS6_T11_S5_li,comdat
.Lfunc_end244:
	.size	_ZL29rocblas_internal_gemmt_kernelIlLi16ELi32ELi8ELc78ELc84ELc76ELb0ELb0E19rocblas_complex_numIfES1_PKS1_PS1_EviT_T9_T10_S5_lS7_S5_lS6_T11_S5_li, .Lfunc_end244-_ZL29rocblas_internal_gemmt_kernelIlLi16ELi32ELi8ELc78ELc84ELc76ELb0ELb0E19rocblas_complex_numIfES1_PKS1_PS1_EviT_T9_T10_S5_lS7_S5_lS6_T11_S5_li
                                        ; -- End function
	.set _ZL29rocblas_internal_gemmt_kernelIlLi16ELi32ELi8ELc78ELc84ELc76ELb0ELb0E19rocblas_complex_numIfES1_PKS1_PS1_EviT_T9_T10_S5_lS7_S5_lS6_T11_S5_li.num_vgpr, 58
	.set _ZL29rocblas_internal_gemmt_kernelIlLi16ELi32ELi8ELc78ELc84ELc76ELb0ELb0E19rocblas_complex_numIfES1_PKS1_PS1_EviT_T9_T10_S5_lS7_S5_lS6_T11_S5_li.num_agpr, 0
	.set _ZL29rocblas_internal_gemmt_kernelIlLi16ELi32ELi8ELc78ELc84ELc76ELb0ELb0E19rocblas_complex_numIfES1_PKS1_PS1_EviT_T9_T10_S5_lS7_S5_lS6_T11_S5_li.numbered_sgpr, 38
	.set _ZL29rocblas_internal_gemmt_kernelIlLi16ELi32ELi8ELc78ELc84ELc76ELb0ELb0E19rocblas_complex_numIfES1_PKS1_PS1_EviT_T9_T10_S5_lS7_S5_lS6_T11_S5_li.num_named_barrier, 0
	.set _ZL29rocblas_internal_gemmt_kernelIlLi16ELi32ELi8ELc78ELc84ELc76ELb0ELb0E19rocblas_complex_numIfES1_PKS1_PS1_EviT_T9_T10_S5_lS7_S5_lS6_T11_S5_li.private_seg_size, 0
	.set _ZL29rocblas_internal_gemmt_kernelIlLi16ELi32ELi8ELc78ELc84ELc76ELb0ELb0E19rocblas_complex_numIfES1_PKS1_PS1_EviT_T9_T10_S5_lS7_S5_lS6_T11_S5_li.uses_vcc, 1
	.set _ZL29rocblas_internal_gemmt_kernelIlLi16ELi32ELi8ELc78ELc84ELc76ELb0ELb0E19rocblas_complex_numIfES1_PKS1_PS1_EviT_T9_T10_S5_lS7_S5_lS6_T11_S5_li.uses_flat_scratch, 0
	.set _ZL29rocblas_internal_gemmt_kernelIlLi16ELi32ELi8ELc78ELc84ELc76ELb0ELb0E19rocblas_complex_numIfES1_PKS1_PS1_EviT_T9_T10_S5_lS7_S5_lS6_T11_S5_li.has_dyn_sized_stack, 0
	.set _ZL29rocblas_internal_gemmt_kernelIlLi16ELi32ELi8ELc78ELc84ELc76ELb0ELb0E19rocblas_complex_numIfES1_PKS1_PS1_EviT_T9_T10_S5_lS7_S5_lS6_T11_S5_li.has_recursion, 0
	.set _ZL29rocblas_internal_gemmt_kernelIlLi16ELi32ELi8ELc78ELc84ELc76ELb0ELb0E19rocblas_complex_numIfES1_PKS1_PS1_EviT_T9_T10_S5_lS7_S5_lS6_T11_S5_li.has_indirect_call, 0
	.section	.AMDGPU.csdata,"",@progbits
; Kernel info:
; codeLenInByte = 3176
; TotalNumSgprs: 40
; NumVgprs: 58
; ScratchSize: 0
; MemoryBound: 0
; FloatMode: 240
; IeeeMode: 1
; LDSByteSize: 4096 bytes/workgroup (compile time only)
; SGPRBlocks: 0
; VGPRBlocks: 3
; NumSGPRsForWavesPerEU: 40
; NumVGPRsForWavesPerEU: 58
; NamedBarCnt: 0
; Occupancy: 16
; WaveLimiterHint : 0
; COMPUTE_PGM_RSRC2:SCRATCH_EN: 0
; COMPUTE_PGM_RSRC2:USER_SGPR: 2
; COMPUTE_PGM_RSRC2:TRAP_HANDLER: 0
; COMPUTE_PGM_RSRC2:TGID_X_EN: 1
; COMPUTE_PGM_RSRC2:TGID_Y_EN: 1
; COMPUTE_PGM_RSRC2:TGID_Z_EN: 1
; COMPUTE_PGM_RSRC2:TIDIG_COMP_CNT: 1
	.section	.text._ZL29rocblas_internal_gemmt_kernelIlLi16ELi32ELi8ELc78ELc67ELc76ELb0ELb1E19rocblas_complex_numIfES1_PKS1_PS1_EviT_T9_T10_S5_lS7_S5_lS6_T11_S5_li,"axG",@progbits,_ZL29rocblas_internal_gemmt_kernelIlLi16ELi32ELi8ELc78ELc67ELc76ELb0ELb1E19rocblas_complex_numIfES1_PKS1_PS1_EviT_T9_T10_S5_lS7_S5_lS6_T11_S5_li,comdat
	.globl	_ZL29rocblas_internal_gemmt_kernelIlLi16ELi32ELi8ELc78ELc67ELc76ELb0ELb1E19rocblas_complex_numIfES1_PKS1_PS1_EviT_T9_T10_S5_lS7_S5_lS6_T11_S5_li ; -- Begin function _ZL29rocblas_internal_gemmt_kernelIlLi16ELi32ELi8ELc78ELc67ELc76ELb0ELb1E19rocblas_complex_numIfES1_PKS1_PS1_EviT_T9_T10_S5_lS7_S5_lS6_T11_S5_li
	.p2align	8
	.type	_ZL29rocblas_internal_gemmt_kernelIlLi16ELi32ELi8ELc78ELc67ELc76ELb0ELb1E19rocblas_complex_numIfES1_PKS1_PS1_EviT_T9_T10_S5_lS7_S5_lS6_T11_S5_li,@function
_ZL29rocblas_internal_gemmt_kernelIlLi16ELi32ELi8ELc78ELc67ELc76ELb0ELb1E19rocblas_complex_numIfES1_PKS1_PS1_EviT_T9_T10_S5_lS7_S5_lS6_T11_S5_li: ; @_ZL29rocblas_internal_gemmt_kernelIlLi16ELi32ELi8ELc78ELc67ELc76ELb0ELb1E19rocblas_complex_numIfES1_PKS1_PS1_EviT_T9_T10_S5_lS7_S5_lS6_T11_S5_li
; %bb.0:
	s_clause 0x1
	s_load_b64 s[24:25], s[0:1], 0x48
	s_load_b128 s[12:15], s[0:1], 0x8
	s_wait_kmcnt 0x0
	s_cmp_neq_f32 s24, 1.0
	s_cselect_b32 s3, -1, 0
	s_and_b32 s4, s25, 0x7fffffff
	s_delay_alu instid0(SALU_CYCLE_1) | instskip(SKIP_3) | instid1(SALU_CYCLE_1)
	s_cmp_eq_u32 s4, 0
	s_cselect_b32 s2, -1, 0
	s_cmp_lg_u32 s4, 0
	s_cselect_b32 s4, -1, 0
	s_or_b32 s3, s3, s4
	s_delay_alu instid0(SALU_CYCLE_1)
	s_and_b32 vcc_lo, exec_lo, s3
	s_cbranch_vccnz .LBB245_2
; %bb.1:
	s_cmp_lg_u64 s[12:13], 0
	s_cselect_b32 s3, -1, 0
	s_cmp_neq_f32 s14, 0
	s_cselect_b32 s4, -1, 0
	s_cmp_neq_f32 s15, 0
	s_cselect_b32 s5, -1, 0
	s_delay_alu instid0(SALU_CYCLE_1) | instskip(NEXT) | instid1(SALU_CYCLE_1)
	s_or_b32 s4, s4, s5
	s_and_b32 s3, s3, s4
.LBB245_2:
	s_delay_alu instid0(SALU_CYCLE_1)
	s_and_not1_b32 vcc_lo, exec_lo, s3
	s_cbranch_vccnz .LBB245_37
; %bb.3:
	s_load_b32 s30, s[0:1], 0x68
	s_bfe_u32 s3, ttmp6, 0x40014
	s_lshr_b32 s4, ttmp7, 16
	s_add_co_i32 s3, s3, 1
	s_bfe_u32 s6, ttmp6, 0x40008
	s_mul_i32 s5, s4, s3
	s_getreg_b32 s3, hwreg(HW_REG_IB_STS2, 6, 4)
	s_add_co_i32 s6, s6, s5
	s_cmp_eq_u32 s3, 0
	s_mov_b32 s27, 0
	s_cselect_b32 s26, s4, s6
	s_wait_kmcnt 0x0
	s_cmp_ge_u32 s26, s30
	s_cbranch_scc1 .LBB245_37
; %bb.4:
	s_bfe_u32 s5, ttmp6, 0x4000c
	s_bfe_u32 s6, ttmp6, 0x40010
	s_and_b32 s16, ttmp7, 0xffff
	s_add_co_i32 s5, s5, 1
	s_add_co_i32 s6, s6, 1
	s_and_b32 s4, ttmp6, 15
	s_mul_i32 s5, ttmp9, s5
	s_mul_i32 s6, s16, s6
	s_bfe_u32 s7, ttmp6, 0x40004
	v_and_b32_e32 v15, 0x3ff, v0
	v_bfe_u32 v19, v0, 10, 10
	s_add_co_i32 s17, s4, s5
	s_add_co_i32 s18, s7, s6
	s_cmp_eq_u32 s3, 0
	v_and_b32_e32 v4, 7, v0
	s_cselect_b32 s16, s16, s18
	v_lshl_add_u32 v0, v19, 4, v15
	s_cselect_b32 s3, ttmp9, s17
	s_lshl_b32 s33, s16, 5
	s_clause 0x2
	s_load_b128 s[16:19], s[0:1], 0x38
	s_load_b128 s[20:23], s[0:1], 0x50
	s_load_b32 s31, s[0:1], 0x0
	v_dual_lshrrev_b32 v3, 3, v0 :: v_dual_bitop2_b32 v1, 31, v0 bitop3:0x40
	v_dual_add_nc_u32 v20, s33, v19 :: v_dual_lshrrev_b32 v6, 5, v0
	s_load_b256 s[4:11], s[0:1], 0x18
	s_lshl_b32 s3, s3, 5
	s_delay_alu instid0(VALU_DEP_1)
	v_dual_lshlrev_b32 v5, 3, v1 :: v_dual_add_nc_u32 v22, 16, v20
	v_ashrrev_i32_e32 v21, 31, v20
	v_lshlrev_b32_e32 v7, 3, v4
	s_cmp_neq_f32 s14, 0
	v_dual_add_nc_u32 v2, s33, v3 :: v_dual_bitop2_b32 v0, s3, v1 bitop3:0x54
	v_ashrrev_i32_e32 v23, 31, v22
	s_cselect_b32 s34, -1, 0
	s_cmp_neq_f32 s15, 0
	s_load_b64 s[28:29], s[0:1], 0x60
	v_ashrrev_i32_e32 v1, 31, v0
	s_wait_kmcnt 0x0
	v_mul_u64_e32 v[10:11], s[22:23], v[20:21]
	v_mul_u64_e32 v[12:13], s[22:23], v[22:23]
	s_cselect_b32 s0, -1, 0
	v_lshl_or_b32 v3, v3, 6, v7
	s_or_b32 s34, s34, s0
	v_dual_add_nc_u32 v14, s3, v15 :: v_dual_lshlrev_b32 v27, 3, v15
	s_cmp_neq_f32 s24, 0
	s_delay_alu instid0(VALU_DEP_2)
	v_add_nc_u32_e32 v7, 0x800, v3
	v_ashrrev_i32_e32 v3, 31, v2
	v_lshl_add_u64 v[8:9], v[0:1], 3, s[4:5]
	s_cselect_b32 s3, -1, 0
	s_xor_b32 s4, s2, -1
	v_dual_add_nc_u32 v18, 16, v14 :: v_dual_ashrrev_i32 v15, 31, v14
	v_cmp_le_i32_e64 s1, v20, v14
	v_cmp_gt_i32_e64 s2, s31, v14
	v_cmp_gt_i64_e64 s35, s[12:13], 0
	v_cmp_gt_i32_e32 vcc_lo, s31, v2
	s_or_b32 s22, s3, s4
	v_cmp_le_i32_e64 s3, v20, v18
	v_cmp_gt_i32_e64 s4, s31, v18
	s_and_b32 s23, s1, s2
	v_cmp_le_i32_e64 s1, v22, v14
	v_cmp_le_i32_e64 s5, v22, v18
	v_cmp_gt_i32_e64 s0, s31, v0
	v_lshl_or_b32 v5, v6, 8, v5
	v_lshl_add_u64 v[16:17], v[2:3], 3, s[10:11]
	v_lshl_add_u32 v29, v19, 6, 0x800
	v_dual_ashrrev_i32 v19, 31, v18 :: v_dual_mov_b32 v21, 0
	s_and_b32 s31, s3, s4
	s_and_b32 s1, s1, s2
	;; [unrolled: 1-line block ×3, first 2 shown]
	s_mov_b32 s2, s24
	s_mov_b32 s3, s24
	;; [unrolled: 1-line block ×3, first 2 shown]
	s_and_b32 s34, s34, s35
	s_mov_b32 s4, s15
	s_mov_b32 s5, s14
	s_xor_b32 s35, vcc_lo, -1
	s_branch .LBB245_6
.LBB245_5:                              ;   in Loop: Header=BB245_6 Depth=1
	s_wait_xcnt 0x0
	s_or_b32 exec_lo, exec_lo, s10
	s_add_co_i32 s26, s26, 0x10000
	s_delay_alu instid0(SALU_CYCLE_1)
	s_cmp_lt_u32 s26, s30
	s_cbranch_scc0 .LBB245_37
.LBB245_6:                              ; =>This Loop Header: Depth=1
                                        ;     Child Loop BB245_9 Depth 2
	v_dual_mov_b32 v38, v21 :: v_dual_mov_b32 v40, v21
	v_dual_mov_b32 v34, v21 :: v_dual_mov_b32 v36, v21
	;; [unrolled: 1-line block ×4, first 2 shown]
	s_and_not1_b32 vcc_lo, exec_lo, s34
	s_cbranch_vccnz .LBB245_17
; %bb.7:                                ;   in Loop: Header=BB245_6 Depth=1
	s_mul_u64 s[10:11], s[8:9], s[26:27]
	s_mul_u64 s[36:37], s[18:19], s[26:27]
	v_lshl_add_u64 v[22:23], s[10:11], 3, v[8:9]
	v_lshl_add_u64 v[24:25], s[36:37], 3, v[16:17]
	v_dual_mov_b32 v28, 0 :: v_dual_mov_b32 v26, 0
	v_dual_mov_b32 v32, 0 :: v_dual_mov_b32 v30, 0
	;; [unrolled: 1-line block ×4, first 2 shown]
	s_mov_b64 s[10:11], 0
	s_branch .LBB245_9
.LBB245_8:                              ;   in Loop: Header=BB245_9 Depth=2
	s_or_b32 exec_lo, exec_lo, s36
	ds_store_b32 v7, v0 offset:4
	s_wait_dscnt 0x0
	s_barrier_signal -1
	s_barrier_wait -1
	ds_load_b128 v[42:45], v29
	ds_load_b128 v[46:49], v29 offset:16
	ds_load_b128 v[50:53], v29 offset:32
	;; [unrolled: 1-line block ×3, first 2 shown]
	ds_load_2addr_b64 v[54:57], v27 offset1:16
	s_add_nc_u64 s[10:11], s[10:11], 8
	s_delay_alu instid0(SALU_CYCLE_1) | instskip(SKIP_3) | instid1(VALU_DEP_1)
	v_cmp_gt_i64_e64 s36, s[12:13], s[10:11]
	s_and_b32 vcc_lo, exec_lo, s36
	s_wait_dscnt 0x0
	v_dual_mul_f32 v20, v43, v55 :: v_dual_mul_f32 v31, v42, v55
	v_dual_mul_f32 v33, v42, v57 :: v_dual_fma_f32 v20, v42, v54, -v20
	s_delay_alu instid0(VALU_DEP_1) | instskip(NEXT) | instid1(VALU_DEP_1)
	v_dual_fmac_f32 v31, v43, v54 :: v_dual_fmac_f32 v33, v43, v56
	v_dual_add_f32 v20, v38, v20 :: v_dual_add_f32 v38, v40, v31
	v_mul_f32_e32 v31, v43, v57
	s_delay_alu instid0(VALU_DEP_1) | instskip(NEXT) | instid1(VALU_DEP_1)
	v_dual_add_f32 v40, v36, v33 :: v_dual_fma_f32 v31, v42, v56, -v31
	v_add_f32_e32 v39, v34, v31
	ds_load_b128 v[34:37], v29 offset:1024
	s_wait_dscnt 0x0
	v_dual_mul_f32 v31, v35, v55 :: v_dual_mul_f32 v33, v34, v55
	s_delay_alu instid0(VALU_DEP_1) | instskip(NEXT) | instid1(VALU_DEP_1)
	v_dual_fma_f32 v31, v34, v54, -v31 :: v_dual_fmac_f32 v33, v35, v54
	v_dual_add_f32 v41, v30, v31 :: v_dual_add_f32 v42, v32, v33
	v_dual_mul_f32 v30, v35, v57 :: v_dual_mul_f32 v31, v34, v57
	s_delay_alu instid0(VALU_DEP_1) | instskip(NEXT) | instid1(VALU_DEP_1)
	v_dual_fma_f32 v30, v34, v56, -v30 :: v_dual_fmac_f32 v31, v35, v56
	v_dual_add_f32 v26, v26, v30 :: v_dual_add_f32 v28, v28, v31
	ds_load_2addr_b64 v[30:33], v27 offset0:32 offset1:48
	s_wait_dscnt 0x0
	v_dual_mul_f32 v34, v45, v31 :: v_dual_mul_f32 v35, v44, v31
	s_delay_alu instid0(VALU_DEP_1) | instskip(NEXT) | instid1(VALU_DEP_1)
	v_dual_fma_f32 v34, v44, v30, -v34 :: v_dual_fmac_f32 v35, v45, v30
	v_dual_add_f32 v20, v20, v34 :: v_dual_add_f32 v34, v38, v35
	v_dual_mul_f32 v35, v45, v33 :: v_dual_mul_f32 v38, v44, v33
	s_delay_alu instid0(VALU_DEP_1) | instskip(NEXT) | instid1(VALU_DEP_1)
	v_dual_fma_f32 v35, v44, v32, -v35 :: v_dual_fmac_f32 v38, v45, v32
	v_dual_add_f32 v35, v39, v35 :: v_dual_add_f32 v38, v40, v38
	v_dual_mul_f32 v39, v37, v31 :: v_dual_mul_f32 v31, v36, v31
	s_delay_alu instid0(VALU_DEP_1) | instskip(NEXT) | instid1(VALU_DEP_2)
	v_fmac_f32_e32 v31, v37, v30
	v_dual_fma_f32 v39, v36, v30, -v39 :: v_dual_mul_f32 v30, v37, v33
	s_delay_alu instid0(VALU_DEP_2) | instskip(NEXT) | instid1(VALU_DEP_2)
	v_add_f32_e32 v40, v42, v31
	v_dual_add_f32 v39, v41, v39 :: v_dual_fma_f32 v30, v36, v32, -v30
	s_delay_alu instid0(VALU_DEP_1) | instskip(NEXT) | instid1(VALU_DEP_1)
	v_dual_mul_f32 v31, v36, v33 :: v_dual_add_f32 v26, v26, v30
	v_fmac_f32_e32 v31, v37, v32
	s_delay_alu instid0(VALU_DEP_1) | instskip(SKIP_3) | instid1(VALU_DEP_1)
	v_add_f32_e32 v28, v28, v31
	ds_load_2addr_b64 v[30:33], v27 offset0:64 offset1:80
	s_wait_dscnt 0x0
	v_mul_f32_e32 v36, v47, v31
	v_dual_fma_f32 v36, v46, v30, -v36 :: v_dual_mul_f32 v37, v46, v31
	s_delay_alu instid0(VALU_DEP_1) | instskip(SKIP_1) | instid1(VALU_DEP_2)
	v_dual_add_f32 v20, v20, v36 :: v_dual_fmac_f32 v37, v47, v30
	v_mul_f32_e32 v36, v46, v33
	v_add_f32_e32 v41, v34, v37
	v_mul_f32_e32 v34, v47, v33
	s_delay_alu instid0(VALU_DEP_1) | instskip(NEXT) | instid1(VALU_DEP_1)
	v_fma_f32 v34, v46, v32, -v34
	v_add_f32_e32 v42, v35, v34
	v_fmac_f32_e32 v36, v47, v32
	s_delay_alu instid0(VALU_DEP_1) | instskip(SKIP_3) | instid1(VALU_DEP_1)
	v_add_f32_e32 v38, v38, v36
	ds_load_b128 v[34:37], v29 offset:1040
	s_wait_dscnt 0x0
	v_dual_mul_f32 v43, v35, v31 :: v_dual_mul_f32 v31, v34, v31
	v_fma_f32 v43, v34, v30, -v43
	s_delay_alu instid0(VALU_DEP_2) | instskip(NEXT) | instid1(VALU_DEP_2)
	v_dual_fmac_f32 v31, v35, v30 :: v_dual_mul_f32 v30, v35, v33
	v_add_f32_e32 v39, v39, v43
	s_delay_alu instid0(VALU_DEP_2) | instskip(NEXT) | instid1(VALU_DEP_1)
	v_dual_add_f32 v40, v40, v31 :: v_dual_mul_f32 v31, v34, v33
	v_dual_fma_f32 v30, v34, v32, -v30 :: v_dual_fmac_f32 v31, v35, v32
	s_delay_alu instid0(VALU_DEP_1) | instskip(SKIP_3) | instid1(VALU_DEP_1)
	v_dual_add_f32 v26, v26, v30 :: v_dual_add_f32 v28, v28, v31
	ds_load_2addr_b64 v[30:33], v27 offset0:96 offset1:112
	s_wait_dscnt 0x0
	v_dual_mul_f32 v34, v49, v31 :: v_dual_mul_f32 v35, v48, v31
	v_dual_fma_f32 v34, v48, v30, -v34 :: v_dual_fmac_f32 v35, v49, v30
	s_delay_alu instid0(VALU_DEP_1) | instskip(SKIP_1) | instid1(VALU_DEP_1)
	v_dual_add_f32 v20, v20, v34 :: v_dual_add_f32 v34, v41, v35
	v_mul_f32_e32 v41, v48, v33
	v_fmac_f32_e32 v41, v49, v32
	s_delay_alu instid0(VALU_DEP_1) | instskip(SKIP_1) | instid1(VALU_DEP_2)
	v_dual_add_f32 v38, v38, v41 :: v_dual_mul_f32 v41, v37, v31
	v_dual_mul_f32 v35, v49, v33 :: v_dual_mul_f32 v31, v36, v31
	v_fma_f32 v41, v36, v30, -v41
	s_delay_alu instid0(VALU_DEP_2) | instskip(NEXT) | instid1(VALU_DEP_3)
	v_fma_f32 v35, v48, v32, -v35
	v_dual_fmac_f32 v31, v37, v30 :: v_dual_mul_f32 v30, v37, v33
	s_delay_alu instid0(VALU_DEP_2) | instskip(NEXT) | instid1(VALU_DEP_2)
	v_dual_add_f32 v39, v39, v41 :: v_dual_add_f32 v35, v42, v35
	v_add_f32_e32 v40, v40, v31
	s_delay_alu instid0(VALU_DEP_3) | instskip(NEXT) | instid1(VALU_DEP_1)
	v_dual_fma_f32 v30, v36, v32, -v30 :: v_dual_mul_f32 v31, v36, v33
	v_dual_fmac_f32 v31, v37, v32 :: v_dual_add_f32 v26, v26, v30
	s_delay_alu instid0(VALU_DEP_1) | instskip(SKIP_3) | instid1(VALU_DEP_1)
	v_add_f32_e32 v28, v28, v31
	ds_load_2addr_b64 v[30:33], v27 offset0:128 offset1:144
	s_wait_dscnt 0x0
	v_dual_mul_f32 v36, v51, v31 :: v_dual_mul_f32 v37, v50, v31
	v_dual_fma_f32 v36, v50, v30, -v36 :: v_dual_fmac_f32 v37, v51, v30
	s_delay_alu instid0(VALU_DEP_1) | instskip(SKIP_1) | instid1(VALU_DEP_1)
	v_dual_add_f32 v20, v20, v36 :: v_dual_add_f32 v41, v34, v37
	v_dual_mul_f32 v34, v51, v33 :: v_dual_mul_f32 v36, v50, v33
	v_dual_fma_f32 v34, v50, v32, -v34 :: v_dual_fmac_f32 v36, v51, v32
	s_delay_alu instid0(VALU_DEP_1) | instskip(SKIP_3) | instid1(VALU_DEP_1)
	v_dual_add_f32 v42, v35, v34 :: v_dual_add_f32 v38, v38, v36
	ds_load_b128 v[34:37], v29 offset:1056
	s_wait_dscnt 0x0
	v_dual_mul_f32 v43, v35, v31 :: v_dual_mul_f32 v31, v34, v31
	v_fmac_f32_e32 v31, v35, v30
	s_delay_alu instid0(VALU_DEP_2) | instskip(NEXT) | instid1(VALU_DEP_2)
	v_dual_fma_f32 v43, v34, v30, -v43 :: v_dual_mul_f32 v30, v35, v33
	v_dual_add_f32 v40, v40, v31 :: v_dual_mul_f32 v31, v34, v33
	s_delay_alu instid0(VALU_DEP_2) | instskip(NEXT) | instid1(VALU_DEP_1)
	v_dual_add_f32 v39, v39, v43 :: v_dual_fma_f32 v30, v34, v32, -v30
	v_dual_fmac_f32 v31, v35, v32 :: v_dual_add_f32 v26, v26, v30
	s_delay_alu instid0(VALU_DEP_1) | instskip(SKIP_3) | instid1(VALU_DEP_1)
	v_add_f32_e32 v28, v28, v31
	ds_load_2addr_b64 v[30:33], v27 offset0:160 offset1:176
	s_wait_dscnt 0x0
	v_dual_mul_f32 v34, v53, v31 :: v_dual_mul_f32 v35, v52, v31
	v_dual_fma_f32 v34, v52, v30, -v34 :: v_dual_fmac_f32 v35, v53, v30
	s_delay_alu instid0(VALU_DEP_1) | instskip(SKIP_1) | instid1(VALU_DEP_1)
	v_dual_add_f32 v20, v20, v34 :: v_dual_add_f32 v34, v41, v35
	v_mul_f32_e32 v41, v52, v33
	v_fmac_f32_e32 v41, v53, v32
	s_delay_alu instid0(VALU_DEP_1) | instskip(SKIP_1) | instid1(VALU_DEP_2)
	v_dual_add_f32 v38, v38, v41 :: v_dual_mul_f32 v41, v37, v31
	v_dual_mul_f32 v35, v53, v33 :: v_dual_mul_f32 v31, v36, v31
	v_fma_f32 v41, v36, v30, -v41
	s_delay_alu instid0(VALU_DEP_2) | instskip(NEXT) | instid1(VALU_DEP_3)
	v_fma_f32 v35, v52, v32, -v35
	v_dual_fmac_f32 v31, v37, v30 :: v_dual_mul_f32 v30, v37, v33
	s_delay_alu instid0(VALU_DEP_2) | instskip(NEXT) | instid1(VALU_DEP_2)
	v_dual_add_f32 v39, v39, v41 :: v_dual_add_f32 v35, v42, v35
	v_add_f32_e32 v44, v40, v31
	s_delay_alu instid0(VALU_DEP_3) | instskip(SKIP_2) | instid1(VALU_DEP_1)
	v_dual_fma_f32 v30, v36, v32, -v30 :: v_dual_mul_f32 v31, v36, v33
	ds_load_b128 v[40:43], v29 offset:1072
	v_dual_fmac_f32 v31, v37, v32 :: v_dual_add_f32 v26, v26, v30
	v_add_f32_e32 v28, v28, v31
	ds_load_2addr_b64 v[30:33], v27 offset0:192 offset1:208
	s_wait_dscnt 0x0
	v_dual_mul_f32 v36, v1, v31 :: v_dual_mul_f32 v37, v0, v31
	s_delay_alu instid0(VALU_DEP_1) | instskip(NEXT) | instid1(VALU_DEP_1)
	v_dual_fma_f32 v36, v0, v30, -v36 :: v_dual_fmac_f32 v37, v1, v30
	v_dual_add_f32 v20, v20, v36 :: v_dual_add_f32 v34, v34, v37
	v_mul_f32_e32 v36, v1, v33
	s_delay_alu instid0(VALU_DEP_1) | instskip(NEXT) | instid1(VALU_DEP_1)
	v_dual_fma_f32 v36, v0, v32, -v36 :: v_dual_mul_f32 v0, v0, v33
	v_fmac_f32_e32 v0, v1, v32
	s_delay_alu instid0(VALU_DEP_2) | instskip(NEXT) | instid1(VALU_DEP_1)
	v_dual_add_f32 v1, v35, v36 :: v_dual_mul_f32 v35, v41, v31
	v_dual_mul_f32 v31, v40, v31 :: v_dual_fma_f32 v35, v40, v30, -v35
	s_delay_alu instid0(VALU_DEP_1) | instskip(NEXT) | instid1(VALU_DEP_2)
	v_dual_add_f32 v0, v38, v0 :: v_dual_fmac_f32 v31, v41, v30
	v_dual_add_f32 v30, v39, v35 :: v_dual_mul_f32 v35, v41, v33
	v_mul_f32_e32 v33, v40, v33
	s_delay_alu instid0(VALU_DEP_3)
	v_add_f32_e32 v31, v44, v31
	ds_load_2addr_b64 v[44:47], v27 offset0:224 offset1:240
	s_wait_dscnt 0x0
	v_dual_fma_f32 v35, v40, v32, -v35 :: v_dual_fmac_f32 v33, v41, v32
	s_barrier_signal -1
	s_barrier_wait -1
	s_delay_alu instid0(VALU_DEP_1) | instskip(SKIP_1) | instid1(VALU_DEP_1)
	v_dual_add_f32 v26, v26, v35 :: v_dual_add_f32 v28, v28, v33
	v_dual_mul_f32 v32, v3, v45 :: v_dual_mul_f32 v33, v2, v45
	v_dual_fma_f32 v32, v2, v44, -v32 :: v_dual_fmac_f32 v33, v3, v44
	s_delay_alu instid0(VALU_DEP_1) | instskip(SKIP_1) | instid1(VALU_DEP_1)
	v_dual_add_f32 v38, v20, v32 :: v_dual_add_f32 v40, v34, v33
	v_mul_f32_e32 v20, v3, v47
	v_dual_fma_f32 v20, v2, v46, -v20 :: v_dual_mul_f32 v2, v2, v47
	s_delay_alu instid0(VALU_DEP_1) | instskip(NEXT) | instid1(VALU_DEP_1)
	v_dual_fmac_f32 v2, v3, v46 :: v_dual_add_f32 v34, v1, v20
	v_dual_mul_f32 v1, v42, v45 :: v_dual_add_f32 v36, v0, v2
	s_delay_alu instid0(VALU_DEP_1) | instskip(NEXT) | instid1(VALU_DEP_1)
	v_dual_mul_f32 v0, v43, v45 :: v_dual_fmac_f32 v1, v43, v44
	v_dual_fma_f32 v0, v42, v44, -v0 :: v_dual_add_f32 v32, v31, v1
	v_mul_f32_e32 v1, v42, v47
	s_delay_alu instid0(VALU_DEP_2) | instskip(NEXT) | instid1(VALU_DEP_1)
	v_dual_add_f32 v30, v30, v0 :: v_dual_mul_f32 v0, v43, v47
	v_dual_fmac_f32 v1, v43, v46 :: v_dual_fma_f32 v0, v42, v46, -v0
	s_delay_alu instid0(VALU_DEP_1)
	v_dual_add_f32 v28, v28, v1 :: v_dual_add_f32 v26, v26, v0
	s_cbranch_vccz .LBB245_17
.LBB245_9:                              ;   Parent Loop BB245_6 Depth=1
                                        ; =>  This Inner Loop Header: Depth=2
	v_dual_mov_b32 v0, 0 :: v_dual_mov_b32 v1, 0
	s_and_saveexec_b32 s36, s0
	s_cbranch_execz .LBB245_13
; %bb.10:                               ;   in Loop: Header=BB245_9 Depth=2
	v_dual_mov_b32 v1, 0 :: v_dual_add_nc_u32 v20, s10, v6
	v_mov_b32_e32 v0, 0
	s_mov_b32 s37, exec_lo
	s_delay_alu instid0(VALU_DEP_2)
	v_cmpx_gt_u64_e64 s[12:13], v[20:21]
	s_cbranch_execz .LBB245_12
; %bb.11:                               ;   in Loop: Header=BB245_9 Depth=2
	v_mul_u64_e32 v[0:1], s[6:7], v[20:21]
	s_delay_alu instid0(VALU_DEP_1)
	v_lshl_add_u64 v[0:1], v[0:1], 3, v[22:23]
	global_load_b64 v[0:1], v[0:1], off
.LBB245_12:                             ;   in Loop: Header=BB245_9 Depth=2
	s_wait_xcnt 0x0
	s_or_b32 exec_lo, exec_lo, s37
.LBB245_13:                             ;   in Loop: Header=BB245_9 Depth=2
	s_delay_alu instid0(SALU_CYCLE_1)
	s_or_b32 exec_lo, exec_lo, s36
	v_add_nc_u32_e32 v20, s10, v4
	s_wait_loadcnt 0x0
	ds_store_b64 v5, v[0:1]
	v_cmp_le_u64_e32 vcc_lo, s[12:13], v[20:21]
	s_or_b32 s36, vcc_lo, s35
	s_delay_alu instid0(SALU_CYCLE_1) | instskip(NEXT) | instid1(SALU_CYCLE_1)
	s_and_saveexec_b32 s37, s36
	s_xor_b32 s36, exec_lo, s37
; %bb.14:                               ;   in Loop: Header=BB245_9 Depth=2
	ds_store_b32 v7, v21
; %bb.15:                               ;   in Loop: Header=BB245_9 Depth=2
	s_or_saveexec_b32 s36, s36
	v_mov_b32_e32 v0, 0
	s_xor_b32 exec_lo, exec_lo, s36
	s_cbranch_execz .LBB245_8
; %bb.16:                               ;   in Loop: Header=BB245_9 Depth=2
	v_mul_u64_e32 v[0:1], s[16:17], v[20:21]
	s_delay_alu instid0(VALU_DEP_1)
	v_lshl_add_u64 v[0:1], v[0:1], 3, v[24:25]
	global_load_b64 v[2:3], v[0:1], off
	s_wait_loadcnt 0x0
	s_wait_xcnt 0x0
	v_xor_b32_e32 v0, 0x80000000, v3
	ds_store_b32 v7, v2
	s_branch .LBB245_8
.LBB245_17:                             ;   in Loop: Header=BB245_6 Depth=1
	s_mul_u64 s[10:11], s[28:29], s[26:27]
	s_delay_alu instid0(SALU_CYCLE_1) | instskip(NEXT) | instid1(SALU_CYCLE_1)
	s_lshl_b64 s[10:11], s[10:11], 3
	s_add_nc_u64 s[10:11], s[20:21], s[10:11]
	s_delay_alu instid0(SALU_CYCLE_1)
	v_lshl_add_u64 v[0:1], v[10:11], 3, s[10:11]
	s_and_saveexec_b32 s36, s23
	s_cbranch_execz .LBB245_22
; %bb.18:                               ;   in Loop: Header=BB245_6 Depth=1
	v_mov_b64_e32 v[2:3], s[4:5]
	v_mov_b64_e32 v[22:23], s[14:15]
	s_and_b32 vcc_lo, exec_lo, s22
	s_mov_b32 s37, -1
	s_delay_alu instid0(VALU_DEP_2) | instskip(NEXT) | instid1(VALU_DEP_1)
	v_pk_mul_f32 v[2:3], v[40:41], v[2:3] op_sel_hi:[0,1]
	v_pk_fma_f32 v[24:25], v[38:39], v[22:23], v[2:3] op_sel_hi:[0,1,1]
	v_pk_fma_f32 v[2:3], v[38:39], v[22:23], v[2:3] neg_lo:[0,0,1] neg_hi:[0,0,1]
	v_lshl_add_u64 v[22:23], v[14:15], 3, v[0:1]
	s_delay_alu instid0(VALU_DEP_3)
	v_mov_b32_e32 v3, v25
	s_cbranch_vccz .LBB245_20
; %bb.19:                               ;   in Loop: Header=BB245_6 Depth=1
	global_load_b64 v[24:25], v[22:23], off
	v_mov_b64_e32 v[38:39], s[24:25]
	v_mov_b64_e32 v[40:41], s[2:3]
	s_mov_b32 s37, 0
	s_wait_loadcnt 0x0
	s_delay_alu instid0(VALU_DEP_2) | instskip(NEXT) | instid1(VALU_DEP_1)
	v_pk_mul_f32 v[38:39], v[24:25], v[38:39]
	v_pk_fma_f32 v[42:43], v[24:25], v[40:41], v[38:39] op_sel:[0,0,1] op_sel_hi:[1,1,0]
	v_pk_fma_f32 v[24:25], v[24:25], v[40:41], v[38:39] op_sel:[0,0,1] op_sel_hi:[1,1,0] neg_lo:[0,0,1] neg_hi:[0,0,1]
	s_delay_alu instid0(VALU_DEP_2) | instskip(NEXT) | instid1(VALU_DEP_1)
	v_mov_b32_e32 v25, v43
	v_pk_add_f32 v[24:25], v[2:3], v[24:25]
	global_store_b64 v[22:23], v[24:25], off
.LBB245_20:                             ;   in Loop: Header=BB245_6 Depth=1
	s_and_not1_b32 vcc_lo, exec_lo, s37
	s_cbranch_vccnz .LBB245_22
; %bb.21:                               ;   in Loop: Header=BB245_6 Depth=1
	global_store_b64 v[22:23], v[2:3], off
.LBB245_22:                             ;   in Loop: Header=BB245_6 Depth=1
	s_wait_xcnt 0x0
	s_or_b32 exec_lo, exec_lo, s36
	s_and_saveexec_b32 s36, s31
	s_cbranch_execz .LBB245_27
; %bb.23:                               ;   in Loop: Header=BB245_6 Depth=1
	v_mov_b64_e32 v[2:3], s[4:5]
	v_mov_b64_e32 v[22:23], s[14:15]
	v_lshl_add_u64 v[0:1], v[18:19], 3, v[0:1]
	s_and_not1_b32 vcc_lo, exec_lo, s22
	s_mov_b32 s37, -1
	s_delay_alu instid0(VALU_DEP_3) | instskip(NEXT) | instid1(VALU_DEP_1)
	v_pk_mul_f32 v[2:3], v[36:37], v[2:3] op_sel_hi:[0,1]
	v_pk_fma_f32 v[24:25], v[34:35], v[22:23], v[2:3] op_sel_hi:[0,1,1]
	v_pk_fma_f32 v[2:3], v[34:35], v[22:23], v[2:3] neg_lo:[0,0,1] neg_hi:[0,0,1]
	s_delay_alu instid0(VALU_DEP_2)
	v_mov_b32_e32 v3, v25
	s_cbranch_vccnz .LBB245_25
; %bb.24:                               ;   in Loop: Header=BB245_6 Depth=1
	global_load_b64 v[22:23], v[0:1], off
	v_mov_b64_e32 v[24:25], s[24:25]
	v_mov_b64_e32 v[34:35], s[2:3]
	s_mov_b32 s37, 0
	s_wait_loadcnt 0x0
	s_delay_alu instid0(VALU_DEP_2) | instskip(NEXT) | instid1(VALU_DEP_1)
	v_pk_mul_f32 v[24:25], v[22:23], v[24:25]
	v_pk_fma_f32 v[36:37], v[22:23], v[34:35], v[24:25] op_sel:[0,0,1] op_sel_hi:[1,1,0]
	v_pk_fma_f32 v[22:23], v[22:23], v[34:35], v[24:25] op_sel:[0,0,1] op_sel_hi:[1,1,0] neg_lo:[0,0,1] neg_hi:[0,0,1]
	s_delay_alu instid0(VALU_DEP_2) | instskip(NEXT) | instid1(VALU_DEP_1)
	v_mov_b32_e32 v23, v37
	v_pk_add_f32 v[22:23], v[2:3], v[22:23]
	global_store_b64 v[0:1], v[22:23], off
.LBB245_25:                             ;   in Loop: Header=BB245_6 Depth=1
	s_and_not1_b32 vcc_lo, exec_lo, s37
	s_cbranch_vccnz .LBB245_27
; %bb.26:                               ;   in Loop: Header=BB245_6 Depth=1
	global_store_b64 v[0:1], v[2:3], off
.LBB245_27:                             ;   in Loop: Header=BB245_6 Depth=1
	s_wait_xcnt 0x0
	s_or_b32 exec_lo, exec_lo, s36
	v_lshl_add_u64 v[0:1], v[12:13], 3, s[10:11]
	s_and_saveexec_b32 s10, s1
	s_cbranch_execz .LBB245_32
; %bb.28:                               ;   in Loop: Header=BB245_6 Depth=1
	v_mov_b64_e32 v[2:3], s[4:5]
	v_mov_b64_e32 v[22:23], s[14:15]
	s_and_not1_b32 vcc_lo, exec_lo, s22
	s_mov_b32 s11, -1
	s_delay_alu instid0(VALU_DEP_2) | instskip(NEXT) | instid1(VALU_DEP_1)
	v_pk_mul_f32 v[2:3], v[32:33], v[2:3] op_sel_hi:[0,1]
	v_pk_fma_f32 v[24:25], v[30:31], v[22:23], v[2:3] op_sel_hi:[0,1,1]
	v_pk_fma_f32 v[2:3], v[30:31], v[22:23], v[2:3] neg_lo:[0,0,1] neg_hi:[0,0,1]
	v_lshl_add_u64 v[22:23], v[14:15], 3, v[0:1]
	s_delay_alu instid0(VALU_DEP_3)
	v_mov_b32_e32 v3, v25
	s_cbranch_vccnz .LBB245_30
; %bb.29:                               ;   in Loop: Header=BB245_6 Depth=1
	global_load_b64 v[24:25], v[22:23], off
	v_mov_b64_e32 v[30:31], s[24:25]
	v_mov_b64_e32 v[32:33], s[2:3]
	s_mov_b32 s11, 0
	s_wait_loadcnt 0x0
	s_delay_alu instid0(VALU_DEP_2) | instskip(NEXT) | instid1(VALU_DEP_1)
	v_pk_mul_f32 v[30:31], v[24:25], v[30:31]
	v_pk_fma_f32 v[34:35], v[24:25], v[32:33], v[30:31] op_sel:[0,0,1] op_sel_hi:[1,1,0]
	v_pk_fma_f32 v[24:25], v[24:25], v[32:33], v[30:31] op_sel:[0,0,1] op_sel_hi:[1,1,0] neg_lo:[0,0,1] neg_hi:[0,0,1]
	s_delay_alu instid0(VALU_DEP_2) | instskip(NEXT) | instid1(VALU_DEP_1)
	v_mov_b32_e32 v25, v35
	v_pk_add_f32 v[24:25], v[2:3], v[24:25]
	global_store_b64 v[22:23], v[24:25], off
.LBB245_30:                             ;   in Loop: Header=BB245_6 Depth=1
	s_and_not1_b32 vcc_lo, exec_lo, s11
	s_cbranch_vccnz .LBB245_32
; %bb.31:                               ;   in Loop: Header=BB245_6 Depth=1
	global_store_b64 v[22:23], v[2:3], off
.LBB245_32:                             ;   in Loop: Header=BB245_6 Depth=1
	s_wait_xcnt 0x0
	s_or_b32 exec_lo, exec_lo, s10
	s_and_saveexec_b32 s10, s33
	s_cbranch_execz .LBB245_5
; %bb.33:                               ;   in Loop: Header=BB245_6 Depth=1
	v_mov_b64_e32 v[2:3], s[4:5]
	v_mov_b64_e32 v[22:23], s[14:15]
	v_lshl_add_u64 v[0:1], v[18:19], 3, v[0:1]
	s_and_not1_b32 vcc_lo, exec_lo, s22
	s_mov_b32 s11, -1
	s_delay_alu instid0(VALU_DEP_3) | instskip(NEXT) | instid1(VALU_DEP_1)
	v_pk_mul_f32 v[2:3], v[28:29], v[2:3] op_sel_hi:[0,1]
	v_pk_fma_f32 v[24:25], v[26:27], v[22:23], v[2:3] op_sel_hi:[0,1,1]
	v_pk_fma_f32 v[2:3], v[26:27], v[22:23], v[2:3] neg_lo:[0,0,1] neg_hi:[0,0,1]
	s_delay_alu instid0(VALU_DEP_2)
	v_mov_b32_e32 v3, v25
	s_cbranch_vccnz .LBB245_35
; %bb.34:                               ;   in Loop: Header=BB245_6 Depth=1
	global_load_b64 v[22:23], v[0:1], off
	v_mov_b64_e32 v[24:25], s[24:25]
	v_mov_b64_e32 v[30:31], s[2:3]
	s_mov_b32 s11, 0
	s_wait_loadcnt 0x0
	s_delay_alu instid0(VALU_DEP_2) | instskip(NEXT) | instid1(VALU_DEP_1)
	v_pk_mul_f32 v[24:25], v[22:23], v[24:25]
	v_pk_fma_f32 v[32:33], v[22:23], v[30:31], v[24:25] op_sel:[0,0,1] op_sel_hi:[1,1,0]
	v_pk_fma_f32 v[22:23], v[22:23], v[30:31], v[24:25] op_sel:[0,0,1] op_sel_hi:[1,1,0] neg_lo:[0,0,1] neg_hi:[0,0,1]
	s_delay_alu instid0(VALU_DEP_2) | instskip(NEXT) | instid1(VALU_DEP_1)
	v_mov_b32_e32 v23, v33
	v_pk_add_f32 v[22:23], v[2:3], v[22:23]
	global_store_b64 v[0:1], v[22:23], off
.LBB245_35:                             ;   in Loop: Header=BB245_6 Depth=1
	s_and_not1_b32 vcc_lo, exec_lo, s11
	s_cbranch_vccnz .LBB245_5
; %bb.36:                               ;   in Loop: Header=BB245_6 Depth=1
	global_store_b64 v[0:1], v[2:3], off
	s_branch .LBB245_5
.LBB245_37:
	s_endpgm
	.section	.rodata,"a",@progbits
	.p2align	6, 0x0
	.amdhsa_kernel _ZL29rocblas_internal_gemmt_kernelIlLi16ELi32ELi8ELc78ELc67ELc76ELb0ELb1E19rocblas_complex_numIfES1_PKS1_PS1_EviT_T9_T10_S5_lS7_S5_lS6_T11_S5_li
		.amdhsa_group_segment_fixed_size 4096
		.amdhsa_private_segment_fixed_size 0
		.amdhsa_kernarg_size 108
		.amdhsa_user_sgpr_count 2
		.amdhsa_user_sgpr_dispatch_ptr 0
		.amdhsa_user_sgpr_queue_ptr 0
		.amdhsa_user_sgpr_kernarg_segment_ptr 1
		.amdhsa_user_sgpr_dispatch_id 0
		.amdhsa_user_sgpr_kernarg_preload_length 0
		.amdhsa_user_sgpr_kernarg_preload_offset 0
		.amdhsa_user_sgpr_private_segment_size 0
		.amdhsa_wavefront_size32 1
		.amdhsa_uses_dynamic_stack 0
		.amdhsa_enable_private_segment 0
		.amdhsa_system_sgpr_workgroup_id_x 1
		.amdhsa_system_sgpr_workgroup_id_y 1
		.amdhsa_system_sgpr_workgroup_id_z 1
		.amdhsa_system_sgpr_workgroup_info 0
		.amdhsa_system_vgpr_workitem_id 1
		.amdhsa_next_free_vgpr 58
		.amdhsa_next_free_sgpr 38
		.amdhsa_named_barrier_count 0
		.amdhsa_reserve_vcc 1
		.amdhsa_float_round_mode_32 0
		.amdhsa_float_round_mode_16_64 0
		.amdhsa_float_denorm_mode_32 3
		.amdhsa_float_denorm_mode_16_64 3
		.amdhsa_fp16_overflow 0
		.amdhsa_memory_ordered 1
		.amdhsa_forward_progress 1
		.amdhsa_inst_pref_size 26
		.amdhsa_round_robin_scheduling 0
		.amdhsa_exception_fp_ieee_invalid_op 0
		.amdhsa_exception_fp_denorm_src 0
		.amdhsa_exception_fp_ieee_div_zero 0
		.amdhsa_exception_fp_ieee_overflow 0
		.amdhsa_exception_fp_ieee_underflow 0
		.amdhsa_exception_fp_ieee_inexact 0
		.amdhsa_exception_int_div_zero 0
	.end_amdhsa_kernel
	.section	.text._ZL29rocblas_internal_gemmt_kernelIlLi16ELi32ELi8ELc78ELc67ELc76ELb0ELb1E19rocblas_complex_numIfES1_PKS1_PS1_EviT_T9_T10_S5_lS7_S5_lS6_T11_S5_li,"axG",@progbits,_ZL29rocblas_internal_gemmt_kernelIlLi16ELi32ELi8ELc78ELc67ELc76ELb0ELb1E19rocblas_complex_numIfES1_PKS1_PS1_EviT_T9_T10_S5_lS7_S5_lS6_T11_S5_li,comdat
.Lfunc_end245:
	.size	_ZL29rocblas_internal_gemmt_kernelIlLi16ELi32ELi8ELc78ELc67ELc76ELb0ELb1E19rocblas_complex_numIfES1_PKS1_PS1_EviT_T9_T10_S5_lS7_S5_lS6_T11_S5_li, .Lfunc_end245-_ZL29rocblas_internal_gemmt_kernelIlLi16ELi32ELi8ELc78ELc67ELc76ELb0ELb1E19rocblas_complex_numIfES1_PKS1_PS1_EviT_T9_T10_S5_lS7_S5_lS6_T11_S5_li
                                        ; -- End function
	.set _ZL29rocblas_internal_gemmt_kernelIlLi16ELi32ELi8ELc78ELc67ELc76ELb0ELb1E19rocblas_complex_numIfES1_PKS1_PS1_EviT_T9_T10_S5_lS7_S5_lS6_T11_S5_li.num_vgpr, 58
	.set _ZL29rocblas_internal_gemmt_kernelIlLi16ELi32ELi8ELc78ELc67ELc76ELb0ELb1E19rocblas_complex_numIfES1_PKS1_PS1_EviT_T9_T10_S5_lS7_S5_lS6_T11_S5_li.num_agpr, 0
	.set _ZL29rocblas_internal_gemmt_kernelIlLi16ELi32ELi8ELc78ELc67ELc76ELb0ELb1E19rocblas_complex_numIfES1_PKS1_PS1_EviT_T9_T10_S5_lS7_S5_lS6_T11_S5_li.numbered_sgpr, 38
	.set _ZL29rocblas_internal_gemmt_kernelIlLi16ELi32ELi8ELc78ELc67ELc76ELb0ELb1E19rocblas_complex_numIfES1_PKS1_PS1_EviT_T9_T10_S5_lS7_S5_lS6_T11_S5_li.num_named_barrier, 0
	.set _ZL29rocblas_internal_gemmt_kernelIlLi16ELi32ELi8ELc78ELc67ELc76ELb0ELb1E19rocblas_complex_numIfES1_PKS1_PS1_EviT_T9_T10_S5_lS7_S5_lS6_T11_S5_li.private_seg_size, 0
	.set _ZL29rocblas_internal_gemmt_kernelIlLi16ELi32ELi8ELc78ELc67ELc76ELb0ELb1E19rocblas_complex_numIfES1_PKS1_PS1_EviT_T9_T10_S5_lS7_S5_lS6_T11_S5_li.uses_vcc, 1
	.set _ZL29rocblas_internal_gemmt_kernelIlLi16ELi32ELi8ELc78ELc67ELc76ELb0ELb1E19rocblas_complex_numIfES1_PKS1_PS1_EviT_T9_T10_S5_lS7_S5_lS6_T11_S5_li.uses_flat_scratch, 0
	.set _ZL29rocblas_internal_gemmt_kernelIlLi16ELi32ELi8ELc78ELc67ELc76ELb0ELb1E19rocblas_complex_numIfES1_PKS1_PS1_EviT_T9_T10_S5_lS7_S5_lS6_T11_S5_li.has_dyn_sized_stack, 0
	.set _ZL29rocblas_internal_gemmt_kernelIlLi16ELi32ELi8ELc78ELc67ELc76ELb0ELb1E19rocblas_complex_numIfES1_PKS1_PS1_EviT_T9_T10_S5_lS7_S5_lS6_T11_S5_li.has_recursion, 0
	.set _ZL29rocblas_internal_gemmt_kernelIlLi16ELi32ELi8ELc78ELc67ELc76ELb0ELb1E19rocblas_complex_numIfES1_PKS1_PS1_EviT_T9_T10_S5_lS7_S5_lS6_T11_S5_li.has_indirect_call, 0
	.section	.AMDGPU.csdata,"",@progbits
; Kernel info:
; codeLenInByte = 3208
; TotalNumSgprs: 40
; NumVgprs: 58
; ScratchSize: 0
; MemoryBound: 0
; FloatMode: 240
; IeeeMode: 1
; LDSByteSize: 4096 bytes/workgroup (compile time only)
; SGPRBlocks: 0
; VGPRBlocks: 3
; NumSGPRsForWavesPerEU: 40
; NumVGPRsForWavesPerEU: 58
; NamedBarCnt: 0
; Occupancy: 16
; WaveLimiterHint : 0
; COMPUTE_PGM_RSRC2:SCRATCH_EN: 0
; COMPUTE_PGM_RSRC2:USER_SGPR: 2
; COMPUTE_PGM_RSRC2:TRAP_HANDLER: 0
; COMPUTE_PGM_RSRC2:TGID_X_EN: 1
; COMPUTE_PGM_RSRC2:TGID_Y_EN: 1
; COMPUTE_PGM_RSRC2:TGID_Z_EN: 1
; COMPUTE_PGM_RSRC2:TIDIG_COMP_CNT: 1
	.section	.text._ZL29rocblas_internal_gemmt_kernelIlLi16ELi32ELi8ELc84ELc78ELc76ELb0ELb0E19rocblas_complex_numIfES1_PKS1_PS1_EviT_T9_T10_S5_lS7_S5_lS6_T11_S5_li,"axG",@progbits,_ZL29rocblas_internal_gemmt_kernelIlLi16ELi32ELi8ELc84ELc78ELc76ELb0ELb0E19rocblas_complex_numIfES1_PKS1_PS1_EviT_T9_T10_S5_lS7_S5_lS6_T11_S5_li,comdat
	.globl	_ZL29rocblas_internal_gemmt_kernelIlLi16ELi32ELi8ELc84ELc78ELc76ELb0ELb0E19rocblas_complex_numIfES1_PKS1_PS1_EviT_T9_T10_S5_lS7_S5_lS6_T11_S5_li ; -- Begin function _ZL29rocblas_internal_gemmt_kernelIlLi16ELi32ELi8ELc84ELc78ELc76ELb0ELb0E19rocblas_complex_numIfES1_PKS1_PS1_EviT_T9_T10_S5_lS7_S5_lS6_T11_S5_li
	.p2align	8
	.type	_ZL29rocblas_internal_gemmt_kernelIlLi16ELi32ELi8ELc84ELc78ELc76ELb0ELb0E19rocblas_complex_numIfES1_PKS1_PS1_EviT_T9_T10_S5_lS7_S5_lS6_T11_S5_li,@function
_ZL29rocblas_internal_gemmt_kernelIlLi16ELi32ELi8ELc84ELc78ELc76ELb0ELb0E19rocblas_complex_numIfES1_PKS1_PS1_EviT_T9_T10_S5_lS7_S5_lS6_T11_S5_li: ; @_ZL29rocblas_internal_gemmt_kernelIlLi16ELi32ELi8ELc84ELc78ELc76ELb0ELb0E19rocblas_complex_numIfES1_PKS1_PS1_EviT_T9_T10_S5_lS7_S5_lS6_T11_S5_li
; %bb.0:
	s_clause 0x1
	s_load_b64 s[24:25], s[0:1], 0x48
	s_load_b128 s[12:15], s[0:1], 0x8
	s_wait_kmcnt 0x0
	s_cmp_neq_f32 s24, 1.0
	s_cselect_b32 s3, -1, 0
	s_and_b32 s4, s25, 0x7fffffff
	s_delay_alu instid0(SALU_CYCLE_1) | instskip(SKIP_3) | instid1(SALU_CYCLE_1)
	s_cmp_eq_u32 s4, 0
	s_cselect_b32 s2, -1, 0
	s_cmp_lg_u32 s4, 0
	s_cselect_b32 s4, -1, 0
	s_or_b32 s3, s3, s4
	s_delay_alu instid0(SALU_CYCLE_1)
	s_and_b32 vcc_lo, exec_lo, s3
	s_cbranch_vccnz .LBB246_2
; %bb.1:
	s_cmp_lg_u64 s[12:13], 0
	s_cselect_b32 s3, -1, 0
	s_cmp_neq_f32 s14, 0
	s_cselect_b32 s4, -1, 0
	s_cmp_neq_f32 s15, 0
	s_cselect_b32 s5, -1, 0
	s_delay_alu instid0(SALU_CYCLE_1) | instskip(NEXT) | instid1(SALU_CYCLE_1)
	s_or_b32 s4, s4, s5
	s_and_b32 s3, s3, s4
.LBB246_2:
	s_delay_alu instid0(SALU_CYCLE_1)
	s_and_not1_b32 vcc_lo, exec_lo, s3
	s_cbranch_vccnz .LBB246_35
; %bb.3:
	s_load_b32 s28, s[0:1], 0x68
	s_bfe_u32 s3, ttmp6, 0x40014
	s_lshr_b32 s4, ttmp7, 16
	s_add_co_i32 s3, s3, 1
	s_bfe_u32 s6, ttmp6, 0x40008
	s_mul_i32 s5, s4, s3
	s_getreg_b32 s3, hwreg(HW_REG_IB_STS2, 6, 4)
	s_add_co_i32 s6, s6, s5
	s_cmp_eq_u32 s3, 0
	s_mov_b32 s27, 0
	s_cselect_b32 s26, s4, s6
	s_wait_kmcnt 0x0
	s_cmp_ge_u32 s26, s28
	s_cbranch_scc1 .LBB246_35
; %bb.4:
	v_and_b32_e32 v1, 0x3ff, v0
	v_bfe_u32 v9, v0, 10, 10
	s_bfe_u32 s21, ttmp6, 0x4000c
	s_bfe_u32 s23, ttmp6, 0x40010
	s_and_b32 s22, ttmp7, 0xffff
	s_add_co_i32 s21, s21, 1
	s_add_co_i32 s23, s23, 1
	s_clause 0x1
	s_load_b256 s[4:11], s[0:1], 0x18
	s_load_b128 s[16:19], s[0:1], 0x38
	v_lshl_add_u32 v6, v9, 4, v1
	s_and_b32 s20, ttmp6, 15
	s_mul_i32 s21, ttmp9, s21
	s_mul_i32 s23, s22, s23
	s_bfe_u32 s29, ttmp6, 0x40004
	s_add_co_i32 s20, s20, s21
	s_add_co_i32 s29, s29, s23
	s_cmp_eq_u32 s3, 0
	v_dual_lshrrev_b32 v7, 3, v6 :: v_dual_bitop2_b32 v12, 31, v6 bitop3:0x40
	s_cselect_b32 s3, ttmp9, s20
	s_cselect_b32 s20, s22, s29
	s_lshl_b32 s3, s3, 5
	s_lshl_b32 s29, s20, 5
	s_delay_alu instid0(SALU_CYCLE_1) | instskip(SKIP_2) | instid1(VALU_DEP_2)
	v_dual_add_nc_u32 v10, s29, v7 :: v_dual_bitop2_b32 v2, s3, v12 bitop3:0x54
	v_and_b32_e32 v4, 7, v0
	s_load_b128 s[20:23], s[0:1], 0x50
	v_dual_add_nc_u32 v0, s29, v9 :: v_dual_ashrrev_i32 v3, 31, v2
	s_delay_alu instid0(VALU_DEP_3)
	v_dual_ashrrev_i32 v11, 31, v10 :: v_dual_lshlrev_b32 v5, 3, v1
	v_lshrrev_b32_e32 v6, 5, v6
	v_lshl_add_u32 v29, v9, 6, 0x800
	s_wait_kmcnt 0x0
	v_mul_u64_e32 v[14:15], s[6:7], v[2:3]
	v_lshlrev_b32_e32 v3, 3, v4
	v_mul_u64_e32 v[16:17], s[16:17], v[10:11]
	s_load_b32 s17, s[0:1], 0x0
	v_dual_lshlrev_b32 v11, 3, v12 :: v_dual_add_nc_u32 v8, s3, v1
	v_add_nc_u32_e32 v20, 16, v0
	s_load_b64 s[6:7], s[0:1], 0x60
	v_lshl_or_b32 v3, v7, 6, v3
	s_delay_alu instid0(VALU_DEP_3) | instskip(SKIP_4) | instid1(VALU_DEP_3)
	v_lshl_or_b32 v7, v6, 8, v11
	v_dual_add_nc_u32 v18, 16, v8 :: v_dual_ashrrev_i32 v9, 31, v8
	v_ashrrev_i32_e32 v1, 31, v0
	v_ashrrev_i32_e32 v21, 31, v20
	s_cmp_neq_f32 s14, 0
	v_ashrrev_i32_e32 v19, 31, v18
	v_cmp_le_i32_e32 vcc_lo, v0, v8
	v_cmp_gt_i64_e64 s30, s[12:13], 0
	v_mul_u64_e32 v[12:13], s[22:23], v[20:21]
	s_cselect_b32 s3, -1, 0
	s_cmp_neq_f32 s15, 0
	v_add_nc_u32_e32 v27, 0x800, v3
	v_mov_b32_e32 v21, 0
	s_wait_kmcnt 0x0
	v_cmp_gt_i32_e64 s1, s17, v10
	v_mul_u64_e32 v[10:11], s[22:23], v[0:1]
	s_cselect_b32 s16, -1, 0
	v_cmp_gt_i32_e64 s0, s17, v2
	s_or_b32 s31, s3, s16
	s_cmp_neq_f32 s24, 0
	v_lshl_add_u64 v[14:15], v[14:15], 3, s[4:5]
	s_cselect_b32 s3, -1, 0
	s_xor_b32 s4, s2, -1
	v_cmp_gt_i32_e64 s2, s17, v8
	s_or_b32 s16, s3, s4
	v_cmp_le_i32_e64 s3, v0, v18
	v_cmp_gt_i32_e64 s4, s17, v18
	v_cmp_le_i32_e64 s5, v20, v18
	s_and_b32 s17, vcc_lo, s2
	v_cmp_le_i32_e32 vcc_lo, v20, v8
	v_lshl_add_u64 v[16:17], v[16:17], 3, s[10:11]
	s_and_b32 s22, s3, s4
	s_and_b32 s29, s5, s4
	s_mov_b32 s3, s24
	s_and_b32 s23, vcc_lo, s2
	s_mov_b32 s2, s24
	s_and_b32 s30, s31, s30
	s_mov_b32 s24, s25
	s_mov_b32 s4, s15
	;; [unrolled: 1-line block ×3, first 2 shown]
	s_branch .LBB246_6
.LBB246_5:                              ;   in Loop: Header=BB246_6 Depth=1
	s_wait_xcnt 0x0
	s_or_b32 exec_lo, exec_lo, s10
	s_add_co_i32 s26, s26, 0x10000
	s_delay_alu instid0(SALU_CYCLE_1)
	s_cmp_lt_u32 s26, s28
	s_cbranch_scc0 .LBB246_35
.LBB246_6:                              ; =>This Loop Header: Depth=1
                                        ;     Child Loop BB246_9 Depth 2
	v_dual_mov_b32 v38, v21 :: v_dual_mov_b32 v40, v21
	v_dual_mov_b32 v34, v21 :: v_dual_mov_b32 v36, v21
	;; [unrolled: 1-line block ×4, first 2 shown]
	s_and_not1_b32 vcc_lo, exec_lo, s30
	s_cbranch_vccnz .LBB246_15
; %bb.7:                                ;   in Loop: Header=BB246_6 Depth=1
	s_mul_u64 s[10:11], s[8:9], s[26:27]
	s_mul_u64 s[34:35], s[18:19], s[26:27]
	v_lshl_add_u64 v[22:23], s[10:11], 3, v[14:15]
	v_lshl_add_u64 v[24:25], s[34:35], 3, v[16:17]
	v_dual_mov_b32 v28, 0 :: v_dual_mov_b32 v26, 0
	v_dual_mov_b32 v32, 0 :: v_dual_mov_b32 v30, 0
	;; [unrolled: 1-line block ×4, first 2 shown]
	s_mov_b64 s[10:11], 0
	s_branch .LBB246_9
.LBB246_8:                              ;   in Loop: Header=BB246_9 Depth=2
	s_wait_xcnt 0x0
	s_or_b32 exec_lo, exec_lo, s31
	s_wait_loadcnt 0x0
	ds_store_b64 v27, v[2:3]
	s_wait_dscnt 0x0
	s_barrier_signal -1
	s_barrier_wait -1
	ds_load_b128 v[42:45], v29
	ds_load_b128 v[46:49], v29 offset:16
	ds_load_b128 v[50:53], v29 offset:32
	;; [unrolled: 1-line block ×3, first 2 shown]
	ds_load_2addr_b64 v[54:57], v5 offset1:16
	s_add_nc_u64 s[10:11], s[10:11], 8
	s_delay_alu instid0(SALU_CYCLE_1) | instskip(SKIP_3) | instid1(VALU_DEP_1)
	v_cmp_gt_i64_e64 s31, s[12:13], s[10:11]
	s_and_b32 vcc_lo, exec_lo, s31
	s_wait_dscnt 0x0
	v_dual_mul_f32 v20, v43, v55 :: v_dual_mul_f32 v31, v42, v55
	v_dual_mul_f32 v33, v42, v57 :: v_dual_fma_f32 v20, v42, v54, -v20
	s_delay_alu instid0(VALU_DEP_1) | instskip(NEXT) | instid1(VALU_DEP_1)
	v_dual_fmac_f32 v31, v43, v54 :: v_dual_fmac_f32 v33, v43, v56
	v_dual_add_f32 v20, v38, v20 :: v_dual_add_f32 v38, v40, v31
	v_mul_f32_e32 v31, v43, v57
	s_delay_alu instid0(VALU_DEP_1) | instskip(NEXT) | instid1(VALU_DEP_1)
	v_dual_add_f32 v40, v36, v33 :: v_dual_fma_f32 v31, v42, v56, -v31
	v_add_f32_e32 v39, v34, v31
	ds_load_b128 v[34:37], v29 offset:1024
	s_wait_dscnt 0x0
	v_dual_mul_f32 v31, v35, v55 :: v_dual_mul_f32 v33, v34, v55
	s_delay_alu instid0(VALU_DEP_1) | instskip(NEXT) | instid1(VALU_DEP_1)
	v_dual_fma_f32 v31, v34, v54, -v31 :: v_dual_fmac_f32 v33, v35, v54
	v_dual_add_f32 v41, v30, v31 :: v_dual_add_f32 v42, v32, v33
	v_dual_mul_f32 v30, v35, v57 :: v_dual_mul_f32 v31, v34, v57
	s_delay_alu instid0(VALU_DEP_1) | instskip(NEXT) | instid1(VALU_DEP_1)
	v_dual_fma_f32 v30, v34, v56, -v30 :: v_dual_fmac_f32 v31, v35, v56
	v_dual_add_f32 v26, v26, v30 :: v_dual_add_f32 v28, v28, v31
	ds_load_2addr_b64 v[30:33], v5 offset0:32 offset1:48
	s_wait_dscnt 0x0
	v_dual_mul_f32 v34, v45, v31 :: v_dual_mul_f32 v35, v44, v31
	s_delay_alu instid0(VALU_DEP_1) | instskip(NEXT) | instid1(VALU_DEP_1)
	v_dual_fma_f32 v34, v44, v30, -v34 :: v_dual_fmac_f32 v35, v45, v30
	v_dual_add_f32 v20, v20, v34 :: v_dual_add_f32 v34, v38, v35
	v_dual_mul_f32 v35, v45, v33 :: v_dual_mul_f32 v38, v44, v33
	s_delay_alu instid0(VALU_DEP_1) | instskip(NEXT) | instid1(VALU_DEP_1)
	v_dual_fma_f32 v35, v44, v32, -v35 :: v_dual_fmac_f32 v38, v45, v32
	v_dual_add_f32 v35, v39, v35 :: v_dual_add_f32 v38, v40, v38
	v_dual_mul_f32 v39, v37, v31 :: v_dual_mul_f32 v31, v36, v31
	s_delay_alu instid0(VALU_DEP_1) | instskip(NEXT) | instid1(VALU_DEP_2)
	v_fmac_f32_e32 v31, v37, v30
	v_dual_fma_f32 v39, v36, v30, -v39 :: v_dual_mul_f32 v30, v37, v33
	s_delay_alu instid0(VALU_DEP_2) | instskip(NEXT) | instid1(VALU_DEP_2)
	v_add_f32_e32 v40, v42, v31
	v_dual_add_f32 v39, v41, v39 :: v_dual_fma_f32 v30, v36, v32, -v30
	s_delay_alu instid0(VALU_DEP_1) | instskip(NEXT) | instid1(VALU_DEP_1)
	v_dual_mul_f32 v31, v36, v33 :: v_dual_add_f32 v26, v26, v30
	v_fmac_f32_e32 v31, v37, v32
	s_delay_alu instid0(VALU_DEP_1) | instskip(SKIP_3) | instid1(VALU_DEP_1)
	v_add_f32_e32 v28, v28, v31
	ds_load_2addr_b64 v[30:33], v5 offset0:64 offset1:80
	s_wait_dscnt 0x0
	v_mul_f32_e32 v36, v47, v31
	v_dual_fma_f32 v36, v46, v30, -v36 :: v_dual_mul_f32 v37, v46, v31
	s_delay_alu instid0(VALU_DEP_1) | instskip(SKIP_1) | instid1(VALU_DEP_2)
	v_dual_add_f32 v20, v20, v36 :: v_dual_fmac_f32 v37, v47, v30
	v_mul_f32_e32 v36, v46, v33
	v_add_f32_e32 v41, v34, v37
	v_mul_f32_e32 v34, v47, v33
	s_delay_alu instid0(VALU_DEP_1) | instskip(NEXT) | instid1(VALU_DEP_1)
	v_fma_f32 v34, v46, v32, -v34
	v_add_f32_e32 v42, v35, v34
	v_fmac_f32_e32 v36, v47, v32
	s_delay_alu instid0(VALU_DEP_1) | instskip(SKIP_3) | instid1(VALU_DEP_1)
	v_add_f32_e32 v38, v38, v36
	ds_load_b128 v[34:37], v29 offset:1040
	s_wait_dscnt 0x0
	v_dual_mul_f32 v43, v35, v31 :: v_dual_mul_f32 v31, v34, v31
	v_fma_f32 v43, v34, v30, -v43
	s_delay_alu instid0(VALU_DEP_2) | instskip(NEXT) | instid1(VALU_DEP_2)
	v_dual_fmac_f32 v31, v35, v30 :: v_dual_mul_f32 v30, v35, v33
	v_add_f32_e32 v39, v39, v43
	s_delay_alu instid0(VALU_DEP_2) | instskip(NEXT) | instid1(VALU_DEP_1)
	v_dual_add_f32 v40, v40, v31 :: v_dual_mul_f32 v31, v34, v33
	v_dual_fma_f32 v30, v34, v32, -v30 :: v_dual_fmac_f32 v31, v35, v32
	s_delay_alu instid0(VALU_DEP_1) | instskip(SKIP_3) | instid1(VALU_DEP_1)
	v_dual_add_f32 v26, v26, v30 :: v_dual_add_f32 v28, v28, v31
	ds_load_2addr_b64 v[30:33], v5 offset0:96 offset1:112
	s_wait_dscnt 0x0
	v_dual_mul_f32 v34, v49, v31 :: v_dual_mul_f32 v35, v48, v31
	v_dual_fma_f32 v34, v48, v30, -v34 :: v_dual_fmac_f32 v35, v49, v30
	s_delay_alu instid0(VALU_DEP_1) | instskip(SKIP_1) | instid1(VALU_DEP_1)
	v_dual_add_f32 v20, v20, v34 :: v_dual_add_f32 v34, v41, v35
	v_mul_f32_e32 v41, v48, v33
	v_fmac_f32_e32 v41, v49, v32
	s_delay_alu instid0(VALU_DEP_1) | instskip(SKIP_1) | instid1(VALU_DEP_2)
	v_dual_add_f32 v38, v38, v41 :: v_dual_mul_f32 v41, v37, v31
	v_dual_mul_f32 v35, v49, v33 :: v_dual_mul_f32 v31, v36, v31
	v_fma_f32 v41, v36, v30, -v41
	s_delay_alu instid0(VALU_DEP_2) | instskip(NEXT) | instid1(VALU_DEP_3)
	v_fma_f32 v35, v48, v32, -v35
	v_dual_fmac_f32 v31, v37, v30 :: v_dual_mul_f32 v30, v37, v33
	s_delay_alu instid0(VALU_DEP_2) | instskip(NEXT) | instid1(VALU_DEP_2)
	v_dual_add_f32 v39, v39, v41 :: v_dual_add_f32 v35, v42, v35
	v_add_f32_e32 v40, v40, v31
	s_delay_alu instid0(VALU_DEP_3) | instskip(NEXT) | instid1(VALU_DEP_1)
	v_dual_fma_f32 v30, v36, v32, -v30 :: v_dual_mul_f32 v31, v36, v33
	v_dual_fmac_f32 v31, v37, v32 :: v_dual_add_f32 v26, v26, v30
	s_delay_alu instid0(VALU_DEP_1) | instskip(SKIP_3) | instid1(VALU_DEP_1)
	v_add_f32_e32 v28, v28, v31
	ds_load_2addr_b64 v[30:33], v5 offset0:128 offset1:144
	s_wait_dscnt 0x0
	v_dual_mul_f32 v36, v51, v31 :: v_dual_mul_f32 v37, v50, v31
	v_dual_fma_f32 v36, v50, v30, -v36 :: v_dual_fmac_f32 v37, v51, v30
	s_delay_alu instid0(VALU_DEP_1) | instskip(SKIP_1) | instid1(VALU_DEP_1)
	v_dual_add_f32 v20, v20, v36 :: v_dual_add_f32 v41, v34, v37
	v_dual_mul_f32 v34, v51, v33 :: v_dual_mul_f32 v36, v50, v33
	v_dual_fma_f32 v34, v50, v32, -v34 :: v_dual_fmac_f32 v36, v51, v32
	s_delay_alu instid0(VALU_DEP_1) | instskip(SKIP_3) | instid1(VALU_DEP_1)
	v_dual_add_f32 v42, v35, v34 :: v_dual_add_f32 v38, v38, v36
	ds_load_b128 v[34:37], v29 offset:1056
	s_wait_dscnt 0x0
	v_dual_mul_f32 v43, v35, v31 :: v_dual_mul_f32 v31, v34, v31
	v_fmac_f32_e32 v31, v35, v30
	s_delay_alu instid0(VALU_DEP_2) | instskip(NEXT) | instid1(VALU_DEP_2)
	v_dual_fma_f32 v43, v34, v30, -v43 :: v_dual_mul_f32 v30, v35, v33
	v_dual_add_f32 v40, v40, v31 :: v_dual_mul_f32 v31, v34, v33
	s_delay_alu instid0(VALU_DEP_2) | instskip(NEXT) | instid1(VALU_DEP_1)
	v_dual_add_f32 v39, v39, v43 :: v_dual_fma_f32 v30, v34, v32, -v30
	v_dual_fmac_f32 v31, v35, v32 :: v_dual_add_f32 v26, v26, v30
	s_delay_alu instid0(VALU_DEP_1) | instskip(SKIP_3) | instid1(VALU_DEP_1)
	v_add_f32_e32 v28, v28, v31
	ds_load_2addr_b64 v[30:33], v5 offset0:160 offset1:176
	s_wait_dscnt 0x0
	v_dual_mul_f32 v34, v53, v31 :: v_dual_mul_f32 v35, v52, v31
	v_dual_fma_f32 v34, v52, v30, -v34 :: v_dual_fmac_f32 v35, v53, v30
	s_delay_alu instid0(VALU_DEP_1) | instskip(SKIP_1) | instid1(VALU_DEP_1)
	v_dual_add_f32 v20, v20, v34 :: v_dual_add_f32 v34, v41, v35
	v_mul_f32_e32 v41, v52, v33
	v_fmac_f32_e32 v41, v53, v32
	s_delay_alu instid0(VALU_DEP_1) | instskip(SKIP_1) | instid1(VALU_DEP_2)
	v_dual_add_f32 v38, v38, v41 :: v_dual_mul_f32 v41, v37, v31
	v_dual_mul_f32 v35, v53, v33 :: v_dual_mul_f32 v31, v36, v31
	v_fma_f32 v41, v36, v30, -v41
	s_delay_alu instid0(VALU_DEP_2) | instskip(NEXT) | instid1(VALU_DEP_3)
	v_fma_f32 v35, v52, v32, -v35
	v_dual_fmac_f32 v31, v37, v30 :: v_dual_mul_f32 v30, v37, v33
	s_delay_alu instid0(VALU_DEP_2) | instskip(NEXT) | instid1(VALU_DEP_2)
	v_dual_add_f32 v39, v39, v41 :: v_dual_add_f32 v35, v42, v35
	v_add_f32_e32 v44, v40, v31
	s_delay_alu instid0(VALU_DEP_3) | instskip(SKIP_2) | instid1(VALU_DEP_1)
	v_dual_fma_f32 v30, v36, v32, -v30 :: v_dual_mul_f32 v31, v36, v33
	ds_load_b128 v[40:43], v29 offset:1072
	v_dual_fmac_f32 v31, v37, v32 :: v_dual_add_f32 v26, v26, v30
	v_add_f32_e32 v28, v28, v31
	ds_load_2addr_b64 v[30:33], v5 offset0:192 offset1:208
	s_wait_dscnt 0x0
	v_dual_mul_f32 v36, v1, v31 :: v_dual_mul_f32 v37, v0, v31
	s_delay_alu instid0(VALU_DEP_1) | instskip(NEXT) | instid1(VALU_DEP_1)
	v_dual_fma_f32 v36, v0, v30, -v36 :: v_dual_fmac_f32 v37, v1, v30
	v_dual_add_f32 v20, v20, v36 :: v_dual_add_f32 v34, v34, v37
	v_mul_f32_e32 v36, v1, v33
	s_delay_alu instid0(VALU_DEP_1) | instskip(NEXT) | instid1(VALU_DEP_1)
	v_dual_fma_f32 v36, v0, v32, -v36 :: v_dual_mul_f32 v0, v0, v33
	v_fmac_f32_e32 v0, v1, v32
	s_delay_alu instid0(VALU_DEP_2) | instskip(NEXT) | instid1(VALU_DEP_1)
	v_dual_add_f32 v1, v35, v36 :: v_dual_mul_f32 v35, v41, v31
	v_dual_mul_f32 v31, v40, v31 :: v_dual_fma_f32 v35, v40, v30, -v35
	s_delay_alu instid0(VALU_DEP_1) | instskip(NEXT) | instid1(VALU_DEP_2)
	v_dual_add_f32 v0, v38, v0 :: v_dual_fmac_f32 v31, v41, v30
	v_dual_add_f32 v30, v39, v35 :: v_dual_mul_f32 v35, v41, v33
	v_mul_f32_e32 v33, v40, v33
	s_delay_alu instid0(VALU_DEP_3)
	v_add_f32_e32 v31, v44, v31
	ds_load_2addr_b64 v[44:47], v5 offset0:224 offset1:240
	s_wait_dscnt 0x0
	v_dual_fma_f32 v35, v40, v32, -v35 :: v_dual_fmac_f32 v33, v41, v32
	s_barrier_signal -1
	s_barrier_wait -1
	s_delay_alu instid0(VALU_DEP_1) | instskip(SKIP_1) | instid1(VALU_DEP_1)
	v_dual_add_f32 v26, v26, v35 :: v_dual_add_f32 v28, v28, v33
	v_dual_mul_f32 v32, v3, v45 :: v_dual_mul_f32 v33, v2, v45
	v_dual_fma_f32 v32, v2, v44, -v32 :: v_dual_fmac_f32 v33, v3, v44
	s_delay_alu instid0(VALU_DEP_1) | instskip(SKIP_1) | instid1(VALU_DEP_1)
	v_dual_add_f32 v38, v20, v32 :: v_dual_add_f32 v40, v34, v33
	v_mul_f32_e32 v20, v3, v47
	v_dual_fma_f32 v20, v2, v46, -v20 :: v_dual_mul_f32 v2, v2, v47
	s_delay_alu instid0(VALU_DEP_1) | instskip(NEXT) | instid1(VALU_DEP_1)
	v_dual_fmac_f32 v2, v3, v46 :: v_dual_add_f32 v34, v1, v20
	v_dual_mul_f32 v1, v42, v45 :: v_dual_add_f32 v36, v0, v2
	s_delay_alu instid0(VALU_DEP_1) | instskip(NEXT) | instid1(VALU_DEP_1)
	v_dual_mul_f32 v0, v43, v45 :: v_dual_fmac_f32 v1, v43, v44
	v_dual_fma_f32 v0, v42, v44, -v0 :: v_dual_add_f32 v32, v31, v1
	v_mul_f32_e32 v1, v42, v47
	s_delay_alu instid0(VALU_DEP_2) | instskip(NEXT) | instid1(VALU_DEP_1)
	v_dual_add_f32 v30, v30, v0 :: v_dual_mul_f32 v0, v43, v47
	v_dual_fmac_f32 v1, v43, v46 :: v_dual_fma_f32 v0, v42, v46, -v0
	s_delay_alu instid0(VALU_DEP_1)
	v_dual_add_f32 v28, v28, v1 :: v_dual_add_f32 v26, v26, v0
	s_cbranch_vccz .LBB246_15
.LBB246_9:                              ;   Parent Loop BB246_6 Depth=1
                                        ; =>  This Inner Loop Header: Depth=2
	v_dual_mov_b32 v0, 0 :: v_dual_mov_b32 v1, 0
	s_and_saveexec_b32 s31, s0
	s_cbranch_execz .LBB246_13
; %bb.10:                               ;   in Loop: Header=BB246_9 Depth=2
	v_dual_mov_b32 v1, 0 :: v_dual_add_nc_u32 v20, s10, v6
	v_mov_b32_e32 v0, 0
	s_mov_b32 s33, exec_lo
	s_delay_alu instid0(VALU_DEP_2)
	v_cmpx_gt_u64_e64 s[12:13], v[20:21]
	s_cbranch_execz .LBB246_12
; %bb.11:                               ;   in Loop: Header=BB246_9 Depth=2
	v_lshl_add_u64 v[0:1], v[20:21], 3, v[22:23]
	global_load_b64 v[0:1], v[0:1], off
.LBB246_12:                             ;   in Loop: Header=BB246_9 Depth=2
	s_wait_xcnt 0x0
	s_or_b32 exec_lo, exec_lo, s33
.LBB246_13:                             ;   in Loop: Header=BB246_9 Depth=2
	s_delay_alu instid0(SALU_CYCLE_1)
	s_or_b32 exec_lo, exec_lo, s31
	v_dual_add_nc_u32 v20, s10, v4 :: v_dual_mov_b32 v2, 0
	v_mov_b32_e32 v3, 0
	s_wait_loadcnt 0x0
	ds_store_b64 v7, v[0:1]
	v_cmp_gt_u64_e32 vcc_lo, s[12:13], v[20:21]
	s_and_b32 s33, vcc_lo, s1
	s_delay_alu instid0(SALU_CYCLE_1)
	s_and_saveexec_b32 s31, s33
	s_cbranch_execz .LBB246_8
; %bb.14:                               ;   in Loop: Header=BB246_9 Depth=2
	v_lshl_add_u64 v[0:1], v[20:21], 3, v[24:25]
	global_load_b64 v[2:3], v[0:1], off
	s_branch .LBB246_8
.LBB246_15:                             ;   in Loop: Header=BB246_6 Depth=1
	s_mul_u64 s[10:11], s[6:7], s[26:27]
	s_delay_alu instid0(SALU_CYCLE_1) | instskip(NEXT) | instid1(SALU_CYCLE_1)
	s_lshl_b64 s[10:11], s[10:11], 3
	s_add_nc_u64 s[10:11], s[20:21], s[10:11]
	s_delay_alu instid0(SALU_CYCLE_1)
	v_lshl_add_u64 v[0:1], v[10:11], 3, s[10:11]
	s_and_saveexec_b32 s31, s17
	s_cbranch_execz .LBB246_20
; %bb.16:                               ;   in Loop: Header=BB246_6 Depth=1
	v_mov_b64_e32 v[2:3], s[4:5]
	v_mov_b64_e32 v[22:23], s[14:15]
	s_and_b32 vcc_lo, exec_lo, s16
	s_mov_b32 s33, -1
	s_delay_alu instid0(VALU_DEP_2) | instskip(NEXT) | instid1(VALU_DEP_1)
	v_pk_mul_f32 v[2:3], v[40:41], v[2:3] op_sel_hi:[0,1]
	v_pk_fma_f32 v[24:25], v[38:39], v[22:23], v[2:3] op_sel_hi:[0,1,1]
	v_pk_fma_f32 v[2:3], v[38:39], v[22:23], v[2:3] neg_lo:[0,0,1] neg_hi:[0,0,1]
	v_lshl_add_u64 v[22:23], v[8:9], 3, v[0:1]
	s_delay_alu instid0(VALU_DEP_3)
	v_mov_b32_e32 v3, v25
	s_cbranch_vccz .LBB246_18
; %bb.17:                               ;   in Loop: Header=BB246_6 Depth=1
	global_load_b64 v[24:25], v[22:23], off
	v_mov_b64_e32 v[38:39], s[24:25]
	v_mov_b64_e32 v[40:41], s[2:3]
	s_mov_b32 s33, 0
	s_wait_loadcnt 0x0
	s_delay_alu instid0(VALU_DEP_2) | instskip(NEXT) | instid1(VALU_DEP_1)
	v_pk_mul_f32 v[38:39], v[24:25], v[38:39]
	v_pk_fma_f32 v[42:43], v[24:25], v[40:41], v[38:39] op_sel:[0,0,1] op_sel_hi:[1,1,0]
	v_pk_fma_f32 v[24:25], v[24:25], v[40:41], v[38:39] op_sel:[0,0,1] op_sel_hi:[1,1,0] neg_lo:[0,0,1] neg_hi:[0,0,1]
	s_delay_alu instid0(VALU_DEP_2) | instskip(NEXT) | instid1(VALU_DEP_1)
	v_mov_b32_e32 v25, v43
	v_pk_add_f32 v[24:25], v[2:3], v[24:25]
	global_store_b64 v[22:23], v[24:25], off
.LBB246_18:                             ;   in Loop: Header=BB246_6 Depth=1
	s_and_not1_b32 vcc_lo, exec_lo, s33
	s_cbranch_vccnz .LBB246_20
; %bb.19:                               ;   in Loop: Header=BB246_6 Depth=1
	global_store_b64 v[22:23], v[2:3], off
.LBB246_20:                             ;   in Loop: Header=BB246_6 Depth=1
	s_wait_xcnt 0x0
	s_or_b32 exec_lo, exec_lo, s31
	s_and_saveexec_b32 s31, s22
	s_cbranch_execz .LBB246_25
; %bb.21:                               ;   in Loop: Header=BB246_6 Depth=1
	v_mov_b64_e32 v[2:3], s[4:5]
	v_mov_b64_e32 v[22:23], s[14:15]
	v_lshl_add_u64 v[0:1], v[18:19], 3, v[0:1]
	s_and_not1_b32 vcc_lo, exec_lo, s16
	s_mov_b32 s33, -1
	s_delay_alu instid0(VALU_DEP_3) | instskip(NEXT) | instid1(VALU_DEP_1)
	v_pk_mul_f32 v[2:3], v[36:37], v[2:3] op_sel_hi:[0,1]
	v_pk_fma_f32 v[24:25], v[34:35], v[22:23], v[2:3] op_sel_hi:[0,1,1]
	v_pk_fma_f32 v[2:3], v[34:35], v[22:23], v[2:3] neg_lo:[0,0,1] neg_hi:[0,0,1]
	s_delay_alu instid0(VALU_DEP_2)
	v_mov_b32_e32 v3, v25
	s_cbranch_vccnz .LBB246_23
; %bb.22:                               ;   in Loop: Header=BB246_6 Depth=1
	global_load_b64 v[22:23], v[0:1], off
	v_mov_b64_e32 v[24:25], s[24:25]
	v_mov_b64_e32 v[34:35], s[2:3]
	s_mov_b32 s33, 0
	s_wait_loadcnt 0x0
	s_delay_alu instid0(VALU_DEP_2) | instskip(NEXT) | instid1(VALU_DEP_1)
	v_pk_mul_f32 v[24:25], v[22:23], v[24:25]
	v_pk_fma_f32 v[36:37], v[22:23], v[34:35], v[24:25] op_sel:[0,0,1] op_sel_hi:[1,1,0]
	v_pk_fma_f32 v[22:23], v[22:23], v[34:35], v[24:25] op_sel:[0,0,1] op_sel_hi:[1,1,0] neg_lo:[0,0,1] neg_hi:[0,0,1]
	s_delay_alu instid0(VALU_DEP_2) | instskip(NEXT) | instid1(VALU_DEP_1)
	v_mov_b32_e32 v23, v37
	v_pk_add_f32 v[22:23], v[2:3], v[22:23]
	global_store_b64 v[0:1], v[22:23], off
.LBB246_23:                             ;   in Loop: Header=BB246_6 Depth=1
	s_and_not1_b32 vcc_lo, exec_lo, s33
	s_cbranch_vccnz .LBB246_25
; %bb.24:                               ;   in Loop: Header=BB246_6 Depth=1
	global_store_b64 v[0:1], v[2:3], off
.LBB246_25:                             ;   in Loop: Header=BB246_6 Depth=1
	s_wait_xcnt 0x0
	s_or_b32 exec_lo, exec_lo, s31
	v_lshl_add_u64 v[0:1], v[12:13], 3, s[10:11]
	s_and_saveexec_b32 s10, s23
	s_cbranch_execz .LBB246_30
; %bb.26:                               ;   in Loop: Header=BB246_6 Depth=1
	v_mov_b64_e32 v[2:3], s[4:5]
	v_mov_b64_e32 v[22:23], s[14:15]
	s_and_not1_b32 vcc_lo, exec_lo, s16
	s_mov_b32 s11, -1
	s_delay_alu instid0(VALU_DEP_2) | instskip(NEXT) | instid1(VALU_DEP_1)
	v_pk_mul_f32 v[2:3], v[32:33], v[2:3] op_sel_hi:[0,1]
	v_pk_fma_f32 v[24:25], v[30:31], v[22:23], v[2:3] op_sel_hi:[0,1,1]
	v_pk_fma_f32 v[2:3], v[30:31], v[22:23], v[2:3] neg_lo:[0,0,1] neg_hi:[0,0,1]
	v_lshl_add_u64 v[22:23], v[8:9], 3, v[0:1]
	s_delay_alu instid0(VALU_DEP_3)
	v_mov_b32_e32 v3, v25
	s_cbranch_vccnz .LBB246_28
; %bb.27:                               ;   in Loop: Header=BB246_6 Depth=1
	global_load_b64 v[24:25], v[22:23], off
	v_mov_b64_e32 v[30:31], s[24:25]
	v_mov_b64_e32 v[32:33], s[2:3]
	s_mov_b32 s11, 0
	s_wait_loadcnt 0x0
	s_delay_alu instid0(VALU_DEP_2) | instskip(NEXT) | instid1(VALU_DEP_1)
	v_pk_mul_f32 v[30:31], v[24:25], v[30:31]
	v_pk_fma_f32 v[34:35], v[24:25], v[32:33], v[30:31] op_sel:[0,0,1] op_sel_hi:[1,1,0]
	v_pk_fma_f32 v[24:25], v[24:25], v[32:33], v[30:31] op_sel:[0,0,1] op_sel_hi:[1,1,0] neg_lo:[0,0,1] neg_hi:[0,0,1]
	s_delay_alu instid0(VALU_DEP_2) | instskip(NEXT) | instid1(VALU_DEP_1)
	v_mov_b32_e32 v25, v35
	v_pk_add_f32 v[24:25], v[2:3], v[24:25]
	global_store_b64 v[22:23], v[24:25], off
.LBB246_28:                             ;   in Loop: Header=BB246_6 Depth=1
	s_and_not1_b32 vcc_lo, exec_lo, s11
	s_cbranch_vccnz .LBB246_30
; %bb.29:                               ;   in Loop: Header=BB246_6 Depth=1
	global_store_b64 v[22:23], v[2:3], off
.LBB246_30:                             ;   in Loop: Header=BB246_6 Depth=1
	s_wait_xcnt 0x0
	s_or_b32 exec_lo, exec_lo, s10
	s_and_saveexec_b32 s10, s29
	s_cbranch_execz .LBB246_5
; %bb.31:                               ;   in Loop: Header=BB246_6 Depth=1
	v_mov_b64_e32 v[2:3], s[4:5]
	v_mov_b64_e32 v[22:23], s[14:15]
	v_lshl_add_u64 v[0:1], v[18:19], 3, v[0:1]
	s_and_not1_b32 vcc_lo, exec_lo, s16
	s_mov_b32 s11, -1
	s_delay_alu instid0(VALU_DEP_3) | instskip(NEXT) | instid1(VALU_DEP_1)
	v_pk_mul_f32 v[2:3], v[28:29], v[2:3] op_sel_hi:[0,1]
	v_pk_fma_f32 v[24:25], v[26:27], v[22:23], v[2:3] op_sel_hi:[0,1,1]
	v_pk_fma_f32 v[2:3], v[26:27], v[22:23], v[2:3] neg_lo:[0,0,1] neg_hi:[0,0,1]
	s_delay_alu instid0(VALU_DEP_2)
	v_mov_b32_e32 v3, v25
	s_cbranch_vccnz .LBB246_33
; %bb.32:                               ;   in Loop: Header=BB246_6 Depth=1
	global_load_b64 v[22:23], v[0:1], off
	v_mov_b64_e32 v[24:25], s[24:25]
	v_mov_b64_e32 v[30:31], s[2:3]
	s_mov_b32 s11, 0
	s_wait_loadcnt 0x0
	s_delay_alu instid0(VALU_DEP_2) | instskip(NEXT) | instid1(VALU_DEP_1)
	v_pk_mul_f32 v[24:25], v[22:23], v[24:25]
	v_pk_fma_f32 v[32:33], v[22:23], v[30:31], v[24:25] op_sel:[0,0,1] op_sel_hi:[1,1,0]
	v_pk_fma_f32 v[22:23], v[22:23], v[30:31], v[24:25] op_sel:[0,0,1] op_sel_hi:[1,1,0] neg_lo:[0,0,1] neg_hi:[0,0,1]
	s_delay_alu instid0(VALU_DEP_2) | instskip(NEXT) | instid1(VALU_DEP_1)
	v_mov_b32_e32 v23, v33
	v_pk_add_f32 v[22:23], v[2:3], v[22:23]
	global_store_b64 v[0:1], v[22:23], off
.LBB246_33:                             ;   in Loop: Header=BB246_6 Depth=1
	s_and_not1_b32 vcc_lo, exec_lo, s11
	s_cbranch_vccnz .LBB246_5
; %bb.34:                               ;   in Loop: Header=BB246_6 Depth=1
	global_store_b64 v[0:1], v[2:3], off
	s_branch .LBB246_5
.LBB246_35:
	s_endpgm
	.section	.rodata,"a",@progbits
	.p2align	6, 0x0
	.amdhsa_kernel _ZL29rocblas_internal_gemmt_kernelIlLi16ELi32ELi8ELc84ELc78ELc76ELb0ELb0E19rocblas_complex_numIfES1_PKS1_PS1_EviT_T9_T10_S5_lS7_S5_lS6_T11_S5_li
		.amdhsa_group_segment_fixed_size 4096
		.amdhsa_private_segment_fixed_size 0
		.amdhsa_kernarg_size 108
		.amdhsa_user_sgpr_count 2
		.amdhsa_user_sgpr_dispatch_ptr 0
		.amdhsa_user_sgpr_queue_ptr 0
		.amdhsa_user_sgpr_kernarg_segment_ptr 1
		.amdhsa_user_sgpr_dispatch_id 0
		.amdhsa_user_sgpr_kernarg_preload_length 0
		.amdhsa_user_sgpr_kernarg_preload_offset 0
		.amdhsa_user_sgpr_private_segment_size 0
		.amdhsa_wavefront_size32 1
		.amdhsa_uses_dynamic_stack 0
		.amdhsa_enable_private_segment 0
		.amdhsa_system_sgpr_workgroup_id_x 1
		.amdhsa_system_sgpr_workgroup_id_y 1
		.amdhsa_system_sgpr_workgroup_id_z 1
		.amdhsa_system_sgpr_workgroup_info 0
		.amdhsa_system_vgpr_workitem_id 1
		.amdhsa_next_free_vgpr 58
		.amdhsa_next_free_sgpr 36
		.amdhsa_named_barrier_count 0
		.amdhsa_reserve_vcc 1
		.amdhsa_float_round_mode_32 0
		.amdhsa_float_round_mode_16_64 0
		.amdhsa_float_denorm_mode_32 3
		.amdhsa_float_denorm_mode_16_64 3
		.amdhsa_fp16_overflow 0
		.amdhsa_memory_ordered 1
		.amdhsa_forward_progress 1
		.amdhsa_inst_pref_size 25
		.amdhsa_round_robin_scheduling 0
		.amdhsa_exception_fp_ieee_invalid_op 0
		.amdhsa_exception_fp_denorm_src 0
		.amdhsa_exception_fp_ieee_div_zero 0
		.amdhsa_exception_fp_ieee_overflow 0
		.amdhsa_exception_fp_ieee_underflow 0
		.amdhsa_exception_fp_ieee_inexact 0
		.amdhsa_exception_int_div_zero 0
	.end_amdhsa_kernel
	.section	.text._ZL29rocblas_internal_gemmt_kernelIlLi16ELi32ELi8ELc84ELc78ELc76ELb0ELb0E19rocblas_complex_numIfES1_PKS1_PS1_EviT_T9_T10_S5_lS7_S5_lS6_T11_S5_li,"axG",@progbits,_ZL29rocblas_internal_gemmt_kernelIlLi16ELi32ELi8ELc84ELc78ELc76ELb0ELb0E19rocblas_complex_numIfES1_PKS1_PS1_EviT_T9_T10_S5_lS7_S5_lS6_T11_S5_li,comdat
.Lfunc_end246:
	.size	_ZL29rocblas_internal_gemmt_kernelIlLi16ELi32ELi8ELc84ELc78ELc76ELb0ELb0E19rocblas_complex_numIfES1_PKS1_PS1_EviT_T9_T10_S5_lS7_S5_lS6_T11_S5_li, .Lfunc_end246-_ZL29rocblas_internal_gemmt_kernelIlLi16ELi32ELi8ELc84ELc78ELc76ELb0ELb0E19rocblas_complex_numIfES1_PKS1_PS1_EviT_T9_T10_S5_lS7_S5_lS6_T11_S5_li
                                        ; -- End function
	.set _ZL29rocblas_internal_gemmt_kernelIlLi16ELi32ELi8ELc84ELc78ELc76ELb0ELb0E19rocblas_complex_numIfES1_PKS1_PS1_EviT_T9_T10_S5_lS7_S5_lS6_T11_S5_li.num_vgpr, 58
	.set _ZL29rocblas_internal_gemmt_kernelIlLi16ELi32ELi8ELc84ELc78ELc76ELb0ELb0E19rocblas_complex_numIfES1_PKS1_PS1_EviT_T9_T10_S5_lS7_S5_lS6_T11_S5_li.num_agpr, 0
	.set _ZL29rocblas_internal_gemmt_kernelIlLi16ELi32ELi8ELc84ELc78ELc76ELb0ELb0E19rocblas_complex_numIfES1_PKS1_PS1_EviT_T9_T10_S5_lS7_S5_lS6_T11_S5_li.numbered_sgpr, 36
	.set _ZL29rocblas_internal_gemmt_kernelIlLi16ELi32ELi8ELc84ELc78ELc76ELb0ELb0E19rocblas_complex_numIfES1_PKS1_PS1_EviT_T9_T10_S5_lS7_S5_lS6_T11_S5_li.num_named_barrier, 0
	.set _ZL29rocblas_internal_gemmt_kernelIlLi16ELi32ELi8ELc84ELc78ELc76ELb0ELb0E19rocblas_complex_numIfES1_PKS1_PS1_EviT_T9_T10_S5_lS7_S5_lS6_T11_S5_li.private_seg_size, 0
	.set _ZL29rocblas_internal_gemmt_kernelIlLi16ELi32ELi8ELc84ELc78ELc76ELb0ELb0E19rocblas_complex_numIfES1_PKS1_PS1_EviT_T9_T10_S5_lS7_S5_lS6_T11_S5_li.uses_vcc, 1
	.set _ZL29rocblas_internal_gemmt_kernelIlLi16ELi32ELi8ELc84ELc78ELc76ELb0ELb0E19rocblas_complex_numIfES1_PKS1_PS1_EviT_T9_T10_S5_lS7_S5_lS6_T11_S5_li.uses_flat_scratch, 0
	.set _ZL29rocblas_internal_gemmt_kernelIlLi16ELi32ELi8ELc84ELc78ELc76ELb0ELb0E19rocblas_complex_numIfES1_PKS1_PS1_EviT_T9_T10_S5_lS7_S5_lS6_T11_S5_li.has_dyn_sized_stack, 0
	.set _ZL29rocblas_internal_gemmt_kernelIlLi16ELi32ELi8ELc84ELc78ELc76ELb0ELb0E19rocblas_complex_numIfES1_PKS1_PS1_EviT_T9_T10_S5_lS7_S5_lS6_T11_S5_li.has_recursion, 0
	.set _ZL29rocblas_internal_gemmt_kernelIlLi16ELi32ELi8ELc84ELc78ELc76ELb0ELb0E19rocblas_complex_numIfES1_PKS1_PS1_EviT_T9_T10_S5_lS7_S5_lS6_T11_S5_li.has_indirect_call, 0
	.section	.AMDGPU.csdata,"",@progbits
; Kernel info:
; codeLenInByte = 3168
; TotalNumSgprs: 38
; NumVgprs: 58
; ScratchSize: 0
; MemoryBound: 0
; FloatMode: 240
; IeeeMode: 1
; LDSByteSize: 4096 bytes/workgroup (compile time only)
; SGPRBlocks: 0
; VGPRBlocks: 3
; NumSGPRsForWavesPerEU: 38
; NumVGPRsForWavesPerEU: 58
; NamedBarCnt: 0
; Occupancy: 16
; WaveLimiterHint : 0
; COMPUTE_PGM_RSRC2:SCRATCH_EN: 0
; COMPUTE_PGM_RSRC2:USER_SGPR: 2
; COMPUTE_PGM_RSRC2:TRAP_HANDLER: 0
; COMPUTE_PGM_RSRC2:TGID_X_EN: 1
; COMPUTE_PGM_RSRC2:TGID_Y_EN: 1
; COMPUTE_PGM_RSRC2:TGID_Z_EN: 1
; COMPUTE_PGM_RSRC2:TIDIG_COMP_CNT: 1
	.section	.text._ZL29rocblas_internal_gemmt_kernelIlLi16ELi32ELi8ELc84ELc84ELc76ELb0ELb0E19rocblas_complex_numIfES1_PKS1_PS1_EviT_T9_T10_S5_lS7_S5_lS6_T11_S5_li,"axG",@progbits,_ZL29rocblas_internal_gemmt_kernelIlLi16ELi32ELi8ELc84ELc84ELc76ELb0ELb0E19rocblas_complex_numIfES1_PKS1_PS1_EviT_T9_T10_S5_lS7_S5_lS6_T11_S5_li,comdat
	.globl	_ZL29rocblas_internal_gemmt_kernelIlLi16ELi32ELi8ELc84ELc84ELc76ELb0ELb0E19rocblas_complex_numIfES1_PKS1_PS1_EviT_T9_T10_S5_lS7_S5_lS6_T11_S5_li ; -- Begin function _ZL29rocblas_internal_gemmt_kernelIlLi16ELi32ELi8ELc84ELc84ELc76ELb0ELb0E19rocblas_complex_numIfES1_PKS1_PS1_EviT_T9_T10_S5_lS7_S5_lS6_T11_S5_li
	.p2align	8
	.type	_ZL29rocblas_internal_gemmt_kernelIlLi16ELi32ELi8ELc84ELc84ELc76ELb0ELb0E19rocblas_complex_numIfES1_PKS1_PS1_EviT_T9_T10_S5_lS7_S5_lS6_T11_S5_li,@function
_ZL29rocblas_internal_gemmt_kernelIlLi16ELi32ELi8ELc84ELc84ELc76ELb0ELb0E19rocblas_complex_numIfES1_PKS1_PS1_EviT_T9_T10_S5_lS7_S5_lS6_T11_S5_li: ; @_ZL29rocblas_internal_gemmt_kernelIlLi16ELi32ELi8ELc84ELc84ELc76ELb0ELb0E19rocblas_complex_numIfES1_PKS1_PS1_EviT_T9_T10_S5_lS7_S5_lS6_T11_S5_li
; %bb.0:
	s_clause 0x1
	s_load_b64 s[24:25], s[0:1], 0x48
	s_load_b128 s[12:15], s[0:1], 0x8
	s_wait_kmcnt 0x0
	s_cmp_neq_f32 s24, 1.0
	s_cselect_b32 s3, -1, 0
	s_and_b32 s4, s25, 0x7fffffff
	s_delay_alu instid0(SALU_CYCLE_1) | instskip(SKIP_3) | instid1(SALU_CYCLE_1)
	s_cmp_eq_u32 s4, 0
	s_cselect_b32 s2, -1, 0
	s_cmp_lg_u32 s4, 0
	s_cselect_b32 s4, -1, 0
	s_or_b32 s3, s3, s4
	s_delay_alu instid0(SALU_CYCLE_1)
	s_and_b32 vcc_lo, exec_lo, s3
	s_cbranch_vccnz .LBB247_2
; %bb.1:
	s_cmp_lg_u64 s[12:13], 0
	s_cselect_b32 s3, -1, 0
	s_cmp_neq_f32 s14, 0
	s_cselect_b32 s4, -1, 0
	s_cmp_neq_f32 s15, 0
	s_cselect_b32 s5, -1, 0
	s_delay_alu instid0(SALU_CYCLE_1) | instskip(NEXT) | instid1(SALU_CYCLE_1)
	s_or_b32 s4, s4, s5
	s_and_b32 s3, s3, s4
.LBB247_2:
	s_delay_alu instid0(SALU_CYCLE_1)
	s_and_not1_b32 vcc_lo, exec_lo, s3
	s_cbranch_vccnz .LBB247_35
; %bb.3:
	s_load_b32 s30, s[0:1], 0x68
	s_bfe_u32 s3, ttmp6, 0x40014
	s_lshr_b32 s4, ttmp7, 16
	s_add_co_i32 s3, s3, 1
	s_bfe_u32 s6, ttmp6, 0x40008
	s_mul_i32 s5, s4, s3
	s_getreg_b32 s3, hwreg(HW_REG_IB_STS2, 6, 4)
	s_add_co_i32 s6, s6, s5
	s_cmp_eq_u32 s3, 0
	s_mov_b32 s27, 0
	s_cselect_b32 s26, s4, s6
	s_wait_kmcnt 0x0
	s_cmp_ge_u32 s26, s30
	s_cbranch_scc1 .LBB247_35
; %bb.4:
	v_and_b32_e32 v7, 0x3ff, v0
	v_bfe_u32 v9, v0, 10, 10
	s_bfe_u32 s17, ttmp6, 0x4000c
	s_bfe_u32 s18, ttmp6, 0x40010
	s_add_co_i32 s17, s17, 1
	s_and_b32 s19, ttmp7, 0xffff
	s_add_co_i32 s18, s18, 1
	s_load_b256 s[4:11], s[0:1], 0x18
	v_lshl_add_u32 v8, v9, 4, v7
	s_and_b32 s16, ttmp6, 15
	s_mul_i32 s17, ttmp9, s17
	s_mul_i32 s18, s19, s18
	s_bfe_u32 s20, ttmp6, 0x40004
	s_add_co_i32 s16, s16, s17
	s_add_co_i32 s20, s20, s18
	s_cmp_eq_u32 s3, 0
	v_and_b32_e32 v10, 31, v8
	s_cselect_b32 s3, ttmp9, s16
	s_cselect_b32 s31, s19, s20
	s_lshl_b32 s3, s3, 5
	v_dual_lshlrev_b32 v5, 3, v7 :: v_dual_bitop2_b32 v4, 7, v0 bitop3:0x40
	v_or_b32_e32 v2, s3, v10
	s_clause 0x3
	s_load_b32 s33, s[0:1], 0x0
	s_load_b64 s[28:29], s[0:1], 0x60
	s_load_b128 s[16:19], s[0:1], 0x38
	s_load_b128 s[20:23], s[0:1], 0x50
	s_wait_xcnt 0x0
	s_lshl_b32 s0, s31, 5
	v_dual_lshrrev_b32 v6, 5, v8 :: v_dual_lshrrev_b32 v11, 3, v8
	v_dual_ashrrev_i32 v3, 31, v2 :: v_dual_add_nc_u32 v8, s3, v7
	v_dual_add_nc_u32 v20, s0, v9 :: v_dual_lshlrev_b32 v7, 3, v10
	s_delay_alu instid0(VALU_DEP_3) | instskip(SKIP_1) | instid1(VALU_DEP_3)
	v_add_nc_u32_e32 v14, s0, v11
	s_wait_kmcnt 0x0
	v_mul_u64_e32 v[0:1], s[6:7], v[2:3]
	v_lshlrev_b32_e32 v3, 3, v4
	v_dual_add_nc_u32 v22, 16, v20 :: v_dual_ashrrev_i32 v21, 31, v20
	v_add_nc_u32_e32 v18, 16, v8
	s_cmp_neq_f32 s14, 0
	s_delay_alu instid0(VALU_DEP_3) | instskip(NEXT) | instid1(VALU_DEP_3)
	v_lshl_or_b32 v3, v11, 6, v3
	v_ashrrev_i32_e32 v23, 31, v22
	v_ashrrev_i32_e32 v15, 31, v14
	s_cselect_b32 s1, -1, 0
	s_cmp_neq_f32 s15, 0
	v_mul_u64_e32 v[10:11], s[22:23], v[20:21]
	v_mul_u64_e32 v[12:13], s[22:23], v[22:23]
	v_cmp_le_i32_e32 vcc_lo, v20, v8
	s_cselect_b32 s3, -1, 0
	v_cmp_gt_i64_e64 s6, s[12:13], 0
	s_or_b32 s7, s1, s3
	s_cmp_neq_f32 s24, 0
	v_cmp_gt_i32_e64 s1, s33, v14
	v_lshl_add_u32 v29, v9, 6, 0x800
	v_ashrrev_i32_e32 v9, 31, v8
	s_cselect_b32 s3, -1, 0
	v_lshl_add_u64 v[14:15], v[14:15], 3, s[10:11]
	v_cmp_gt_i32_e64 s0, s33, v2
	v_lshl_or_b32 v7, v6, 8, v7
	v_add_nc_u32_e32 v27, 0x800, v3
	v_dual_ashrrev_i32 v19, 31, v18 :: v_dual_mov_b32 v21, 0
	v_lshl_add_u64 v[16:17], v[0:1], 3, s[4:5]
	s_xor_b32 s4, s2, -1
	v_cmp_gt_i32_e64 s2, s33, v8
	s_or_b32 s10, s3, s4
	v_cmp_le_i32_e64 s3, v20, v18
	v_cmp_gt_i32_e64 s4, s33, v18
	v_cmp_le_i32_e64 s5, v22, v18
	s_and_b32 s11, vcc_lo, s2
	v_cmp_le_i32_e32 vcc_lo, v22, v8
	s_and_b32 s33, s7, s6
	s_and_b32 s22, s3, s4
	;; [unrolled: 1-line block ×3, first 2 shown]
	s_mov_b32 s3, s24
	s_and_b32 s23, vcc_lo, s2
	s_mov_b32 s2, s24
	s_mov_b32 s24, s25
	;; [unrolled: 1-line block ×4, first 2 shown]
	s_branch .LBB247_6
.LBB247_5:                              ;   in Loop: Header=BB247_6 Depth=1
	s_wait_xcnt 0x0
	s_or_b32 exec_lo, exec_lo, s6
	s_add_co_i32 s26, s26, 0x10000
	s_delay_alu instid0(SALU_CYCLE_1)
	s_cmp_lt_u32 s26, s30
	s_cbranch_scc0 .LBB247_35
.LBB247_6:                              ; =>This Loop Header: Depth=1
                                        ;     Child Loop BB247_9 Depth 2
	v_dual_mov_b32 v38, v21 :: v_dual_mov_b32 v40, v21
	v_dual_mov_b32 v34, v21 :: v_dual_mov_b32 v36, v21
	;; [unrolled: 1-line block ×4, first 2 shown]
	s_and_not1_b32 vcc_lo, exec_lo, s33
	s_cbranch_vccnz .LBB247_15
; %bb.7:                                ;   in Loop: Header=BB247_6 Depth=1
	s_mul_u64 s[6:7], s[8:9], s[26:27]
	s_mul_u64 s[34:35], s[18:19], s[26:27]
	v_lshl_add_u64 v[22:23], s[6:7], 3, v[16:17]
	v_lshl_add_u64 v[24:25], s[34:35], 3, v[14:15]
	v_dual_mov_b32 v28, 0 :: v_dual_mov_b32 v26, 0
	v_dual_mov_b32 v32, 0 :: v_dual_mov_b32 v30, 0
	;; [unrolled: 1-line block ×4, first 2 shown]
	s_mov_b64 s[6:7], 0
	s_branch .LBB247_9
.LBB247_8:                              ;   in Loop: Header=BB247_9 Depth=2
	s_wait_xcnt 0x0
	s_or_b32 exec_lo, exec_lo, s34
	s_wait_loadcnt 0x0
	ds_store_b64 v27, v[2:3]
	s_wait_dscnt 0x0
	s_barrier_signal -1
	s_barrier_wait -1
	ds_load_b128 v[42:45], v29
	ds_load_b128 v[46:49], v29 offset:16
	ds_load_b128 v[50:53], v29 offset:32
	;; [unrolled: 1-line block ×3, first 2 shown]
	ds_load_2addr_b64 v[54:57], v5 offset1:16
	s_add_nc_u64 s[6:7], s[6:7], 8
	s_delay_alu instid0(SALU_CYCLE_1) | instskip(SKIP_3) | instid1(VALU_DEP_1)
	v_cmp_gt_i64_e64 s34, s[12:13], s[6:7]
	s_and_b32 vcc_lo, exec_lo, s34
	s_wait_dscnt 0x0
	v_dual_mul_f32 v20, v43, v55 :: v_dual_mul_f32 v31, v42, v55
	v_dual_mul_f32 v33, v42, v57 :: v_dual_fma_f32 v20, v42, v54, -v20
	s_delay_alu instid0(VALU_DEP_1) | instskip(NEXT) | instid1(VALU_DEP_1)
	v_dual_fmac_f32 v31, v43, v54 :: v_dual_fmac_f32 v33, v43, v56
	v_dual_add_f32 v20, v38, v20 :: v_dual_add_f32 v38, v40, v31
	v_mul_f32_e32 v31, v43, v57
	s_delay_alu instid0(VALU_DEP_1) | instskip(NEXT) | instid1(VALU_DEP_1)
	v_dual_add_f32 v40, v36, v33 :: v_dual_fma_f32 v31, v42, v56, -v31
	v_add_f32_e32 v39, v34, v31
	ds_load_b128 v[34:37], v29 offset:1024
	s_wait_dscnt 0x0
	v_dual_mul_f32 v31, v35, v55 :: v_dual_mul_f32 v33, v34, v55
	s_delay_alu instid0(VALU_DEP_1) | instskip(NEXT) | instid1(VALU_DEP_1)
	v_dual_fma_f32 v31, v34, v54, -v31 :: v_dual_fmac_f32 v33, v35, v54
	v_dual_add_f32 v41, v30, v31 :: v_dual_add_f32 v42, v32, v33
	v_dual_mul_f32 v30, v35, v57 :: v_dual_mul_f32 v31, v34, v57
	s_delay_alu instid0(VALU_DEP_1) | instskip(NEXT) | instid1(VALU_DEP_1)
	v_dual_fma_f32 v30, v34, v56, -v30 :: v_dual_fmac_f32 v31, v35, v56
	v_dual_add_f32 v26, v26, v30 :: v_dual_add_f32 v28, v28, v31
	ds_load_2addr_b64 v[30:33], v5 offset0:32 offset1:48
	s_wait_dscnt 0x0
	v_dual_mul_f32 v34, v45, v31 :: v_dual_mul_f32 v35, v44, v31
	s_delay_alu instid0(VALU_DEP_1) | instskip(NEXT) | instid1(VALU_DEP_1)
	v_dual_fma_f32 v34, v44, v30, -v34 :: v_dual_fmac_f32 v35, v45, v30
	v_dual_add_f32 v20, v20, v34 :: v_dual_add_f32 v34, v38, v35
	v_dual_mul_f32 v35, v45, v33 :: v_dual_mul_f32 v38, v44, v33
	s_delay_alu instid0(VALU_DEP_1) | instskip(NEXT) | instid1(VALU_DEP_1)
	v_dual_fma_f32 v35, v44, v32, -v35 :: v_dual_fmac_f32 v38, v45, v32
	v_dual_add_f32 v35, v39, v35 :: v_dual_add_f32 v38, v40, v38
	v_dual_mul_f32 v39, v37, v31 :: v_dual_mul_f32 v31, v36, v31
	s_delay_alu instid0(VALU_DEP_1) | instskip(NEXT) | instid1(VALU_DEP_2)
	v_fmac_f32_e32 v31, v37, v30
	v_dual_fma_f32 v39, v36, v30, -v39 :: v_dual_mul_f32 v30, v37, v33
	s_delay_alu instid0(VALU_DEP_2) | instskip(NEXT) | instid1(VALU_DEP_2)
	v_add_f32_e32 v40, v42, v31
	v_dual_add_f32 v39, v41, v39 :: v_dual_fma_f32 v30, v36, v32, -v30
	s_delay_alu instid0(VALU_DEP_1) | instskip(NEXT) | instid1(VALU_DEP_1)
	v_dual_mul_f32 v31, v36, v33 :: v_dual_add_f32 v26, v26, v30
	v_fmac_f32_e32 v31, v37, v32
	s_delay_alu instid0(VALU_DEP_1) | instskip(SKIP_3) | instid1(VALU_DEP_1)
	v_add_f32_e32 v28, v28, v31
	ds_load_2addr_b64 v[30:33], v5 offset0:64 offset1:80
	s_wait_dscnt 0x0
	v_mul_f32_e32 v36, v47, v31
	v_dual_fma_f32 v36, v46, v30, -v36 :: v_dual_mul_f32 v37, v46, v31
	s_delay_alu instid0(VALU_DEP_1) | instskip(SKIP_1) | instid1(VALU_DEP_2)
	v_dual_add_f32 v20, v20, v36 :: v_dual_fmac_f32 v37, v47, v30
	v_mul_f32_e32 v36, v46, v33
	v_add_f32_e32 v41, v34, v37
	v_mul_f32_e32 v34, v47, v33
	s_delay_alu instid0(VALU_DEP_1) | instskip(NEXT) | instid1(VALU_DEP_1)
	v_fma_f32 v34, v46, v32, -v34
	v_add_f32_e32 v42, v35, v34
	v_fmac_f32_e32 v36, v47, v32
	s_delay_alu instid0(VALU_DEP_1) | instskip(SKIP_3) | instid1(VALU_DEP_1)
	v_add_f32_e32 v38, v38, v36
	ds_load_b128 v[34:37], v29 offset:1040
	s_wait_dscnt 0x0
	v_dual_mul_f32 v43, v35, v31 :: v_dual_mul_f32 v31, v34, v31
	v_fma_f32 v43, v34, v30, -v43
	s_delay_alu instid0(VALU_DEP_2) | instskip(NEXT) | instid1(VALU_DEP_2)
	v_dual_fmac_f32 v31, v35, v30 :: v_dual_mul_f32 v30, v35, v33
	v_add_f32_e32 v39, v39, v43
	s_delay_alu instid0(VALU_DEP_2) | instskip(NEXT) | instid1(VALU_DEP_1)
	v_dual_add_f32 v40, v40, v31 :: v_dual_mul_f32 v31, v34, v33
	v_dual_fma_f32 v30, v34, v32, -v30 :: v_dual_fmac_f32 v31, v35, v32
	s_delay_alu instid0(VALU_DEP_1) | instskip(SKIP_3) | instid1(VALU_DEP_1)
	v_dual_add_f32 v26, v26, v30 :: v_dual_add_f32 v28, v28, v31
	ds_load_2addr_b64 v[30:33], v5 offset0:96 offset1:112
	s_wait_dscnt 0x0
	v_dual_mul_f32 v34, v49, v31 :: v_dual_mul_f32 v35, v48, v31
	v_dual_fma_f32 v34, v48, v30, -v34 :: v_dual_fmac_f32 v35, v49, v30
	s_delay_alu instid0(VALU_DEP_1) | instskip(SKIP_1) | instid1(VALU_DEP_1)
	v_dual_add_f32 v20, v20, v34 :: v_dual_add_f32 v34, v41, v35
	v_mul_f32_e32 v41, v48, v33
	v_fmac_f32_e32 v41, v49, v32
	s_delay_alu instid0(VALU_DEP_1) | instskip(SKIP_1) | instid1(VALU_DEP_2)
	v_dual_add_f32 v38, v38, v41 :: v_dual_mul_f32 v41, v37, v31
	v_dual_mul_f32 v35, v49, v33 :: v_dual_mul_f32 v31, v36, v31
	v_fma_f32 v41, v36, v30, -v41
	s_delay_alu instid0(VALU_DEP_2) | instskip(NEXT) | instid1(VALU_DEP_3)
	v_fma_f32 v35, v48, v32, -v35
	v_dual_fmac_f32 v31, v37, v30 :: v_dual_mul_f32 v30, v37, v33
	s_delay_alu instid0(VALU_DEP_2) | instskip(NEXT) | instid1(VALU_DEP_2)
	v_dual_add_f32 v39, v39, v41 :: v_dual_add_f32 v35, v42, v35
	v_add_f32_e32 v40, v40, v31
	s_delay_alu instid0(VALU_DEP_3) | instskip(NEXT) | instid1(VALU_DEP_1)
	v_dual_fma_f32 v30, v36, v32, -v30 :: v_dual_mul_f32 v31, v36, v33
	v_dual_fmac_f32 v31, v37, v32 :: v_dual_add_f32 v26, v26, v30
	s_delay_alu instid0(VALU_DEP_1) | instskip(SKIP_3) | instid1(VALU_DEP_1)
	v_add_f32_e32 v28, v28, v31
	ds_load_2addr_b64 v[30:33], v5 offset0:128 offset1:144
	s_wait_dscnt 0x0
	v_dual_mul_f32 v36, v51, v31 :: v_dual_mul_f32 v37, v50, v31
	v_dual_fma_f32 v36, v50, v30, -v36 :: v_dual_fmac_f32 v37, v51, v30
	s_delay_alu instid0(VALU_DEP_1) | instskip(SKIP_1) | instid1(VALU_DEP_1)
	v_dual_add_f32 v20, v20, v36 :: v_dual_add_f32 v41, v34, v37
	v_dual_mul_f32 v34, v51, v33 :: v_dual_mul_f32 v36, v50, v33
	v_dual_fma_f32 v34, v50, v32, -v34 :: v_dual_fmac_f32 v36, v51, v32
	s_delay_alu instid0(VALU_DEP_1) | instskip(SKIP_3) | instid1(VALU_DEP_1)
	v_dual_add_f32 v42, v35, v34 :: v_dual_add_f32 v38, v38, v36
	ds_load_b128 v[34:37], v29 offset:1056
	s_wait_dscnt 0x0
	v_dual_mul_f32 v43, v35, v31 :: v_dual_mul_f32 v31, v34, v31
	v_fmac_f32_e32 v31, v35, v30
	s_delay_alu instid0(VALU_DEP_2) | instskip(NEXT) | instid1(VALU_DEP_2)
	v_dual_fma_f32 v43, v34, v30, -v43 :: v_dual_mul_f32 v30, v35, v33
	v_dual_add_f32 v40, v40, v31 :: v_dual_mul_f32 v31, v34, v33
	s_delay_alu instid0(VALU_DEP_2) | instskip(NEXT) | instid1(VALU_DEP_1)
	v_dual_add_f32 v39, v39, v43 :: v_dual_fma_f32 v30, v34, v32, -v30
	v_dual_fmac_f32 v31, v35, v32 :: v_dual_add_f32 v26, v26, v30
	s_delay_alu instid0(VALU_DEP_1) | instskip(SKIP_3) | instid1(VALU_DEP_1)
	v_add_f32_e32 v28, v28, v31
	ds_load_2addr_b64 v[30:33], v5 offset0:160 offset1:176
	s_wait_dscnt 0x0
	v_dual_mul_f32 v34, v53, v31 :: v_dual_mul_f32 v35, v52, v31
	v_dual_fma_f32 v34, v52, v30, -v34 :: v_dual_fmac_f32 v35, v53, v30
	s_delay_alu instid0(VALU_DEP_1) | instskip(SKIP_1) | instid1(VALU_DEP_1)
	v_dual_add_f32 v20, v20, v34 :: v_dual_add_f32 v34, v41, v35
	v_mul_f32_e32 v41, v52, v33
	v_fmac_f32_e32 v41, v53, v32
	s_delay_alu instid0(VALU_DEP_1) | instskip(SKIP_1) | instid1(VALU_DEP_2)
	v_dual_add_f32 v38, v38, v41 :: v_dual_mul_f32 v41, v37, v31
	v_dual_mul_f32 v35, v53, v33 :: v_dual_mul_f32 v31, v36, v31
	v_fma_f32 v41, v36, v30, -v41
	s_delay_alu instid0(VALU_DEP_2) | instskip(NEXT) | instid1(VALU_DEP_3)
	v_fma_f32 v35, v52, v32, -v35
	v_dual_fmac_f32 v31, v37, v30 :: v_dual_mul_f32 v30, v37, v33
	s_delay_alu instid0(VALU_DEP_2) | instskip(NEXT) | instid1(VALU_DEP_2)
	v_dual_add_f32 v39, v39, v41 :: v_dual_add_f32 v35, v42, v35
	v_add_f32_e32 v44, v40, v31
	s_delay_alu instid0(VALU_DEP_3) | instskip(SKIP_2) | instid1(VALU_DEP_1)
	v_dual_fma_f32 v30, v36, v32, -v30 :: v_dual_mul_f32 v31, v36, v33
	ds_load_b128 v[40:43], v29 offset:1072
	v_dual_fmac_f32 v31, v37, v32 :: v_dual_add_f32 v26, v26, v30
	v_add_f32_e32 v28, v28, v31
	ds_load_2addr_b64 v[30:33], v5 offset0:192 offset1:208
	s_wait_dscnt 0x0
	v_dual_mul_f32 v36, v1, v31 :: v_dual_mul_f32 v37, v0, v31
	s_delay_alu instid0(VALU_DEP_1) | instskip(NEXT) | instid1(VALU_DEP_1)
	v_dual_fma_f32 v36, v0, v30, -v36 :: v_dual_fmac_f32 v37, v1, v30
	v_dual_add_f32 v20, v20, v36 :: v_dual_add_f32 v34, v34, v37
	v_mul_f32_e32 v36, v1, v33
	s_delay_alu instid0(VALU_DEP_1) | instskip(NEXT) | instid1(VALU_DEP_1)
	v_dual_fma_f32 v36, v0, v32, -v36 :: v_dual_mul_f32 v0, v0, v33
	v_fmac_f32_e32 v0, v1, v32
	s_delay_alu instid0(VALU_DEP_2) | instskip(NEXT) | instid1(VALU_DEP_1)
	v_dual_add_f32 v1, v35, v36 :: v_dual_mul_f32 v35, v41, v31
	v_dual_mul_f32 v31, v40, v31 :: v_dual_fma_f32 v35, v40, v30, -v35
	s_delay_alu instid0(VALU_DEP_1) | instskip(NEXT) | instid1(VALU_DEP_2)
	v_dual_add_f32 v0, v38, v0 :: v_dual_fmac_f32 v31, v41, v30
	v_dual_add_f32 v30, v39, v35 :: v_dual_mul_f32 v35, v41, v33
	v_mul_f32_e32 v33, v40, v33
	s_delay_alu instid0(VALU_DEP_3)
	v_add_f32_e32 v31, v44, v31
	ds_load_2addr_b64 v[44:47], v5 offset0:224 offset1:240
	s_wait_dscnt 0x0
	v_dual_fma_f32 v35, v40, v32, -v35 :: v_dual_fmac_f32 v33, v41, v32
	s_barrier_signal -1
	s_barrier_wait -1
	s_delay_alu instid0(VALU_DEP_1) | instskip(SKIP_1) | instid1(VALU_DEP_1)
	v_dual_add_f32 v26, v26, v35 :: v_dual_add_f32 v28, v28, v33
	v_dual_mul_f32 v32, v3, v45 :: v_dual_mul_f32 v33, v2, v45
	v_dual_fma_f32 v32, v2, v44, -v32 :: v_dual_fmac_f32 v33, v3, v44
	s_delay_alu instid0(VALU_DEP_1) | instskip(SKIP_1) | instid1(VALU_DEP_1)
	v_dual_add_f32 v38, v20, v32 :: v_dual_add_f32 v40, v34, v33
	v_mul_f32_e32 v20, v3, v47
	v_dual_fma_f32 v20, v2, v46, -v20 :: v_dual_mul_f32 v2, v2, v47
	s_delay_alu instid0(VALU_DEP_1) | instskip(NEXT) | instid1(VALU_DEP_1)
	v_dual_fmac_f32 v2, v3, v46 :: v_dual_add_f32 v34, v1, v20
	v_dual_mul_f32 v1, v42, v45 :: v_dual_add_f32 v36, v0, v2
	s_delay_alu instid0(VALU_DEP_1) | instskip(NEXT) | instid1(VALU_DEP_1)
	v_dual_mul_f32 v0, v43, v45 :: v_dual_fmac_f32 v1, v43, v44
	v_dual_fma_f32 v0, v42, v44, -v0 :: v_dual_add_f32 v32, v31, v1
	v_mul_f32_e32 v1, v42, v47
	s_delay_alu instid0(VALU_DEP_2) | instskip(NEXT) | instid1(VALU_DEP_1)
	v_dual_add_f32 v30, v30, v0 :: v_dual_mul_f32 v0, v43, v47
	v_dual_fmac_f32 v1, v43, v46 :: v_dual_fma_f32 v0, v42, v46, -v0
	s_delay_alu instid0(VALU_DEP_1)
	v_dual_add_f32 v28, v28, v1 :: v_dual_add_f32 v26, v26, v0
	s_cbranch_vccz .LBB247_15
.LBB247_9:                              ;   Parent Loop BB247_6 Depth=1
                                        ; =>  This Inner Loop Header: Depth=2
	v_dual_mov_b32 v0, 0 :: v_dual_mov_b32 v1, 0
	s_and_saveexec_b32 s34, s0
	s_cbranch_execz .LBB247_13
; %bb.10:                               ;   in Loop: Header=BB247_9 Depth=2
	v_dual_mov_b32 v1, 0 :: v_dual_add_nc_u32 v20, s6, v6
	v_mov_b32_e32 v0, 0
	s_mov_b32 s35, exec_lo
	s_delay_alu instid0(VALU_DEP_2)
	v_cmpx_gt_u64_e64 s[12:13], v[20:21]
	s_cbranch_execz .LBB247_12
; %bb.11:                               ;   in Loop: Header=BB247_9 Depth=2
	v_lshl_add_u64 v[0:1], v[20:21], 3, v[22:23]
	global_load_b64 v[0:1], v[0:1], off
.LBB247_12:                             ;   in Loop: Header=BB247_9 Depth=2
	s_wait_xcnt 0x0
	s_or_b32 exec_lo, exec_lo, s35
.LBB247_13:                             ;   in Loop: Header=BB247_9 Depth=2
	s_delay_alu instid0(SALU_CYCLE_1)
	s_or_b32 exec_lo, exec_lo, s34
	v_dual_add_nc_u32 v20, s6, v4 :: v_dual_mov_b32 v2, 0
	v_mov_b32_e32 v3, 0
	s_wait_loadcnt 0x0
	ds_store_b64 v7, v[0:1]
	v_cmp_gt_u64_e32 vcc_lo, s[12:13], v[20:21]
	s_and_b32 s35, vcc_lo, s1
	s_delay_alu instid0(SALU_CYCLE_1)
	s_and_saveexec_b32 s34, s35
	s_cbranch_execz .LBB247_8
; %bb.14:                               ;   in Loop: Header=BB247_9 Depth=2
	v_mul_u64_e32 v[0:1], s[16:17], v[20:21]
	s_delay_alu instid0(VALU_DEP_1)
	v_lshl_add_u64 v[0:1], v[0:1], 3, v[24:25]
	global_load_b64 v[2:3], v[0:1], off
	s_branch .LBB247_8
.LBB247_15:                             ;   in Loop: Header=BB247_6 Depth=1
	s_mul_u64 s[6:7], s[28:29], s[26:27]
	s_delay_alu instid0(SALU_CYCLE_1) | instskip(NEXT) | instid1(SALU_CYCLE_1)
	s_lshl_b64 s[6:7], s[6:7], 3
	s_add_nc_u64 s[6:7], s[20:21], s[6:7]
	s_delay_alu instid0(SALU_CYCLE_1)
	v_lshl_add_u64 v[0:1], v[10:11], 3, s[6:7]
	s_and_saveexec_b32 s34, s11
	s_cbranch_execz .LBB247_20
; %bb.16:                               ;   in Loop: Header=BB247_6 Depth=1
	v_mov_b64_e32 v[2:3], s[4:5]
	v_mov_b64_e32 v[22:23], s[14:15]
	s_and_b32 vcc_lo, exec_lo, s10
	s_mov_b32 s35, -1
	s_delay_alu instid0(VALU_DEP_2) | instskip(NEXT) | instid1(VALU_DEP_1)
	v_pk_mul_f32 v[2:3], v[40:41], v[2:3] op_sel_hi:[0,1]
	v_pk_fma_f32 v[24:25], v[38:39], v[22:23], v[2:3] op_sel_hi:[0,1,1]
	v_pk_fma_f32 v[2:3], v[38:39], v[22:23], v[2:3] neg_lo:[0,0,1] neg_hi:[0,0,1]
	v_lshl_add_u64 v[22:23], v[8:9], 3, v[0:1]
	s_delay_alu instid0(VALU_DEP_3)
	v_mov_b32_e32 v3, v25
	s_cbranch_vccz .LBB247_18
; %bb.17:                               ;   in Loop: Header=BB247_6 Depth=1
	global_load_b64 v[24:25], v[22:23], off
	v_mov_b64_e32 v[38:39], s[24:25]
	v_mov_b64_e32 v[40:41], s[2:3]
	s_mov_b32 s35, 0
	s_wait_loadcnt 0x0
	s_delay_alu instid0(VALU_DEP_2) | instskip(NEXT) | instid1(VALU_DEP_1)
	v_pk_mul_f32 v[38:39], v[24:25], v[38:39]
	v_pk_fma_f32 v[42:43], v[24:25], v[40:41], v[38:39] op_sel:[0,0,1] op_sel_hi:[1,1,0]
	v_pk_fma_f32 v[24:25], v[24:25], v[40:41], v[38:39] op_sel:[0,0,1] op_sel_hi:[1,1,0] neg_lo:[0,0,1] neg_hi:[0,0,1]
	s_delay_alu instid0(VALU_DEP_2) | instskip(NEXT) | instid1(VALU_DEP_1)
	v_mov_b32_e32 v25, v43
	v_pk_add_f32 v[24:25], v[2:3], v[24:25]
	global_store_b64 v[22:23], v[24:25], off
.LBB247_18:                             ;   in Loop: Header=BB247_6 Depth=1
	s_and_not1_b32 vcc_lo, exec_lo, s35
	s_cbranch_vccnz .LBB247_20
; %bb.19:                               ;   in Loop: Header=BB247_6 Depth=1
	global_store_b64 v[22:23], v[2:3], off
.LBB247_20:                             ;   in Loop: Header=BB247_6 Depth=1
	s_wait_xcnt 0x0
	s_or_b32 exec_lo, exec_lo, s34
	s_and_saveexec_b32 s34, s22
	s_cbranch_execz .LBB247_25
; %bb.21:                               ;   in Loop: Header=BB247_6 Depth=1
	v_mov_b64_e32 v[2:3], s[4:5]
	v_mov_b64_e32 v[22:23], s[14:15]
	v_lshl_add_u64 v[0:1], v[18:19], 3, v[0:1]
	s_and_not1_b32 vcc_lo, exec_lo, s10
	s_mov_b32 s35, -1
	s_delay_alu instid0(VALU_DEP_3) | instskip(NEXT) | instid1(VALU_DEP_1)
	v_pk_mul_f32 v[2:3], v[36:37], v[2:3] op_sel_hi:[0,1]
	v_pk_fma_f32 v[24:25], v[34:35], v[22:23], v[2:3] op_sel_hi:[0,1,1]
	v_pk_fma_f32 v[2:3], v[34:35], v[22:23], v[2:3] neg_lo:[0,0,1] neg_hi:[0,0,1]
	s_delay_alu instid0(VALU_DEP_2)
	v_mov_b32_e32 v3, v25
	s_cbranch_vccnz .LBB247_23
; %bb.22:                               ;   in Loop: Header=BB247_6 Depth=1
	global_load_b64 v[22:23], v[0:1], off
	v_mov_b64_e32 v[24:25], s[24:25]
	v_mov_b64_e32 v[34:35], s[2:3]
	s_mov_b32 s35, 0
	s_wait_loadcnt 0x0
	s_delay_alu instid0(VALU_DEP_2) | instskip(NEXT) | instid1(VALU_DEP_1)
	v_pk_mul_f32 v[24:25], v[22:23], v[24:25]
	v_pk_fma_f32 v[36:37], v[22:23], v[34:35], v[24:25] op_sel:[0,0,1] op_sel_hi:[1,1,0]
	v_pk_fma_f32 v[22:23], v[22:23], v[34:35], v[24:25] op_sel:[0,0,1] op_sel_hi:[1,1,0] neg_lo:[0,0,1] neg_hi:[0,0,1]
	s_delay_alu instid0(VALU_DEP_2) | instskip(NEXT) | instid1(VALU_DEP_1)
	v_mov_b32_e32 v23, v37
	v_pk_add_f32 v[22:23], v[2:3], v[22:23]
	global_store_b64 v[0:1], v[22:23], off
.LBB247_23:                             ;   in Loop: Header=BB247_6 Depth=1
	s_and_not1_b32 vcc_lo, exec_lo, s35
	s_cbranch_vccnz .LBB247_25
; %bb.24:                               ;   in Loop: Header=BB247_6 Depth=1
	global_store_b64 v[0:1], v[2:3], off
.LBB247_25:                             ;   in Loop: Header=BB247_6 Depth=1
	s_wait_xcnt 0x0
	s_or_b32 exec_lo, exec_lo, s34
	v_lshl_add_u64 v[0:1], v[12:13], 3, s[6:7]
	s_and_saveexec_b32 s6, s23
	s_cbranch_execz .LBB247_30
; %bb.26:                               ;   in Loop: Header=BB247_6 Depth=1
	v_mov_b64_e32 v[2:3], s[4:5]
	v_mov_b64_e32 v[22:23], s[14:15]
	s_and_not1_b32 vcc_lo, exec_lo, s10
	s_mov_b32 s7, -1
	s_delay_alu instid0(VALU_DEP_2) | instskip(NEXT) | instid1(VALU_DEP_1)
	v_pk_mul_f32 v[2:3], v[32:33], v[2:3] op_sel_hi:[0,1]
	v_pk_fma_f32 v[24:25], v[30:31], v[22:23], v[2:3] op_sel_hi:[0,1,1]
	v_pk_fma_f32 v[2:3], v[30:31], v[22:23], v[2:3] neg_lo:[0,0,1] neg_hi:[0,0,1]
	v_lshl_add_u64 v[22:23], v[8:9], 3, v[0:1]
	s_delay_alu instid0(VALU_DEP_3)
	v_mov_b32_e32 v3, v25
	s_cbranch_vccnz .LBB247_28
; %bb.27:                               ;   in Loop: Header=BB247_6 Depth=1
	global_load_b64 v[24:25], v[22:23], off
	v_mov_b64_e32 v[30:31], s[24:25]
	v_mov_b64_e32 v[32:33], s[2:3]
	s_mov_b32 s7, 0
	s_wait_loadcnt 0x0
	s_delay_alu instid0(VALU_DEP_2) | instskip(NEXT) | instid1(VALU_DEP_1)
	v_pk_mul_f32 v[30:31], v[24:25], v[30:31]
	v_pk_fma_f32 v[34:35], v[24:25], v[32:33], v[30:31] op_sel:[0,0,1] op_sel_hi:[1,1,0]
	v_pk_fma_f32 v[24:25], v[24:25], v[32:33], v[30:31] op_sel:[0,0,1] op_sel_hi:[1,1,0] neg_lo:[0,0,1] neg_hi:[0,0,1]
	s_delay_alu instid0(VALU_DEP_2) | instskip(NEXT) | instid1(VALU_DEP_1)
	v_mov_b32_e32 v25, v35
	v_pk_add_f32 v[24:25], v[2:3], v[24:25]
	global_store_b64 v[22:23], v[24:25], off
.LBB247_28:                             ;   in Loop: Header=BB247_6 Depth=1
	s_and_not1_b32 vcc_lo, exec_lo, s7
	s_cbranch_vccnz .LBB247_30
; %bb.29:                               ;   in Loop: Header=BB247_6 Depth=1
	global_store_b64 v[22:23], v[2:3], off
.LBB247_30:                             ;   in Loop: Header=BB247_6 Depth=1
	s_wait_xcnt 0x0
	s_or_b32 exec_lo, exec_lo, s6
	s_and_saveexec_b32 s6, s31
	s_cbranch_execz .LBB247_5
; %bb.31:                               ;   in Loop: Header=BB247_6 Depth=1
	v_mov_b64_e32 v[2:3], s[4:5]
	v_mov_b64_e32 v[22:23], s[14:15]
	v_lshl_add_u64 v[0:1], v[18:19], 3, v[0:1]
	s_and_not1_b32 vcc_lo, exec_lo, s10
	s_mov_b32 s7, -1
	s_delay_alu instid0(VALU_DEP_3) | instskip(NEXT) | instid1(VALU_DEP_1)
	v_pk_mul_f32 v[2:3], v[28:29], v[2:3] op_sel_hi:[0,1]
	v_pk_fma_f32 v[24:25], v[26:27], v[22:23], v[2:3] op_sel_hi:[0,1,1]
	v_pk_fma_f32 v[2:3], v[26:27], v[22:23], v[2:3] neg_lo:[0,0,1] neg_hi:[0,0,1]
	s_delay_alu instid0(VALU_DEP_2)
	v_mov_b32_e32 v3, v25
	s_cbranch_vccnz .LBB247_33
; %bb.32:                               ;   in Loop: Header=BB247_6 Depth=1
	global_load_b64 v[22:23], v[0:1], off
	v_mov_b64_e32 v[24:25], s[24:25]
	v_mov_b64_e32 v[30:31], s[2:3]
	s_mov_b32 s7, 0
	s_wait_loadcnt 0x0
	s_delay_alu instid0(VALU_DEP_2) | instskip(NEXT) | instid1(VALU_DEP_1)
	v_pk_mul_f32 v[24:25], v[22:23], v[24:25]
	v_pk_fma_f32 v[32:33], v[22:23], v[30:31], v[24:25] op_sel:[0,0,1] op_sel_hi:[1,1,0]
	v_pk_fma_f32 v[22:23], v[22:23], v[30:31], v[24:25] op_sel:[0,0,1] op_sel_hi:[1,1,0] neg_lo:[0,0,1] neg_hi:[0,0,1]
	s_delay_alu instid0(VALU_DEP_2) | instskip(NEXT) | instid1(VALU_DEP_1)
	v_mov_b32_e32 v23, v33
	v_pk_add_f32 v[22:23], v[2:3], v[22:23]
	global_store_b64 v[0:1], v[22:23], off
.LBB247_33:                             ;   in Loop: Header=BB247_6 Depth=1
	s_and_not1_b32 vcc_lo, exec_lo, s7
	s_cbranch_vccnz .LBB247_5
; %bb.34:                               ;   in Loop: Header=BB247_6 Depth=1
	global_store_b64 v[0:1], v[2:3], off
	s_branch .LBB247_5
.LBB247_35:
	s_endpgm
	.section	.rodata,"a",@progbits
	.p2align	6, 0x0
	.amdhsa_kernel _ZL29rocblas_internal_gemmt_kernelIlLi16ELi32ELi8ELc84ELc84ELc76ELb0ELb0E19rocblas_complex_numIfES1_PKS1_PS1_EviT_T9_T10_S5_lS7_S5_lS6_T11_S5_li
		.amdhsa_group_segment_fixed_size 4096
		.amdhsa_private_segment_fixed_size 0
		.amdhsa_kernarg_size 108
		.amdhsa_user_sgpr_count 2
		.amdhsa_user_sgpr_dispatch_ptr 0
		.amdhsa_user_sgpr_queue_ptr 0
		.amdhsa_user_sgpr_kernarg_segment_ptr 1
		.amdhsa_user_sgpr_dispatch_id 0
		.amdhsa_user_sgpr_kernarg_preload_length 0
		.amdhsa_user_sgpr_kernarg_preload_offset 0
		.amdhsa_user_sgpr_private_segment_size 0
		.amdhsa_wavefront_size32 1
		.amdhsa_uses_dynamic_stack 0
		.amdhsa_enable_private_segment 0
		.amdhsa_system_sgpr_workgroup_id_x 1
		.amdhsa_system_sgpr_workgroup_id_y 1
		.amdhsa_system_sgpr_workgroup_id_z 1
		.amdhsa_system_sgpr_workgroup_info 0
		.amdhsa_system_vgpr_workitem_id 1
		.amdhsa_next_free_vgpr 58
		.amdhsa_next_free_sgpr 36
		.amdhsa_named_barrier_count 0
		.amdhsa_reserve_vcc 1
		.amdhsa_float_round_mode_32 0
		.amdhsa_float_round_mode_16_64 0
		.amdhsa_float_denorm_mode_32 3
		.amdhsa_float_denorm_mode_16_64 3
		.amdhsa_fp16_overflow 0
		.amdhsa_memory_ordered 1
		.amdhsa_forward_progress 1
		.amdhsa_inst_pref_size 25
		.amdhsa_round_robin_scheduling 0
		.amdhsa_exception_fp_ieee_invalid_op 0
		.amdhsa_exception_fp_denorm_src 0
		.amdhsa_exception_fp_ieee_div_zero 0
		.amdhsa_exception_fp_ieee_overflow 0
		.amdhsa_exception_fp_ieee_underflow 0
		.amdhsa_exception_fp_ieee_inexact 0
		.amdhsa_exception_int_div_zero 0
	.end_amdhsa_kernel
	.section	.text._ZL29rocblas_internal_gemmt_kernelIlLi16ELi32ELi8ELc84ELc84ELc76ELb0ELb0E19rocblas_complex_numIfES1_PKS1_PS1_EviT_T9_T10_S5_lS7_S5_lS6_T11_S5_li,"axG",@progbits,_ZL29rocblas_internal_gemmt_kernelIlLi16ELi32ELi8ELc84ELc84ELc76ELb0ELb0E19rocblas_complex_numIfES1_PKS1_PS1_EviT_T9_T10_S5_lS7_S5_lS6_T11_S5_li,comdat
.Lfunc_end247:
	.size	_ZL29rocblas_internal_gemmt_kernelIlLi16ELi32ELi8ELc84ELc84ELc76ELb0ELb0E19rocblas_complex_numIfES1_PKS1_PS1_EviT_T9_T10_S5_lS7_S5_lS6_T11_S5_li, .Lfunc_end247-_ZL29rocblas_internal_gemmt_kernelIlLi16ELi32ELi8ELc84ELc84ELc76ELb0ELb0E19rocblas_complex_numIfES1_PKS1_PS1_EviT_T9_T10_S5_lS7_S5_lS6_T11_S5_li
                                        ; -- End function
	.set _ZL29rocblas_internal_gemmt_kernelIlLi16ELi32ELi8ELc84ELc84ELc76ELb0ELb0E19rocblas_complex_numIfES1_PKS1_PS1_EviT_T9_T10_S5_lS7_S5_lS6_T11_S5_li.num_vgpr, 58
	.set _ZL29rocblas_internal_gemmt_kernelIlLi16ELi32ELi8ELc84ELc84ELc76ELb0ELb0E19rocblas_complex_numIfES1_PKS1_PS1_EviT_T9_T10_S5_lS7_S5_lS6_T11_S5_li.num_agpr, 0
	.set _ZL29rocblas_internal_gemmt_kernelIlLi16ELi32ELi8ELc84ELc84ELc76ELb0ELb0E19rocblas_complex_numIfES1_PKS1_PS1_EviT_T9_T10_S5_lS7_S5_lS6_T11_S5_li.numbered_sgpr, 36
	.set _ZL29rocblas_internal_gemmt_kernelIlLi16ELi32ELi8ELc84ELc84ELc76ELb0ELb0E19rocblas_complex_numIfES1_PKS1_PS1_EviT_T9_T10_S5_lS7_S5_lS6_T11_S5_li.num_named_barrier, 0
	.set _ZL29rocblas_internal_gemmt_kernelIlLi16ELi32ELi8ELc84ELc84ELc76ELb0ELb0E19rocblas_complex_numIfES1_PKS1_PS1_EviT_T9_T10_S5_lS7_S5_lS6_T11_S5_li.private_seg_size, 0
	.set _ZL29rocblas_internal_gemmt_kernelIlLi16ELi32ELi8ELc84ELc84ELc76ELb0ELb0E19rocblas_complex_numIfES1_PKS1_PS1_EviT_T9_T10_S5_lS7_S5_lS6_T11_S5_li.uses_vcc, 1
	.set _ZL29rocblas_internal_gemmt_kernelIlLi16ELi32ELi8ELc84ELc84ELc76ELb0ELb0E19rocblas_complex_numIfES1_PKS1_PS1_EviT_T9_T10_S5_lS7_S5_lS6_T11_S5_li.uses_flat_scratch, 0
	.set _ZL29rocblas_internal_gemmt_kernelIlLi16ELi32ELi8ELc84ELc84ELc76ELb0ELb0E19rocblas_complex_numIfES1_PKS1_PS1_EviT_T9_T10_S5_lS7_S5_lS6_T11_S5_li.has_dyn_sized_stack, 0
	.set _ZL29rocblas_internal_gemmt_kernelIlLi16ELi32ELi8ELc84ELc84ELc76ELb0ELb0E19rocblas_complex_numIfES1_PKS1_PS1_EviT_T9_T10_S5_lS7_S5_lS6_T11_S5_li.has_recursion, 0
	.set _ZL29rocblas_internal_gemmt_kernelIlLi16ELi32ELi8ELc84ELc84ELc76ELb0ELb0E19rocblas_complex_numIfES1_PKS1_PS1_EviT_T9_T10_S5_lS7_S5_lS6_T11_S5_li.has_indirect_call, 0
	.section	.AMDGPU.csdata,"",@progbits
; Kernel info:
; codeLenInByte = 3168
; TotalNumSgprs: 38
; NumVgprs: 58
; ScratchSize: 0
; MemoryBound: 0
; FloatMode: 240
; IeeeMode: 1
; LDSByteSize: 4096 bytes/workgroup (compile time only)
; SGPRBlocks: 0
; VGPRBlocks: 3
; NumSGPRsForWavesPerEU: 38
; NumVGPRsForWavesPerEU: 58
; NamedBarCnt: 0
; Occupancy: 16
; WaveLimiterHint : 0
; COMPUTE_PGM_RSRC2:SCRATCH_EN: 0
; COMPUTE_PGM_RSRC2:USER_SGPR: 2
; COMPUTE_PGM_RSRC2:TRAP_HANDLER: 0
; COMPUTE_PGM_RSRC2:TGID_X_EN: 1
; COMPUTE_PGM_RSRC2:TGID_Y_EN: 1
; COMPUTE_PGM_RSRC2:TGID_Z_EN: 1
; COMPUTE_PGM_RSRC2:TIDIG_COMP_CNT: 1
	.section	.text._ZL29rocblas_internal_gemmt_kernelIlLi16ELi32ELi8ELc84ELc67ELc76ELb0ELb1E19rocblas_complex_numIfES1_PKS1_PS1_EviT_T9_T10_S5_lS7_S5_lS6_T11_S5_li,"axG",@progbits,_ZL29rocblas_internal_gemmt_kernelIlLi16ELi32ELi8ELc84ELc67ELc76ELb0ELb1E19rocblas_complex_numIfES1_PKS1_PS1_EviT_T9_T10_S5_lS7_S5_lS6_T11_S5_li,comdat
	.globl	_ZL29rocblas_internal_gemmt_kernelIlLi16ELi32ELi8ELc84ELc67ELc76ELb0ELb1E19rocblas_complex_numIfES1_PKS1_PS1_EviT_T9_T10_S5_lS7_S5_lS6_T11_S5_li ; -- Begin function _ZL29rocblas_internal_gemmt_kernelIlLi16ELi32ELi8ELc84ELc67ELc76ELb0ELb1E19rocblas_complex_numIfES1_PKS1_PS1_EviT_T9_T10_S5_lS7_S5_lS6_T11_S5_li
	.p2align	8
	.type	_ZL29rocblas_internal_gemmt_kernelIlLi16ELi32ELi8ELc84ELc67ELc76ELb0ELb1E19rocblas_complex_numIfES1_PKS1_PS1_EviT_T9_T10_S5_lS7_S5_lS6_T11_S5_li,@function
_ZL29rocblas_internal_gemmt_kernelIlLi16ELi32ELi8ELc84ELc67ELc76ELb0ELb1E19rocblas_complex_numIfES1_PKS1_PS1_EviT_T9_T10_S5_lS7_S5_lS6_T11_S5_li: ; @_ZL29rocblas_internal_gemmt_kernelIlLi16ELi32ELi8ELc84ELc67ELc76ELb0ELb1E19rocblas_complex_numIfES1_PKS1_PS1_EviT_T9_T10_S5_lS7_S5_lS6_T11_S5_li
; %bb.0:
	s_clause 0x1
	s_load_b64 s[24:25], s[0:1], 0x48
	s_load_b128 s[12:15], s[0:1], 0x8
	s_wait_kmcnt 0x0
	s_cmp_neq_f32 s24, 1.0
	s_cselect_b32 s3, -1, 0
	s_and_b32 s4, s25, 0x7fffffff
	s_delay_alu instid0(SALU_CYCLE_1) | instskip(SKIP_3) | instid1(SALU_CYCLE_1)
	s_cmp_eq_u32 s4, 0
	s_cselect_b32 s2, -1, 0
	s_cmp_lg_u32 s4, 0
	s_cselect_b32 s4, -1, 0
	s_or_b32 s3, s3, s4
	s_delay_alu instid0(SALU_CYCLE_1)
	s_and_b32 vcc_lo, exec_lo, s3
	s_cbranch_vccnz .LBB248_2
; %bb.1:
	s_cmp_lg_u64 s[12:13], 0
	s_cselect_b32 s3, -1, 0
	s_cmp_neq_f32 s14, 0
	s_cselect_b32 s4, -1, 0
	s_cmp_neq_f32 s15, 0
	s_cselect_b32 s5, -1, 0
	s_delay_alu instid0(SALU_CYCLE_1) | instskip(NEXT) | instid1(SALU_CYCLE_1)
	s_or_b32 s4, s4, s5
	s_and_b32 s3, s3, s4
.LBB248_2:
	s_delay_alu instid0(SALU_CYCLE_1)
	s_and_not1_b32 vcc_lo, exec_lo, s3
	s_cbranch_vccnz .LBB248_37
; %bb.3:
	s_load_b32 s30, s[0:1], 0x68
	s_bfe_u32 s3, ttmp6, 0x40014
	s_lshr_b32 s4, ttmp7, 16
	s_add_co_i32 s3, s3, 1
	s_bfe_u32 s6, ttmp6, 0x40008
	s_mul_i32 s5, s4, s3
	s_getreg_b32 s3, hwreg(HW_REG_IB_STS2, 6, 4)
	s_add_co_i32 s6, s6, s5
	s_cmp_eq_u32 s3, 0
	s_mov_b32 s27, 0
	s_cselect_b32 s26, s4, s6
	s_wait_kmcnt 0x0
	s_cmp_ge_u32 s26, s30
	s_cbranch_scc1 .LBB248_37
; %bb.4:
	v_and_b32_e32 v7, 0x3ff, v0
	v_bfe_u32 v9, v0, 10, 10
	s_bfe_u32 s17, ttmp6, 0x4000c
	s_bfe_u32 s18, ttmp6, 0x40010
	s_add_co_i32 s17, s17, 1
	s_and_b32 s19, ttmp7, 0xffff
	s_add_co_i32 s18, s18, 1
	s_load_b256 s[4:11], s[0:1], 0x18
	v_lshl_add_u32 v8, v9, 4, v7
	s_and_b32 s16, ttmp6, 15
	s_mul_i32 s17, ttmp9, s17
	s_mul_i32 s18, s19, s18
	s_bfe_u32 s20, ttmp6, 0x40004
	s_add_co_i32 s16, s16, s17
	s_add_co_i32 s20, s20, s18
	s_cmp_eq_u32 s3, 0
	v_and_b32_e32 v10, 31, v8
	s_cselect_b32 s3, ttmp9, s16
	s_cselect_b32 s31, s19, s20
	s_lshl_b32 s3, s3, 5
	v_dual_lshlrev_b32 v5, 3, v7 :: v_dual_bitop2_b32 v4, 7, v0 bitop3:0x40
	v_or_b32_e32 v2, s3, v10
	s_clause 0x3
	s_load_b32 s33, s[0:1], 0x0
	s_load_b64 s[28:29], s[0:1], 0x60
	s_load_b128 s[16:19], s[0:1], 0x38
	s_load_b128 s[20:23], s[0:1], 0x50
	s_wait_xcnt 0x0
	s_lshl_b32 s0, s31, 5
	v_dual_lshrrev_b32 v6, 5, v8 :: v_dual_lshrrev_b32 v11, 3, v8
	v_dual_ashrrev_i32 v3, 31, v2 :: v_dual_add_nc_u32 v8, s3, v7
	v_dual_add_nc_u32 v20, s0, v9 :: v_dual_lshlrev_b32 v7, 3, v10
	s_delay_alu instid0(VALU_DEP_3) | instskip(SKIP_1) | instid1(VALU_DEP_3)
	v_add_nc_u32_e32 v14, s0, v11
	s_wait_kmcnt 0x0
	v_mul_u64_e32 v[0:1], s[6:7], v[2:3]
	v_lshlrev_b32_e32 v3, 3, v4
	v_dual_add_nc_u32 v22, 16, v20 :: v_dual_ashrrev_i32 v21, 31, v20
	v_add_nc_u32_e32 v18, 16, v8
	s_cmp_neq_f32 s14, 0
	s_delay_alu instid0(VALU_DEP_3) | instskip(NEXT) | instid1(VALU_DEP_3)
	v_lshl_or_b32 v3, v11, 6, v3
	v_ashrrev_i32_e32 v23, 31, v22
	v_ashrrev_i32_e32 v15, 31, v14
	s_cselect_b32 s1, -1, 0
	s_cmp_neq_f32 s15, 0
	v_mul_u64_e32 v[10:11], s[22:23], v[20:21]
	v_mul_u64_e32 v[12:13], s[22:23], v[22:23]
	v_cmp_gt_i64_e64 s6, s[12:13], 0
	s_cselect_b32 s3, -1, 0
	v_cmp_gt_i32_e32 vcc_lo, s33, v14
	s_or_b32 s7, s1, s3
	s_cmp_neq_f32 s24, 0
	v_cmp_le_i32_e64 s1, v20, v8
	v_lshl_add_u32 v29, v9, 6, 0x800
	v_ashrrev_i32_e32 v9, 31, v8
	s_cselect_b32 s3, -1, 0
	v_lshl_add_u64 v[14:15], v[14:15], 3, s[10:11]
	v_cmp_gt_i32_e64 s0, s33, v2
	v_lshl_or_b32 v7, v6, 8, v7
	v_add_nc_u32_e32 v27, 0x800, v3
	v_dual_ashrrev_i32 v19, 31, v18 :: v_dual_mov_b32 v21, 0
	s_and_b32 s31, s7, s6
	v_lshl_add_u64 v[16:17], v[0:1], 3, s[4:5]
	s_xor_b32 s4, s2, -1
	v_cmp_gt_i32_e64 s2, s33, v8
	s_or_b32 s10, s3, s4
	v_cmp_le_i32_e64 s3, v20, v18
	v_cmp_gt_i32_e64 s4, s33, v18
	v_cmp_le_i32_e64 s5, v22, v18
	s_and_b32 s11, s1, s2
	v_cmp_le_i32_e64 s1, v22, v8
	s_xor_b32 s33, vcc_lo, -1
	s_and_b32 s22, s3, s4
	s_and_b32 s23, s5, s4
	s_mov_b32 s3, s24
	s_and_b32 s1, s1, s2
	s_mov_b32 s2, s24
	s_mov_b32 s24, s25
	;; [unrolled: 1-line block ×4, first 2 shown]
	s_branch .LBB248_6
.LBB248_5:                              ;   in Loop: Header=BB248_6 Depth=1
	s_wait_xcnt 0x0
	s_or_b32 exec_lo, exec_lo, s6
	s_add_co_i32 s26, s26, 0x10000
	s_delay_alu instid0(SALU_CYCLE_1)
	s_cmp_lt_u32 s26, s30
	s_cbranch_scc0 .LBB248_37
.LBB248_6:                              ; =>This Loop Header: Depth=1
                                        ;     Child Loop BB248_9 Depth 2
	v_dual_mov_b32 v38, v21 :: v_dual_mov_b32 v40, v21
	v_dual_mov_b32 v34, v21 :: v_dual_mov_b32 v36, v21
	;; [unrolled: 1-line block ×4, first 2 shown]
	s_and_not1_b32 vcc_lo, exec_lo, s31
	s_cbranch_vccnz .LBB248_17
; %bb.7:                                ;   in Loop: Header=BB248_6 Depth=1
	s_mul_u64 s[6:7], s[8:9], s[26:27]
	s_mul_u64 s[34:35], s[18:19], s[26:27]
	v_lshl_add_u64 v[22:23], s[6:7], 3, v[16:17]
	v_lshl_add_u64 v[24:25], s[34:35], 3, v[14:15]
	v_dual_mov_b32 v28, 0 :: v_dual_mov_b32 v26, 0
	v_dual_mov_b32 v32, 0 :: v_dual_mov_b32 v30, 0
	;; [unrolled: 1-line block ×4, first 2 shown]
	s_mov_b64 s[6:7], 0
	s_branch .LBB248_9
.LBB248_8:                              ;   in Loop: Header=BB248_9 Depth=2
	s_or_b32 exec_lo, exec_lo, s34
	ds_store_b32 v27, v0 offset:4
	s_wait_dscnt 0x0
	s_barrier_signal -1
	s_barrier_wait -1
	ds_load_b128 v[42:45], v29
	ds_load_b128 v[46:49], v29 offset:16
	ds_load_b128 v[50:53], v29 offset:32
	;; [unrolled: 1-line block ×3, first 2 shown]
	ds_load_2addr_b64 v[54:57], v5 offset1:16
	s_add_nc_u64 s[6:7], s[6:7], 8
	s_delay_alu instid0(SALU_CYCLE_1) | instskip(SKIP_3) | instid1(VALU_DEP_1)
	v_cmp_gt_i64_e64 s34, s[12:13], s[6:7]
	s_and_b32 vcc_lo, exec_lo, s34
	s_wait_dscnt 0x0
	v_dual_mul_f32 v20, v43, v55 :: v_dual_mul_f32 v31, v42, v55
	v_dual_mul_f32 v33, v42, v57 :: v_dual_fma_f32 v20, v42, v54, -v20
	s_delay_alu instid0(VALU_DEP_1) | instskip(NEXT) | instid1(VALU_DEP_1)
	v_dual_fmac_f32 v31, v43, v54 :: v_dual_fmac_f32 v33, v43, v56
	v_dual_add_f32 v20, v38, v20 :: v_dual_add_f32 v38, v40, v31
	v_mul_f32_e32 v31, v43, v57
	s_delay_alu instid0(VALU_DEP_1) | instskip(NEXT) | instid1(VALU_DEP_1)
	v_dual_add_f32 v40, v36, v33 :: v_dual_fma_f32 v31, v42, v56, -v31
	v_add_f32_e32 v39, v34, v31
	ds_load_b128 v[34:37], v29 offset:1024
	s_wait_dscnt 0x0
	v_dual_mul_f32 v31, v35, v55 :: v_dual_mul_f32 v33, v34, v55
	s_delay_alu instid0(VALU_DEP_1) | instskip(NEXT) | instid1(VALU_DEP_1)
	v_dual_fma_f32 v31, v34, v54, -v31 :: v_dual_fmac_f32 v33, v35, v54
	v_dual_add_f32 v41, v30, v31 :: v_dual_add_f32 v42, v32, v33
	v_dual_mul_f32 v30, v35, v57 :: v_dual_mul_f32 v31, v34, v57
	s_delay_alu instid0(VALU_DEP_1) | instskip(NEXT) | instid1(VALU_DEP_1)
	v_dual_fma_f32 v30, v34, v56, -v30 :: v_dual_fmac_f32 v31, v35, v56
	v_dual_add_f32 v26, v26, v30 :: v_dual_add_f32 v28, v28, v31
	ds_load_2addr_b64 v[30:33], v5 offset0:32 offset1:48
	s_wait_dscnt 0x0
	v_dual_mul_f32 v34, v45, v31 :: v_dual_mul_f32 v35, v44, v31
	s_delay_alu instid0(VALU_DEP_1) | instskip(NEXT) | instid1(VALU_DEP_1)
	v_dual_fma_f32 v34, v44, v30, -v34 :: v_dual_fmac_f32 v35, v45, v30
	v_dual_add_f32 v20, v20, v34 :: v_dual_add_f32 v34, v38, v35
	v_dual_mul_f32 v35, v45, v33 :: v_dual_mul_f32 v38, v44, v33
	s_delay_alu instid0(VALU_DEP_1) | instskip(NEXT) | instid1(VALU_DEP_1)
	v_dual_fma_f32 v35, v44, v32, -v35 :: v_dual_fmac_f32 v38, v45, v32
	v_dual_add_f32 v35, v39, v35 :: v_dual_add_f32 v38, v40, v38
	v_dual_mul_f32 v39, v37, v31 :: v_dual_mul_f32 v31, v36, v31
	s_delay_alu instid0(VALU_DEP_1) | instskip(NEXT) | instid1(VALU_DEP_2)
	v_fmac_f32_e32 v31, v37, v30
	v_dual_fma_f32 v39, v36, v30, -v39 :: v_dual_mul_f32 v30, v37, v33
	s_delay_alu instid0(VALU_DEP_2) | instskip(NEXT) | instid1(VALU_DEP_2)
	v_add_f32_e32 v40, v42, v31
	v_dual_add_f32 v39, v41, v39 :: v_dual_fma_f32 v30, v36, v32, -v30
	s_delay_alu instid0(VALU_DEP_1) | instskip(NEXT) | instid1(VALU_DEP_1)
	v_dual_mul_f32 v31, v36, v33 :: v_dual_add_f32 v26, v26, v30
	v_fmac_f32_e32 v31, v37, v32
	s_delay_alu instid0(VALU_DEP_1) | instskip(SKIP_3) | instid1(VALU_DEP_1)
	v_add_f32_e32 v28, v28, v31
	ds_load_2addr_b64 v[30:33], v5 offset0:64 offset1:80
	s_wait_dscnt 0x0
	v_mul_f32_e32 v36, v47, v31
	v_dual_fma_f32 v36, v46, v30, -v36 :: v_dual_mul_f32 v37, v46, v31
	s_delay_alu instid0(VALU_DEP_1) | instskip(SKIP_1) | instid1(VALU_DEP_2)
	v_dual_add_f32 v20, v20, v36 :: v_dual_fmac_f32 v37, v47, v30
	v_mul_f32_e32 v36, v46, v33
	v_add_f32_e32 v41, v34, v37
	v_mul_f32_e32 v34, v47, v33
	s_delay_alu instid0(VALU_DEP_1) | instskip(NEXT) | instid1(VALU_DEP_1)
	v_fma_f32 v34, v46, v32, -v34
	v_add_f32_e32 v42, v35, v34
	v_fmac_f32_e32 v36, v47, v32
	s_delay_alu instid0(VALU_DEP_1) | instskip(SKIP_3) | instid1(VALU_DEP_1)
	v_add_f32_e32 v38, v38, v36
	ds_load_b128 v[34:37], v29 offset:1040
	s_wait_dscnt 0x0
	v_dual_mul_f32 v43, v35, v31 :: v_dual_mul_f32 v31, v34, v31
	v_fma_f32 v43, v34, v30, -v43
	s_delay_alu instid0(VALU_DEP_2) | instskip(NEXT) | instid1(VALU_DEP_2)
	v_dual_fmac_f32 v31, v35, v30 :: v_dual_mul_f32 v30, v35, v33
	v_add_f32_e32 v39, v39, v43
	s_delay_alu instid0(VALU_DEP_2) | instskip(NEXT) | instid1(VALU_DEP_1)
	v_dual_add_f32 v40, v40, v31 :: v_dual_mul_f32 v31, v34, v33
	v_dual_fma_f32 v30, v34, v32, -v30 :: v_dual_fmac_f32 v31, v35, v32
	s_delay_alu instid0(VALU_DEP_1) | instskip(SKIP_3) | instid1(VALU_DEP_1)
	v_dual_add_f32 v26, v26, v30 :: v_dual_add_f32 v28, v28, v31
	ds_load_2addr_b64 v[30:33], v5 offset0:96 offset1:112
	s_wait_dscnt 0x0
	v_dual_mul_f32 v34, v49, v31 :: v_dual_mul_f32 v35, v48, v31
	v_dual_fma_f32 v34, v48, v30, -v34 :: v_dual_fmac_f32 v35, v49, v30
	s_delay_alu instid0(VALU_DEP_1) | instskip(SKIP_1) | instid1(VALU_DEP_1)
	v_dual_add_f32 v20, v20, v34 :: v_dual_add_f32 v34, v41, v35
	v_mul_f32_e32 v41, v48, v33
	v_fmac_f32_e32 v41, v49, v32
	s_delay_alu instid0(VALU_DEP_1) | instskip(SKIP_1) | instid1(VALU_DEP_2)
	v_dual_add_f32 v38, v38, v41 :: v_dual_mul_f32 v41, v37, v31
	v_dual_mul_f32 v35, v49, v33 :: v_dual_mul_f32 v31, v36, v31
	v_fma_f32 v41, v36, v30, -v41
	s_delay_alu instid0(VALU_DEP_2) | instskip(NEXT) | instid1(VALU_DEP_3)
	v_fma_f32 v35, v48, v32, -v35
	v_dual_fmac_f32 v31, v37, v30 :: v_dual_mul_f32 v30, v37, v33
	s_delay_alu instid0(VALU_DEP_2) | instskip(NEXT) | instid1(VALU_DEP_2)
	v_dual_add_f32 v39, v39, v41 :: v_dual_add_f32 v35, v42, v35
	v_add_f32_e32 v40, v40, v31
	s_delay_alu instid0(VALU_DEP_3) | instskip(NEXT) | instid1(VALU_DEP_1)
	v_dual_fma_f32 v30, v36, v32, -v30 :: v_dual_mul_f32 v31, v36, v33
	v_dual_fmac_f32 v31, v37, v32 :: v_dual_add_f32 v26, v26, v30
	s_delay_alu instid0(VALU_DEP_1) | instskip(SKIP_3) | instid1(VALU_DEP_1)
	v_add_f32_e32 v28, v28, v31
	ds_load_2addr_b64 v[30:33], v5 offset0:128 offset1:144
	s_wait_dscnt 0x0
	v_dual_mul_f32 v36, v51, v31 :: v_dual_mul_f32 v37, v50, v31
	v_dual_fma_f32 v36, v50, v30, -v36 :: v_dual_fmac_f32 v37, v51, v30
	s_delay_alu instid0(VALU_DEP_1) | instskip(SKIP_1) | instid1(VALU_DEP_1)
	v_dual_add_f32 v20, v20, v36 :: v_dual_add_f32 v41, v34, v37
	v_dual_mul_f32 v34, v51, v33 :: v_dual_mul_f32 v36, v50, v33
	v_dual_fma_f32 v34, v50, v32, -v34 :: v_dual_fmac_f32 v36, v51, v32
	s_delay_alu instid0(VALU_DEP_1) | instskip(SKIP_3) | instid1(VALU_DEP_1)
	v_dual_add_f32 v42, v35, v34 :: v_dual_add_f32 v38, v38, v36
	ds_load_b128 v[34:37], v29 offset:1056
	s_wait_dscnt 0x0
	v_dual_mul_f32 v43, v35, v31 :: v_dual_mul_f32 v31, v34, v31
	v_fmac_f32_e32 v31, v35, v30
	s_delay_alu instid0(VALU_DEP_2) | instskip(NEXT) | instid1(VALU_DEP_2)
	v_dual_fma_f32 v43, v34, v30, -v43 :: v_dual_mul_f32 v30, v35, v33
	v_dual_add_f32 v40, v40, v31 :: v_dual_mul_f32 v31, v34, v33
	s_delay_alu instid0(VALU_DEP_2) | instskip(NEXT) | instid1(VALU_DEP_1)
	v_dual_add_f32 v39, v39, v43 :: v_dual_fma_f32 v30, v34, v32, -v30
	v_dual_fmac_f32 v31, v35, v32 :: v_dual_add_f32 v26, v26, v30
	s_delay_alu instid0(VALU_DEP_1) | instskip(SKIP_3) | instid1(VALU_DEP_1)
	v_add_f32_e32 v28, v28, v31
	ds_load_2addr_b64 v[30:33], v5 offset0:160 offset1:176
	s_wait_dscnt 0x0
	v_dual_mul_f32 v34, v53, v31 :: v_dual_mul_f32 v35, v52, v31
	v_dual_fma_f32 v34, v52, v30, -v34 :: v_dual_fmac_f32 v35, v53, v30
	s_delay_alu instid0(VALU_DEP_1) | instskip(SKIP_1) | instid1(VALU_DEP_1)
	v_dual_add_f32 v20, v20, v34 :: v_dual_add_f32 v34, v41, v35
	v_mul_f32_e32 v41, v52, v33
	v_fmac_f32_e32 v41, v53, v32
	s_delay_alu instid0(VALU_DEP_1) | instskip(SKIP_1) | instid1(VALU_DEP_2)
	v_dual_add_f32 v38, v38, v41 :: v_dual_mul_f32 v41, v37, v31
	v_dual_mul_f32 v35, v53, v33 :: v_dual_mul_f32 v31, v36, v31
	v_fma_f32 v41, v36, v30, -v41
	s_delay_alu instid0(VALU_DEP_2) | instskip(NEXT) | instid1(VALU_DEP_3)
	v_fma_f32 v35, v52, v32, -v35
	v_dual_fmac_f32 v31, v37, v30 :: v_dual_mul_f32 v30, v37, v33
	s_delay_alu instid0(VALU_DEP_2) | instskip(NEXT) | instid1(VALU_DEP_2)
	v_dual_add_f32 v39, v39, v41 :: v_dual_add_f32 v35, v42, v35
	v_add_f32_e32 v44, v40, v31
	s_delay_alu instid0(VALU_DEP_3) | instskip(SKIP_2) | instid1(VALU_DEP_1)
	v_dual_fma_f32 v30, v36, v32, -v30 :: v_dual_mul_f32 v31, v36, v33
	ds_load_b128 v[40:43], v29 offset:1072
	v_dual_fmac_f32 v31, v37, v32 :: v_dual_add_f32 v26, v26, v30
	v_add_f32_e32 v28, v28, v31
	ds_load_2addr_b64 v[30:33], v5 offset0:192 offset1:208
	s_wait_dscnt 0x0
	v_dual_mul_f32 v36, v1, v31 :: v_dual_mul_f32 v37, v0, v31
	s_delay_alu instid0(VALU_DEP_1) | instskip(NEXT) | instid1(VALU_DEP_1)
	v_dual_fma_f32 v36, v0, v30, -v36 :: v_dual_fmac_f32 v37, v1, v30
	v_dual_add_f32 v20, v20, v36 :: v_dual_add_f32 v34, v34, v37
	v_mul_f32_e32 v36, v1, v33
	s_delay_alu instid0(VALU_DEP_1) | instskip(NEXT) | instid1(VALU_DEP_1)
	v_dual_fma_f32 v36, v0, v32, -v36 :: v_dual_mul_f32 v0, v0, v33
	v_fmac_f32_e32 v0, v1, v32
	s_delay_alu instid0(VALU_DEP_2) | instskip(NEXT) | instid1(VALU_DEP_1)
	v_dual_add_f32 v1, v35, v36 :: v_dual_mul_f32 v35, v41, v31
	v_dual_mul_f32 v31, v40, v31 :: v_dual_fma_f32 v35, v40, v30, -v35
	s_delay_alu instid0(VALU_DEP_1) | instskip(NEXT) | instid1(VALU_DEP_2)
	v_dual_add_f32 v0, v38, v0 :: v_dual_fmac_f32 v31, v41, v30
	v_dual_add_f32 v30, v39, v35 :: v_dual_mul_f32 v35, v41, v33
	v_mul_f32_e32 v33, v40, v33
	s_delay_alu instid0(VALU_DEP_3)
	v_add_f32_e32 v31, v44, v31
	ds_load_2addr_b64 v[44:47], v5 offset0:224 offset1:240
	s_wait_dscnt 0x0
	v_dual_fma_f32 v35, v40, v32, -v35 :: v_dual_fmac_f32 v33, v41, v32
	s_barrier_signal -1
	s_barrier_wait -1
	s_delay_alu instid0(VALU_DEP_1) | instskip(SKIP_1) | instid1(VALU_DEP_1)
	v_dual_add_f32 v26, v26, v35 :: v_dual_add_f32 v28, v28, v33
	v_dual_mul_f32 v32, v3, v45 :: v_dual_mul_f32 v33, v2, v45
	v_dual_fma_f32 v32, v2, v44, -v32 :: v_dual_fmac_f32 v33, v3, v44
	s_delay_alu instid0(VALU_DEP_1) | instskip(SKIP_1) | instid1(VALU_DEP_1)
	v_dual_add_f32 v38, v20, v32 :: v_dual_add_f32 v40, v34, v33
	v_mul_f32_e32 v20, v3, v47
	v_dual_fma_f32 v20, v2, v46, -v20 :: v_dual_mul_f32 v2, v2, v47
	s_delay_alu instid0(VALU_DEP_1) | instskip(NEXT) | instid1(VALU_DEP_1)
	v_dual_fmac_f32 v2, v3, v46 :: v_dual_add_f32 v34, v1, v20
	v_dual_mul_f32 v1, v42, v45 :: v_dual_add_f32 v36, v0, v2
	s_delay_alu instid0(VALU_DEP_1) | instskip(NEXT) | instid1(VALU_DEP_1)
	v_dual_mul_f32 v0, v43, v45 :: v_dual_fmac_f32 v1, v43, v44
	v_dual_fma_f32 v0, v42, v44, -v0 :: v_dual_add_f32 v32, v31, v1
	v_mul_f32_e32 v1, v42, v47
	s_delay_alu instid0(VALU_DEP_2) | instskip(NEXT) | instid1(VALU_DEP_1)
	v_dual_add_f32 v30, v30, v0 :: v_dual_mul_f32 v0, v43, v47
	v_dual_fmac_f32 v1, v43, v46 :: v_dual_fma_f32 v0, v42, v46, -v0
	s_delay_alu instid0(VALU_DEP_1)
	v_dual_add_f32 v28, v28, v1 :: v_dual_add_f32 v26, v26, v0
	s_cbranch_vccz .LBB248_17
.LBB248_9:                              ;   Parent Loop BB248_6 Depth=1
                                        ; =>  This Inner Loop Header: Depth=2
	v_dual_mov_b32 v0, 0 :: v_dual_mov_b32 v1, 0
	s_and_saveexec_b32 s34, s0
	s_cbranch_execz .LBB248_13
; %bb.10:                               ;   in Loop: Header=BB248_9 Depth=2
	v_dual_mov_b32 v1, 0 :: v_dual_add_nc_u32 v20, s6, v6
	v_mov_b32_e32 v0, 0
	s_mov_b32 s35, exec_lo
	s_delay_alu instid0(VALU_DEP_2)
	v_cmpx_gt_u64_e64 s[12:13], v[20:21]
	s_cbranch_execz .LBB248_12
; %bb.11:                               ;   in Loop: Header=BB248_9 Depth=2
	v_lshl_add_u64 v[0:1], v[20:21], 3, v[22:23]
	global_load_b64 v[0:1], v[0:1], off
.LBB248_12:                             ;   in Loop: Header=BB248_9 Depth=2
	s_wait_xcnt 0x0
	s_or_b32 exec_lo, exec_lo, s35
.LBB248_13:                             ;   in Loop: Header=BB248_9 Depth=2
	s_delay_alu instid0(SALU_CYCLE_1)
	s_or_b32 exec_lo, exec_lo, s34
	v_add_nc_u32_e32 v20, s6, v4
	s_wait_loadcnt 0x0
	ds_store_b64 v7, v[0:1]
	v_cmp_le_u64_e32 vcc_lo, s[12:13], v[20:21]
	s_or_b32 s34, vcc_lo, s33
	s_delay_alu instid0(SALU_CYCLE_1) | instskip(NEXT) | instid1(SALU_CYCLE_1)
	s_and_saveexec_b32 s35, s34
	s_xor_b32 s34, exec_lo, s35
; %bb.14:                               ;   in Loop: Header=BB248_9 Depth=2
	ds_store_b32 v27, v21
; %bb.15:                               ;   in Loop: Header=BB248_9 Depth=2
	s_or_saveexec_b32 s34, s34
	v_mov_b32_e32 v0, 0
	s_xor_b32 exec_lo, exec_lo, s34
	s_cbranch_execz .LBB248_8
; %bb.16:                               ;   in Loop: Header=BB248_9 Depth=2
	v_mul_u64_e32 v[0:1], s[16:17], v[20:21]
	s_delay_alu instid0(VALU_DEP_1)
	v_lshl_add_u64 v[0:1], v[0:1], 3, v[24:25]
	global_load_b64 v[2:3], v[0:1], off
	s_wait_loadcnt 0x0
	s_wait_xcnt 0x0
	v_xor_b32_e32 v0, 0x80000000, v3
	ds_store_b32 v27, v2
	s_branch .LBB248_8
.LBB248_17:                             ;   in Loop: Header=BB248_6 Depth=1
	s_mul_u64 s[6:7], s[28:29], s[26:27]
	s_delay_alu instid0(SALU_CYCLE_1) | instskip(NEXT) | instid1(SALU_CYCLE_1)
	s_lshl_b64 s[6:7], s[6:7], 3
	s_add_nc_u64 s[6:7], s[20:21], s[6:7]
	s_delay_alu instid0(SALU_CYCLE_1)
	v_lshl_add_u64 v[0:1], v[10:11], 3, s[6:7]
	s_and_saveexec_b32 s34, s11
	s_cbranch_execz .LBB248_22
; %bb.18:                               ;   in Loop: Header=BB248_6 Depth=1
	v_mov_b64_e32 v[2:3], s[4:5]
	v_mov_b64_e32 v[22:23], s[14:15]
	s_and_b32 vcc_lo, exec_lo, s10
	s_mov_b32 s35, -1
	s_delay_alu instid0(VALU_DEP_2) | instskip(NEXT) | instid1(VALU_DEP_1)
	v_pk_mul_f32 v[2:3], v[40:41], v[2:3] op_sel_hi:[0,1]
	v_pk_fma_f32 v[24:25], v[38:39], v[22:23], v[2:3] op_sel_hi:[0,1,1]
	v_pk_fma_f32 v[2:3], v[38:39], v[22:23], v[2:3] neg_lo:[0,0,1] neg_hi:[0,0,1]
	v_lshl_add_u64 v[22:23], v[8:9], 3, v[0:1]
	s_delay_alu instid0(VALU_DEP_3)
	v_mov_b32_e32 v3, v25
	s_cbranch_vccz .LBB248_20
; %bb.19:                               ;   in Loop: Header=BB248_6 Depth=1
	global_load_b64 v[24:25], v[22:23], off
	v_mov_b64_e32 v[38:39], s[24:25]
	v_mov_b64_e32 v[40:41], s[2:3]
	s_mov_b32 s35, 0
	s_wait_loadcnt 0x0
	s_delay_alu instid0(VALU_DEP_2) | instskip(NEXT) | instid1(VALU_DEP_1)
	v_pk_mul_f32 v[38:39], v[24:25], v[38:39]
	v_pk_fma_f32 v[42:43], v[24:25], v[40:41], v[38:39] op_sel:[0,0,1] op_sel_hi:[1,1,0]
	v_pk_fma_f32 v[24:25], v[24:25], v[40:41], v[38:39] op_sel:[0,0,1] op_sel_hi:[1,1,0] neg_lo:[0,0,1] neg_hi:[0,0,1]
	s_delay_alu instid0(VALU_DEP_2) | instskip(NEXT) | instid1(VALU_DEP_1)
	v_mov_b32_e32 v25, v43
	v_pk_add_f32 v[24:25], v[2:3], v[24:25]
	global_store_b64 v[22:23], v[24:25], off
.LBB248_20:                             ;   in Loop: Header=BB248_6 Depth=1
	s_and_not1_b32 vcc_lo, exec_lo, s35
	s_cbranch_vccnz .LBB248_22
; %bb.21:                               ;   in Loop: Header=BB248_6 Depth=1
	global_store_b64 v[22:23], v[2:3], off
.LBB248_22:                             ;   in Loop: Header=BB248_6 Depth=1
	s_wait_xcnt 0x0
	s_or_b32 exec_lo, exec_lo, s34
	s_and_saveexec_b32 s34, s22
	s_cbranch_execz .LBB248_27
; %bb.23:                               ;   in Loop: Header=BB248_6 Depth=1
	v_mov_b64_e32 v[2:3], s[4:5]
	v_mov_b64_e32 v[22:23], s[14:15]
	v_lshl_add_u64 v[0:1], v[18:19], 3, v[0:1]
	s_and_not1_b32 vcc_lo, exec_lo, s10
	s_mov_b32 s35, -1
	s_delay_alu instid0(VALU_DEP_3) | instskip(NEXT) | instid1(VALU_DEP_1)
	v_pk_mul_f32 v[2:3], v[36:37], v[2:3] op_sel_hi:[0,1]
	v_pk_fma_f32 v[24:25], v[34:35], v[22:23], v[2:3] op_sel_hi:[0,1,1]
	v_pk_fma_f32 v[2:3], v[34:35], v[22:23], v[2:3] neg_lo:[0,0,1] neg_hi:[0,0,1]
	s_delay_alu instid0(VALU_DEP_2)
	v_mov_b32_e32 v3, v25
	s_cbranch_vccnz .LBB248_25
; %bb.24:                               ;   in Loop: Header=BB248_6 Depth=1
	global_load_b64 v[22:23], v[0:1], off
	v_mov_b64_e32 v[24:25], s[24:25]
	v_mov_b64_e32 v[34:35], s[2:3]
	s_mov_b32 s35, 0
	s_wait_loadcnt 0x0
	s_delay_alu instid0(VALU_DEP_2) | instskip(NEXT) | instid1(VALU_DEP_1)
	v_pk_mul_f32 v[24:25], v[22:23], v[24:25]
	v_pk_fma_f32 v[36:37], v[22:23], v[34:35], v[24:25] op_sel:[0,0,1] op_sel_hi:[1,1,0]
	v_pk_fma_f32 v[22:23], v[22:23], v[34:35], v[24:25] op_sel:[0,0,1] op_sel_hi:[1,1,0] neg_lo:[0,0,1] neg_hi:[0,0,1]
	s_delay_alu instid0(VALU_DEP_2) | instskip(NEXT) | instid1(VALU_DEP_1)
	v_mov_b32_e32 v23, v37
	v_pk_add_f32 v[22:23], v[2:3], v[22:23]
	global_store_b64 v[0:1], v[22:23], off
.LBB248_25:                             ;   in Loop: Header=BB248_6 Depth=1
	s_and_not1_b32 vcc_lo, exec_lo, s35
	s_cbranch_vccnz .LBB248_27
; %bb.26:                               ;   in Loop: Header=BB248_6 Depth=1
	global_store_b64 v[0:1], v[2:3], off
.LBB248_27:                             ;   in Loop: Header=BB248_6 Depth=1
	s_wait_xcnt 0x0
	s_or_b32 exec_lo, exec_lo, s34
	v_lshl_add_u64 v[0:1], v[12:13], 3, s[6:7]
	s_and_saveexec_b32 s6, s1
	s_cbranch_execz .LBB248_32
; %bb.28:                               ;   in Loop: Header=BB248_6 Depth=1
	v_mov_b64_e32 v[2:3], s[4:5]
	v_mov_b64_e32 v[22:23], s[14:15]
	s_and_not1_b32 vcc_lo, exec_lo, s10
	s_mov_b32 s7, -1
	s_delay_alu instid0(VALU_DEP_2) | instskip(NEXT) | instid1(VALU_DEP_1)
	v_pk_mul_f32 v[2:3], v[32:33], v[2:3] op_sel_hi:[0,1]
	v_pk_fma_f32 v[24:25], v[30:31], v[22:23], v[2:3] op_sel_hi:[0,1,1]
	v_pk_fma_f32 v[2:3], v[30:31], v[22:23], v[2:3] neg_lo:[0,0,1] neg_hi:[0,0,1]
	v_lshl_add_u64 v[22:23], v[8:9], 3, v[0:1]
	s_delay_alu instid0(VALU_DEP_3)
	v_mov_b32_e32 v3, v25
	s_cbranch_vccnz .LBB248_30
; %bb.29:                               ;   in Loop: Header=BB248_6 Depth=1
	global_load_b64 v[24:25], v[22:23], off
	v_mov_b64_e32 v[30:31], s[24:25]
	v_mov_b64_e32 v[32:33], s[2:3]
	s_mov_b32 s7, 0
	s_wait_loadcnt 0x0
	s_delay_alu instid0(VALU_DEP_2) | instskip(NEXT) | instid1(VALU_DEP_1)
	v_pk_mul_f32 v[30:31], v[24:25], v[30:31]
	v_pk_fma_f32 v[34:35], v[24:25], v[32:33], v[30:31] op_sel:[0,0,1] op_sel_hi:[1,1,0]
	v_pk_fma_f32 v[24:25], v[24:25], v[32:33], v[30:31] op_sel:[0,0,1] op_sel_hi:[1,1,0] neg_lo:[0,0,1] neg_hi:[0,0,1]
	s_delay_alu instid0(VALU_DEP_2) | instskip(NEXT) | instid1(VALU_DEP_1)
	v_mov_b32_e32 v25, v35
	v_pk_add_f32 v[24:25], v[2:3], v[24:25]
	global_store_b64 v[22:23], v[24:25], off
.LBB248_30:                             ;   in Loop: Header=BB248_6 Depth=1
	s_and_not1_b32 vcc_lo, exec_lo, s7
	s_cbranch_vccnz .LBB248_32
; %bb.31:                               ;   in Loop: Header=BB248_6 Depth=1
	global_store_b64 v[22:23], v[2:3], off
.LBB248_32:                             ;   in Loop: Header=BB248_6 Depth=1
	s_wait_xcnt 0x0
	s_or_b32 exec_lo, exec_lo, s6
	s_and_saveexec_b32 s6, s23
	s_cbranch_execz .LBB248_5
; %bb.33:                               ;   in Loop: Header=BB248_6 Depth=1
	v_mov_b64_e32 v[2:3], s[4:5]
	v_mov_b64_e32 v[22:23], s[14:15]
	v_lshl_add_u64 v[0:1], v[18:19], 3, v[0:1]
	s_and_not1_b32 vcc_lo, exec_lo, s10
	s_mov_b32 s7, -1
	s_delay_alu instid0(VALU_DEP_3) | instskip(NEXT) | instid1(VALU_DEP_1)
	v_pk_mul_f32 v[2:3], v[28:29], v[2:3] op_sel_hi:[0,1]
	v_pk_fma_f32 v[24:25], v[26:27], v[22:23], v[2:3] op_sel_hi:[0,1,1]
	v_pk_fma_f32 v[2:3], v[26:27], v[22:23], v[2:3] neg_lo:[0,0,1] neg_hi:[0,0,1]
	s_delay_alu instid0(VALU_DEP_2)
	v_mov_b32_e32 v3, v25
	s_cbranch_vccnz .LBB248_35
; %bb.34:                               ;   in Loop: Header=BB248_6 Depth=1
	global_load_b64 v[22:23], v[0:1], off
	v_mov_b64_e32 v[24:25], s[24:25]
	v_mov_b64_e32 v[30:31], s[2:3]
	s_mov_b32 s7, 0
	s_wait_loadcnt 0x0
	s_delay_alu instid0(VALU_DEP_2) | instskip(NEXT) | instid1(VALU_DEP_1)
	v_pk_mul_f32 v[24:25], v[22:23], v[24:25]
	v_pk_fma_f32 v[32:33], v[22:23], v[30:31], v[24:25] op_sel:[0,0,1] op_sel_hi:[1,1,0]
	v_pk_fma_f32 v[22:23], v[22:23], v[30:31], v[24:25] op_sel:[0,0,1] op_sel_hi:[1,1,0] neg_lo:[0,0,1] neg_hi:[0,0,1]
	s_delay_alu instid0(VALU_DEP_2) | instskip(NEXT) | instid1(VALU_DEP_1)
	v_mov_b32_e32 v23, v33
	v_pk_add_f32 v[22:23], v[2:3], v[22:23]
	global_store_b64 v[0:1], v[22:23], off
.LBB248_35:                             ;   in Loop: Header=BB248_6 Depth=1
	s_and_not1_b32 vcc_lo, exec_lo, s7
	s_cbranch_vccnz .LBB248_5
; %bb.36:                               ;   in Loop: Header=BB248_6 Depth=1
	global_store_b64 v[0:1], v[2:3], off
	s_branch .LBB248_5
.LBB248_37:
	s_endpgm
	.section	.rodata,"a",@progbits
	.p2align	6, 0x0
	.amdhsa_kernel _ZL29rocblas_internal_gemmt_kernelIlLi16ELi32ELi8ELc84ELc67ELc76ELb0ELb1E19rocblas_complex_numIfES1_PKS1_PS1_EviT_T9_T10_S5_lS7_S5_lS6_T11_S5_li
		.amdhsa_group_segment_fixed_size 4096
		.amdhsa_private_segment_fixed_size 0
		.amdhsa_kernarg_size 108
		.amdhsa_user_sgpr_count 2
		.amdhsa_user_sgpr_dispatch_ptr 0
		.amdhsa_user_sgpr_queue_ptr 0
		.amdhsa_user_sgpr_kernarg_segment_ptr 1
		.amdhsa_user_sgpr_dispatch_id 0
		.amdhsa_user_sgpr_kernarg_preload_length 0
		.amdhsa_user_sgpr_kernarg_preload_offset 0
		.amdhsa_user_sgpr_private_segment_size 0
		.amdhsa_wavefront_size32 1
		.amdhsa_uses_dynamic_stack 0
		.amdhsa_enable_private_segment 0
		.amdhsa_system_sgpr_workgroup_id_x 1
		.amdhsa_system_sgpr_workgroup_id_y 1
		.amdhsa_system_sgpr_workgroup_id_z 1
		.amdhsa_system_sgpr_workgroup_info 0
		.amdhsa_system_vgpr_workitem_id 1
		.amdhsa_next_free_vgpr 58
		.amdhsa_next_free_sgpr 36
		.amdhsa_named_barrier_count 0
		.amdhsa_reserve_vcc 1
		.amdhsa_float_round_mode_32 0
		.amdhsa_float_round_mode_16_64 0
		.amdhsa_float_denorm_mode_32 3
		.amdhsa_float_denorm_mode_16_64 3
		.amdhsa_fp16_overflow 0
		.amdhsa_memory_ordered 1
		.amdhsa_forward_progress 1
		.amdhsa_inst_pref_size 26
		.amdhsa_round_robin_scheduling 0
		.amdhsa_exception_fp_ieee_invalid_op 0
		.amdhsa_exception_fp_denorm_src 0
		.amdhsa_exception_fp_ieee_div_zero 0
		.amdhsa_exception_fp_ieee_overflow 0
		.amdhsa_exception_fp_ieee_underflow 0
		.amdhsa_exception_fp_ieee_inexact 0
		.amdhsa_exception_int_div_zero 0
	.end_amdhsa_kernel
	.section	.text._ZL29rocblas_internal_gemmt_kernelIlLi16ELi32ELi8ELc84ELc67ELc76ELb0ELb1E19rocblas_complex_numIfES1_PKS1_PS1_EviT_T9_T10_S5_lS7_S5_lS6_T11_S5_li,"axG",@progbits,_ZL29rocblas_internal_gemmt_kernelIlLi16ELi32ELi8ELc84ELc67ELc76ELb0ELb1E19rocblas_complex_numIfES1_PKS1_PS1_EviT_T9_T10_S5_lS7_S5_lS6_T11_S5_li,comdat
.Lfunc_end248:
	.size	_ZL29rocblas_internal_gemmt_kernelIlLi16ELi32ELi8ELc84ELc67ELc76ELb0ELb1E19rocblas_complex_numIfES1_PKS1_PS1_EviT_T9_T10_S5_lS7_S5_lS6_T11_S5_li, .Lfunc_end248-_ZL29rocblas_internal_gemmt_kernelIlLi16ELi32ELi8ELc84ELc67ELc76ELb0ELb1E19rocblas_complex_numIfES1_PKS1_PS1_EviT_T9_T10_S5_lS7_S5_lS6_T11_S5_li
                                        ; -- End function
	.set _ZL29rocblas_internal_gemmt_kernelIlLi16ELi32ELi8ELc84ELc67ELc76ELb0ELb1E19rocblas_complex_numIfES1_PKS1_PS1_EviT_T9_T10_S5_lS7_S5_lS6_T11_S5_li.num_vgpr, 58
	.set _ZL29rocblas_internal_gemmt_kernelIlLi16ELi32ELi8ELc84ELc67ELc76ELb0ELb1E19rocblas_complex_numIfES1_PKS1_PS1_EviT_T9_T10_S5_lS7_S5_lS6_T11_S5_li.num_agpr, 0
	.set _ZL29rocblas_internal_gemmt_kernelIlLi16ELi32ELi8ELc84ELc67ELc76ELb0ELb1E19rocblas_complex_numIfES1_PKS1_PS1_EviT_T9_T10_S5_lS7_S5_lS6_T11_S5_li.numbered_sgpr, 36
	.set _ZL29rocblas_internal_gemmt_kernelIlLi16ELi32ELi8ELc84ELc67ELc76ELb0ELb1E19rocblas_complex_numIfES1_PKS1_PS1_EviT_T9_T10_S5_lS7_S5_lS6_T11_S5_li.num_named_barrier, 0
	.set _ZL29rocblas_internal_gemmt_kernelIlLi16ELi32ELi8ELc84ELc67ELc76ELb0ELb1E19rocblas_complex_numIfES1_PKS1_PS1_EviT_T9_T10_S5_lS7_S5_lS6_T11_S5_li.private_seg_size, 0
	.set _ZL29rocblas_internal_gemmt_kernelIlLi16ELi32ELi8ELc84ELc67ELc76ELb0ELb1E19rocblas_complex_numIfES1_PKS1_PS1_EviT_T9_T10_S5_lS7_S5_lS6_T11_S5_li.uses_vcc, 1
	.set _ZL29rocblas_internal_gemmt_kernelIlLi16ELi32ELi8ELc84ELc67ELc76ELb0ELb1E19rocblas_complex_numIfES1_PKS1_PS1_EviT_T9_T10_S5_lS7_S5_lS6_T11_S5_li.uses_flat_scratch, 0
	.set _ZL29rocblas_internal_gemmt_kernelIlLi16ELi32ELi8ELc84ELc67ELc76ELb0ELb1E19rocblas_complex_numIfES1_PKS1_PS1_EviT_T9_T10_S5_lS7_S5_lS6_T11_S5_li.has_dyn_sized_stack, 0
	.set _ZL29rocblas_internal_gemmt_kernelIlLi16ELi32ELi8ELc84ELc67ELc76ELb0ELb1E19rocblas_complex_numIfES1_PKS1_PS1_EviT_T9_T10_S5_lS7_S5_lS6_T11_S5_li.has_recursion, 0
	.set _ZL29rocblas_internal_gemmt_kernelIlLi16ELi32ELi8ELc84ELc67ELc76ELb0ELb1E19rocblas_complex_numIfES1_PKS1_PS1_EviT_T9_T10_S5_lS7_S5_lS6_T11_S5_li.has_indirect_call, 0
	.section	.AMDGPU.csdata,"",@progbits
; Kernel info:
; codeLenInByte = 3204
; TotalNumSgprs: 38
; NumVgprs: 58
; ScratchSize: 0
; MemoryBound: 0
; FloatMode: 240
; IeeeMode: 1
; LDSByteSize: 4096 bytes/workgroup (compile time only)
; SGPRBlocks: 0
; VGPRBlocks: 3
; NumSGPRsForWavesPerEU: 38
; NumVGPRsForWavesPerEU: 58
; NamedBarCnt: 0
; Occupancy: 16
; WaveLimiterHint : 0
; COMPUTE_PGM_RSRC2:SCRATCH_EN: 0
; COMPUTE_PGM_RSRC2:USER_SGPR: 2
; COMPUTE_PGM_RSRC2:TRAP_HANDLER: 0
; COMPUTE_PGM_RSRC2:TGID_X_EN: 1
; COMPUTE_PGM_RSRC2:TGID_Y_EN: 1
; COMPUTE_PGM_RSRC2:TGID_Z_EN: 1
; COMPUTE_PGM_RSRC2:TIDIG_COMP_CNT: 1
	.section	.text._ZL29rocblas_internal_gemmt_kernelIlLi16ELi32ELi8ELc67ELc78ELc76ELb1ELb0E19rocblas_complex_numIfES1_PKS1_PS1_EviT_T9_T10_S5_lS7_S5_lS6_T11_S5_li,"axG",@progbits,_ZL29rocblas_internal_gemmt_kernelIlLi16ELi32ELi8ELc67ELc78ELc76ELb1ELb0E19rocblas_complex_numIfES1_PKS1_PS1_EviT_T9_T10_S5_lS7_S5_lS6_T11_S5_li,comdat
	.globl	_ZL29rocblas_internal_gemmt_kernelIlLi16ELi32ELi8ELc67ELc78ELc76ELb1ELb0E19rocblas_complex_numIfES1_PKS1_PS1_EviT_T9_T10_S5_lS7_S5_lS6_T11_S5_li ; -- Begin function _ZL29rocblas_internal_gemmt_kernelIlLi16ELi32ELi8ELc67ELc78ELc76ELb1ELb0E19rocblas_complex_numIfES1_PKS1_PS1_EviT_T9_T10_S5_lS7_S5_lS6_T11_S5_li
	.p2align	8
	.type	_ZL29rocblas_internal_gemmt_kernelIlLi16ELi32ELi8ELc67ELc78ELc76ELb1ELb0E19rocblas_complex_numIfES1_PKS1_PS1_EviT_T9_T10_S5_lS7_S5_lS6_T11_S5_li,@function
_ZL29rocblas_internal_gemmt_kernelIlLi16ELi32ELi8ELc67ELc78ELc76ELb1ELb0E19rocblas_complex_numIfES1_PKS1_PS1_EviT_T9_T10_S5_lS7_S5_lS6_T11_S5_li: ; @_ZL29rocblas_internal_gemmt_kernelIlLi16ELi32ELi8ELc67ELc78ELc76ELb1ELb0E19rocblas_complex_numIfES1_PKS1_PS1_EviT_T9_T10_S5_lS7_S5_lS6_T11_S5_li
; %bb.0:
	s_clause 0x1
	s_load_b64 s[24:25], s[0:1], 0x48
	s_load_b128 s[12:15], s[0:1], 0x8
	s_wait_kmcnt 0x0
	s_cmp_neq_f32 s24, 1.0
	s_cselect_b32 s3, -1, 0
	s_and_b32 s4, s25, 0x7fffffff
	s_delay_alu instid0(SALU_CYCLE_1) | instskip(SKIP_3) | instid1(SALU_CYCLE_1)
	s_cmp_eq_u32 s4, 0
	s_cselect_b32 s2, -1, 0
	s_cmp_lg_u32 s4, 0
	s_cselect_b32 s4, -1, 0
	s_or_b32 s3, s3, s4
	s_delay_alu instid0(SALU_CYCLE_1)
	s_and_b32 vcc_lo, exec_lo, s3
	s_cbranch_vccnz .LBB249_2
; %bb.1:
	s_cmp_lg_u64 s[12:13], 0
	s_cselect_b32 s3, -1, 0
	s_cmp_neq_f32 s14, 0
	s_cselect_b32 s4, -1, 0
	s_cmp_neq_f32 s15, 0
	s_cselect_b32 s5, -1, 0
	s_delay_alu instid0(SALU_CYCLE_1) | instskip(NEXT) | instid1(SALU_CYCLE_1)
	s_or_b32 s4, s4, s5
	s_and_b32 s3, s3, s4
.LBB249_2:
	s_delay_alu instid0(SALU_CYCLE_1)
	s_and_not1_b32 vcc_lo, exec_lo, s3
	s_cbranch_vccnz .LBB249_38
; %bb.3:
	s_load_b32 s28, s[0:1], 0x68
	s_bfe_u32 s3, ttmp6, 0x40014
	s_lshr_b32 s4, ttmp7, 16
	s_add_co_i32 s3, s3, 1
	s_bfe_u32 s6, ttmp6, 0x40008
	s_mul_i32 s5, s4, s3
	s_getreg_b32 s3, hwreg(HW_REG_IB_STS2, 6, 4)
	s_add_co_i32 s6, s6, s5
	s_cmp_eq_u32 s3, 0
	s_mov_b32 s27, 0
	s_cselect_b32 s26, s4, s6
	s_wait_kmcnt 0x0
	s_cmp_ge_u32 s26, s28
	s_cbranch_scc1 .LBB249_38
; %bb.4:
	v_and_b32_e32 v9, 0x3ff, v0
	v_bfe_u32 v19, v0, 10, 10
	s_bfe_u32 s21, ttmp6, 0x4000c
	s_bfe_u32 s23, ttmp6, 0x40010
	s_and_b32 s22, ttmp7, 0xffff
	s_add_co_i32 s21, s21, 1
	s_add_co_i32 s23, s23, 1
	v_lshl_add_u32 v1, v19, 4, v9
	s_clause 0x1
	s_load_b256 s[4:11], s[0:1], 0x18
	s_load_b128 s[16:19], s[0:1], 0x38
	s_and_b32 s20, ttmp6, 15
	s_mul_i32 s21, ttmp9, s21
	s_mul_i32 s23, s22, s23
	s_bfe_u32 s29, ttmp6, 0x40004
	s_add_co_i32 s20, s20, s21
	s_add_co_i32 s29, s29, s23
	s_cmp_eq_u32 s3, 0
	v_dual_lshrrev_b32 v5, 3, v1 :: v_dual_bitop2_b32 v7, 31, v1 bitop3:0x40
	s_cselect_b32 s3, ttmp9, s20
	s_cselect_b32 s20, s22, s29
	s_lshl_b32 s3, s3, 5
	s_lshl_b32 s29, s20, 5
	s_delay_alu instid0(SALU_CYCLE_1) | instskip(SKIP_3) | instid1(VALU_DEP_1)
	v_dual_add_nc_u32 v10, s29, v5 :: v_dual_bitop2_b32 v2, s3, v7 bitop3:0x54
	s_clause 0x1
	s_load_b128 s[20:23], s[0:1], 0x50
	s_load_b32 s30, s[0:1], 0x0
	v_dual_ashrrev_i32 v3, 31, v2 :: v_dual_bitop2_b32 v4, 7, v0 bitop3:0x40
	v_dual_lshrrev_b32 v6, 5, v1 :: v_dual_add_nc_u32 v0, s29, v19
	v_dual_ashrrev_i32 v11, 31, v10 :: v_dual_lshlrev_b32 v29, 3, v9
	s_wait_kmcnt 0x0
	s_delay_alu instid0(VALU_DEP_3)
	v_mul_u64_e32 v[14:15], s[6:7], v[2:3]
	v_lshlrev_b32_e32 v3, 3, v4
	v_dual_add_nc_u32 v20, 16, v0 :: v_dual_ashrrev_i32 v1, 31, v0
	v_mul_u64_e32 v[16:17], s[16:17], v[10:11]
	s_load_b64 s[6:7], s[0:1], 0x60
	s_cmp_neq_f32 s14, 0
	s_delay_alu instid0(VALU_DEP_2) | instskip(SKIP_3) | instid1(VALU_DEP_2)
	v_dual_ashrrev_i32 v21, 31, v20 :: v_dual_add_nc_u32 v8, s3, v9
	v_lshlrev_b32_e32 v7, 3, v7
	s_cselect_b32 s3, -1, 0
	s_cmp_neq_f32 s15, 0
	v_mul_u64_e32 v[12:13], s[22:23], v[20:21]
	s_wait_xcnt 0x0
	v_cmp_gt_i32_e64 s1, s30, v10
	v_mul_u64_e32 v[10:11], s[22:23], v[0:1]
	s_cselect_b32 s17, -1, 0
	v_dual_add_nc_u32 v18, 16, v8 :: v_dual_ashrrev_i32 v9, 31, v8
	s_or_b32 s33, s3, s17
	s_cmp_neq_f32 s24, 0
	v_cmp_le_i32_e32 vcc_lo, v0, v8
	v_lshl_or_b32 v3, v5, 6, v3
	v_cmp_gt_i64_e64 s31, s[12:13], 0
	s_cselect_b32 s3, -1, 0
	v_cmp_gt_i32_e64 s0, s30, v2
	v_cmp_le_i32_e64 s16, s30, v2
	v_lshl_or_b32 v5, v6, 8, v7
	v_add_nc_u32_e32 v7, 0x800, v3
	v_lshl_add_u32 v31, v19, 6, 0x800
	v_dual_ashrrev_i32 v19, 31, v18 :: v_dual_mov_b32 v21, 0
	s_and_b32 s31, s33, s31
	v_lshl_add_u64 v[14:15], v[14:15], 3, s[4:5]
	s_xor_b32 s4, s2, -1
	v_cmp_gt_i32_e64 s2, s30, v8
	s_or_b32 s17, s3, s4
	v_cmp_le_i32_e64 s3, v0, v18
	v_cmp_gt_i32_e64 s4, s30, v18
	v_cmp_le_i32_e64 s5, v20, v18
	s_and_b32 s22, vcc_lo, s2
	v_cmp_le_i32_e32 vcc_lo, v20, v8
	v_lshl_add_u64 v[16:17], v[16:17], 3, s[10:11]
	s_and_b32 s23, s3, s4
	s_and_b32 s30, s5, s4
	s_mov_b32 s3, s24
	s_and_b32 s29, vcc_lo, s2
	s_mov_b32 s2, s24
	s_mov_b32 s24, s25
	;; [unrolled: 1-line block ×4, first 2 shown]
                                        ; implicit-def: $vgpr22_vgpr23
	s_branch .LBB249_6
.LBB249_5:                              ;   in Loop: Header=BB249_6 Depth=1
	s_wait_xcnt 0x0
	s_or_b32 exec_lo, exec_lo, s10
	s_add_co_i32 s26, s26, 0x10000
	s_delay_alu instid0(SALU_CYCLE_1)
	s_cmp_lt_u32 s26, s28
	s_cbranch_scc0 .LBB249_38
.LBB249_6:                              ; =>This Loop Header: Depth=1
                                        ;     Child Loop BB249_9 Depth 2
	s_and_not1_b32 vcc_lo, exec_lo, s31
	s_cbranch_vccnz .LBB249_17
; %bb.7:                                ;   in Loop: Header=BB249_6 Depth=1
	s_mul_u64 s[10:11], s[8:9], s[26:27]
	s_mul_u64 s[34:35], s[18:19], s[26:27]
	v_lshl_add_u64 v[24:25], s[10:11], 3, v[14:15]
	v_lshl_add_u64 v[26:27], s[34:35], 3, v[16:17]
	v_dual_mov_b32 v30, 0 :: v_dual_mov_b32 v28, 0
	v_dual_mov_b32 v34, 0 :: v_dual_mov_b32 v32, 0
	;; [unrolled: 1-line block ×4, first 2 shown]
	s_mov_b64 s[10:11], 0
	s_branch .LBB249_9
.LBB249_8:                              ;   in Loop: Header=BB249_9 Depth=2
	s_wait_xcnt 0x0
	s_or_b32 exec_lo, exec_lo, s33
	s_wait_loadcnt 0x0
	ds_store_b64 v7, v[0:1]
	s_wait_dscnt 0x0
	s_barrier_signal -1
	s_barrier_wait -1
	ds_load_b128 v[44:47], v31
	ds_load_b128 v[48:51], v31 offset:16
	ds_load_b128 v[52:55], v31 offset:32
	;; [unrolled: 1-line block ×3, first 2 shown]
	ds_load_2addr_b64 v[56:59], v29 offset1:16
	s_add_nc_u64 s[10:11], s[10:11], 8
	s_delay_alu instid0(SALU_CYCLE_1) | instskip(SKIP_3) | instid1(VALU_DEP_1)
	v_cmp_gt_i64_e64 s33, s[12:13], s[10:11]
	s_and_b32 vcc_lo, exec_lo, s33
	s_wait_dscnt 0x0
	v_dual_mul_f32 v20, v45, v57 :: v_dual_mul_f32 v33, v44, v57
	v_dual_mul_f32 v35, v44, v59 :: v_dual_fma_f32 v20, v44, v56, -v20
	s_delay_alu instid0(VALU_DEP_1) | instskip(NEXT) | instid1(VALU_DEP_1)
	v_dual_fmac_f32 v33, v45, v56 :: v_dual_fmac_f32 v35, v45, v58
	v_dual_add_f32 v20, v40, v20 :: v_dual_add_f32 v40, v42, v33
	v_mul_f32_e32 v33, v45, v59
	s_delay_alu instid0(VALU_DEP_1) | instskip(NEXT) | instid1(VALU_DEP_1)
	v_dual_add_f32 v42, v38, v35 :: v_dual_fma_f32 v33, v44, v58, -v33
	v_add_f32_e32 v41, v36, v33
	ds_load_b128 v[36:39], v31 offset:1024
	s_wait_dscnt 0x0
	v_dual_mul_f32 v33, v37, v57 :: v_dual_mul_f32 v35, v36, v57
	s_delay_alu instid0(VALU_DEP_1) | instskip(NEXT) | instid1(VALU_DEP_1)
	v_dual_fma_f32 v33, v36, v56, -v33 :: v_dual_fmac_f32 v35, v37, v56
	v_dual_add_f32 v43, v32, v33 :: v_dual_add_f32 v44, v34, v35
	v_dual_mul_f32 v32, v37, v59 :: v_dual_mul_f32 v33, v36, v59
	s_delay_alu instid0(VALU_DEP_1) | instskip(NEXT) | instid1(VALU_DEP_1)
	v_dual_fma_f32 v32, v36, v58, -v32 :: v_dual_fmac_f32 v33, v37, v58
	v_dual_add_f32 v28, v28, v32 :: v_dual_add_f32 v30, v30, v33
	ds_load_2addr_b64 v[32:35], v29 offset0:32 offset1:48
	s_wait_dscnt 0x0
	v_dual_mul_f32 v36, v47, v33 :: v_dual_mul_f32 v37, v46, v33
	s_delay_alu instid0(VALU_DEP_1) | instskip(NEXT) | instid1(VALU_DEP_1)
	v_dual_fma_f32 v36, v46, v32, -v36 :: v_dual_fmac_f32 v37, v47, v32
	v_add_f32_e32 v20, v20, v36
	s_delay_alu instid0(VALU_DEP_2) | instskip(NEXT) | instid1(VALU_DEP_1)
	v_dual_add_f32 v36, v40, v37 :: v_dual_mul_f32 v37, v47, v35
	v_dual_fma_f32 v37, v46, v34, -v37 :: v_dual_mul_f32 v40, v46, v35
	s_delay_alu instid0(VALU_DEP_1) | instskip(SKIP_1) | instid1(VALU_DEP_1)
	v_add_f32_e32 v37, v41, v37
	v_dual_mul_f32 v41, v39, v33 :: v_dual_mul_f32 v33, v38, v33
	v_dual_fmac_f32 v40, v47, v34 :: v_dual_fma_f32 v41, v38, v32, -v41
	s_delay_alu instid0(VALU_DEP_2) | instskip(NEXT) | instid1(VALU_DEP_2)
	v_dual_fmac_f32 v33, v39, v32 :: v_dual_mul_f32 v32, v39, v35
	v_dual_add_f32 v40, v42, v40 :: v_dual_add_f32 v41, v43, v41
	s_delay_alu instid0(VALU_DEP_2) | instskip(NEXT) | instid1(VALU_DEP_1)
	v_dual_add_f32 v42, v44, v33 :: v_dual_fma_f32 v32, v38, v34, -v32
	v_dual_mul_f32 v33, v38, v35 :: v_dual_add_f32 v28, v28, v32
	s_delay_alu instid0(VALU_DEP_1) | instskip(NEXT) | instid1(VALU_DEP_1)
	v_fmac_f32_e32 v33, v39, v34
	v_add_f32_e32 v30, v30, v33
	ds_load_2addr_b64 v[32:35], v29 offset0:64 offset1:80
	s_wait_dscnt 0x0
	v_dual_mul_f32 v38, v49, v33 :: v_dual_mul_f32 v39, v48, v33
	s_delay_alu instid0(VALU_DEP_1) | instskip(NEXT) | instid1(VALU_DEP_1)
	v_dual_fma_f32 v38, v48, v32, -v38 :: v_dual_fmac_f32 v39, v49, v32
	v_add_f32_e32 v20, v20, v38
	v_mul_f32_e32 v38, v48, v35
	s_delay_alu instid0(VALU_DEP_3) | instskip(SKIP_1) | instid1(VALU_DEP_1)
	v_add_f32_e32 v43, v36, v39
	v_mul_f32_e32 v36, v49, v35
	v_fma_f32 v36, v48, v34, -v36
	s_delay_alu instid0(VALU_DEP_1) | instskip(SKIP_1) | instid1(VALU_DEP_1)
	v_add_f32_e32 v44, v37, v36
	v_fmac_f32_e32 v38, v49, v34
	v_add_f32_e32 v40, v40, v38
	ds_load_b128 v[36:39], v31 offset:1040
	s_wait_dscnt 0x0
	v_dual_mul_f32 v45, v37, v33 :: v_dual_mul_f32 v33, v36, v33
	s_delay_alu instid0(VALU_DEP_1) | instskip(NEXT) | instid1(VALU_DEP_2)
	v_fma_f32 v45, v36, v32, -v45
	v_dual_fmac_f32 v33, v37, v32 :: v_dual_mul_f32 v32, v37, v35
	s_delay_alu instid0(VALU_DEP_2) | instskip(NEXT) | instid1(VALU_DEP_2)
	v_add_f32_e32 v41, v41, v45
	v_dual_add_f32 v42, v42, v33 :: v_dual_mul_f32 v33, v36, v35
	s_delay_alu instid0(VALU_DEP_1) | instskip(NEXT) | instid1(VALU_DEP_1)
	v_dual_fma_f32 v32, v36, v34, -v32 :: v_dual_fmac_f32 v33, v37, v34
	v_dual_add_f32 v28, v28, v32 :: v_dual_add_f32 v30, v30, v33
	ds_load_2addr_b64 v[32:35], v29 offset0:96 offset1:112
	s_wait_dscnt 0x0
	v_mul_f32_e32 v36, v51, v33
	s_delay_alu instid0(VALU_DEP_1) | instskip(NEXT) | instid1(VALU_DEP_1)
	v_dual_fma_f32 v36, v50, v32, -v36 :: v_dual_mul_f32 v37, v50, v33
	v_add_f32_e32 v20, v20, v36
	s_delay_alu instid0(VALU_DEP_2) | instskip(NEXT) | instid1(VALU_DEP_1)
	v_fmac_f32_e32 v37, v51, v32
	v_dual_add_f32 v36, v43, v37 :: v_dual_mul_f32 v43, v50, v35
	s_delay_alu instid0(VALU_DEP_1) | instskip(NEXT) | instid1(VALU_DEP_1)
	v_dual_mul_f32 v37, v51, v35 :: v_dual_fmac_f32 v43, v51, v34
	v_dual_fma_f32 v37, v50, v34, -v37 :: v_dual_add_f32 v40, v40, v43
	v_mul_f32_e32 v43, v39, v33
	s_delay_alu instid0(VALU_DEP_1) | instskip(NEXT) | instid1(VALU_DEP_1)
	v_dual_add_f32 v37, v44, v37 :: v_dual_fma_f32 v43, v38, v32, -v43
	v_dual_mul_f32 v33, v38, v33 :: v_dual_add_f32 v41, v41, v43
	s_delay_alu instid0(VALU_DEP_1) | instskip(NEXT) | instid1(VALU_DEP_1)
	v_dual_fmac_f32 v33, v39, v32 :: v_dual_mul_f32 v32, v39, v35
	v_add_f32_e32 v42, v42, v33
	s_delay_alu instid0(VALU_DEP_2) | instskip(NEXT) | instid1(VALU_DEP_1)
	v_dual_fma_f32 v32, v38, v34, -v32 :: v_dual_mul_f32 v33, v38, v35
	v_dual_fmac_f32 v33, v39, v34 :: v_dual_add_f32 v28, v28, v32
	s_delay_alu instid0(VALU_DEP_1) | instskip(SKIP_3) | instid1(VALU_DEP_1)
	v_add_f32_e32 v30, v30, v33
	ds_load_2addr_b64 v[32:35], v29 offset0:128 offset1:144
	s_wait_dscnt 0x0
	v_dual_mul_f32 v38, v53, v33 :: v_dual_mul_f32 v39, v52, v33
	v_dual_fma_f32 v38, v52, v32, -v38 :: v_dual_fmac_f32 v39, v53, v32
	s_delay_alu instid0(VALU_DEP_1) | instskip(SKIP_1) | instid1(VALU_DEP_3)
	v_add_f32_e32 v20, v20, v38
	v_mul_f32_e32 v38, v52, v35
	v_add_f32_e32 v43, v36, v39
	v_mul_f32_e32 v36, v53, v35
	s_delay_alu instid0(VALU_DEP_1) | instskip(NEXT) | instid1(VALU_DEP_1)
	v_fma_f32 v36, v52, v34, -v36
	v_add_f32_e32 v44, v37, v36
	v_fmac_f32_e32 v38, v53, v34
	s_delay_alu instid0(VALU_DEP_1) | instskip(SKIP_3) | instid1(VALU_DEP_1)
	v_add_f32_e32 v40, v40, v38
	ds_load_b128 v[36:39], v31 offset:1056
	s_wait_dscnt 0x0
	v_dual_mul_f32 v45, v37, v33 :: v_dual_mul_f32 v33, v36, v33
	v_fma_f32 v45, v36, v32, -v45
	s_delay_alu instid0(VALU_DEP_2) | instskip(NEXT) | instid1(VALU_DEP_2)
	v_dual_fmac_f32 v33, v37, v32 :: v_dual_mul_f32 v32, v37, v35
	v_add_f32_e32 v41, v41, v45
	s_delay_alu instid0(VALU_DEP_2) | instskip(NEXT) | instid1(VALU_DEP_1)
	v_dual_add_f32 v42, v42, v33 :: v_dual_mul_f32 v33, v36, v35
	v_dual_fma_f32 v32, v36, v34, -v32 :: v_dual_fmac_f32 v33, v37, v34
	s_delay_alu instid0(VALU_DEP_1) | instskip(SKIP_3) | instid1(VALU_DEP_1)
	v_dual_add_f32 v28, v28, v32 :: v_dual_add_f32 v30, v30, v33
	ds_load_2addr_b64 v[32:35], v29 offset0:160 offset1:176
	s_wait_dscnt 0x0
	v_mul_f32_e32 v36, v55, v33
	v_dual_fma_f32 v36, v54, v32, -v36 :: v_dual_mul_f32 v37, v54, v33
	s_delay_alu instid0(VALU_DEP_1) | instskip(NEXT) | instid1(VALU_DEP_2)
	v_add_f32_e32 v20, v20, v36
	v_fmac_f32_e32 v37, v55, v32
	s_delay_alu instid0(VALU_DEP_1) | instskip(NEXT) | instid1(VALU_DEP_1)
	v_dual_add_f32 v36, v43, v37 :: v_dual_mul_f32 v43, v54, v35
	v_dual_mul_f32 v37, v55, v35 :: v_dual_fmac_f32 v43, v55, v34
	s_delay_alu instid0(VALU_DEP_1) | instskip(SKIP_1) | instid1(VALU_DEP_1)
	v_dual_fma_f32 v37, v54, v34, -v37 :: v_dual_add_f32 v40, v40, v43
	v_mul_f32_e32 v43, v39, v33
	v_dual_add_f32 v37, v44, v37 :: v_dual_fma_f32 v43, v38, v32, -v43
	s_delay_alu instid0(VALU_DEP_1) | instskip(NEXT) | instid1(VALU_DEP_1)
	v_dual_mul_f32 v33, v38, v33 :: v_dual_add_f32 v41, v41, v43
	v_dual_fmac_f32 v33, v39, v32 :: v_dual_mul_f32 v32, v39, v35
	s_delay_alu instid0(VALU_DEP_1) | instskip(NEXT) | instid1(VALU_DEP_2)
	v_add_f32_e32 v46, v42, v33
	v_dual_fma_f32 v32, v38, v34, -v32 :: v_dual_mul_f32 v33, v38, v35
	ds_load_b128 v[42:45], v31 offset:1072
	v_dual_fmac_f32 v33, v39, v34 :: v_dual_add_f32 v28, v28, v32
	s_delay_alu instid0(VALU_DEP_1) | instskip(SKIP_3) | instid1(VALU_DEP_1)
	v_add_f32_e32 v30, v30, v33
	ds_load_2addr_b64 v[32:35], v29 offset0:192 offset1:208
	s_wait_dscnt 0x0
	v_dual_mul_f32 v38, v1, v33 :: v_dual_mul_f32 v39, v0, v33
	v_dual_fma_f32 v38, v0, v32, -v38 :: v_dual_fmac_f32 v39, v1, v32
	s_delay_alu instid0(VALU_DEP_1) | instskip(NEXT) | instid1(VALU_DEP_1)
	v_dual_add_f32 v20, v20, v38 :: v_dual_mul_f32 v38, v1, v35
	v_dual_fma_f32 v38, v0, v34, -v38 :: v_dual_mul_f32 v0, v0, v35
	s_delay_alu instid0(VALU_DEP_1) | instskip(NEXT) | instid1(VALU_DEP_2)
	v_dual_add_f32 v36, v36, v39 :: v_dual_fmac_f32 v0, v1, v34
	v_dual_add_f32 v1, v37, v38 :: v_dual_mul_f32 v37, v43, v33
	s_delay_alu instid0(VALU_DEP_2) | instskip(NEXT) | instid1(VALU_DEP_2)
	v_dual_mul_f32 v33, v42, v33 :: v_dual_add_f32 v0, v40, v0
	v_fma_f32 v37, v42, v32, -v37
	s_delay_alu instid0(VALU_DEP_1) | instskip(NEXT) | instid1(VALU_DEP_1)
	v_dual_fmac_f32 v33, v43, v32 :: v_dual_add_f32 v32, v41, v37
	v_dual_add_f32 v33, v46, v33 :: v_dual_mul_f32 v37, v43, v35
	ds_load_2addr_b64 v[46:49], v29 offset0:224 offset1:240
	v_mul_f32_e32 v35, v42, v35
	s_wait_dscnt 0x0
	s_barrier_signal -1
	v_fma_f32 v37, v42, v34, -v37
	s_barrier_wait -1
	v_fmac_f32_e32 v35, v43, v34
	s_delay_alu instid0(VALU_DEP_1) | instskip(SKIP_1) | instid1(VALU_DEP_1)
	v_dual_add_f32 v28, v28, v37 :: v_dual_add_f32 v30, v30, v35
	v_dual_mul_f32 v34, v3, v47 :: v_dual_mul_f32 v35, v2, v47
	v_dual_fma_f32 v34, v2, v46, -v34 :: v_dual_fmac_f32 v35, v3, v46
	s_delay_alu instid0(VALU_DEP_1) | instskip(NEXT) | instid1(VALU_DEP_1)
	v_dual_add_f32 v40, v20, v34 :: v_dual_mul_f32 v20, v3, v49
	v_dual_add_f32 v42, v36, v35 :: v_dual_fma_f32 v20, v2, v48, -v20
	s_delay_alu instid0(VALU_DEP_1) | instskip(NEXT) | instid1(VALU_DEP_1)
	v_dual_mul_f32 v2, v2, v49 :: v_dual_add_f32 v36, v1, v20
	v_dual_fmac_f32 v2, v3, v48 :: v_dual_mul_f32 v1, v44, v47
	s_delay_alu instid0(VALU_DEP_1) | instskip(NEXT) | instid1(VALU_DEP_2)
	v_fmac_f32_e32 v1, v45, v46
	v_dual_add_f32 v38, v0, v2 :: v_dual_mul_f32 v0, v45, v47
	s_delay_alu instid0(VALU_DEP_2) | instskip(NEXT) | instid1(VALU_DEP_2)
	v_add_f32_e32 v34, v33, v1
	v_dual_mul_f32 v1, v44, v49 :: v_dual_fma_f32 v0, v44, v46, -v0
	s_delay_alu instid0(VALU_DEP_1) | instskip(NEXT) | instid1(VALU_DEP_2)
	v_fmac_f32_e32 v1, v45, v48
	v_dual_add_f32 v32, v32, v0 :: v_dual_mul_f32 v0, v45, v49
	s_delay_alu instid0(VALU_DEP_1) | instskip(NEXT) | instid1(VALU_DEP_1)
	v_dual_add_f32 v30, v30, v1 :: v_dual_fma_f32 v0, v44, v48, -v0
	v_add_f32_e32 v28, v28, v0
	s_cbranch_vccz .LBB249_18
.LBB249_9:                              ;   Parent Loop BB249_6 Depth=1
                                        ; =>  This Inner Loop Header: Depth=2
	s_mov_b32 s33, 0
	s_mov_b32 s35, s16
	s_and_saveexec_b32 s34, s0
; %bb.10:                               ;   in Loop: Header=BB249_9 Depth=2
	v_add_nc_u32_e32 v20, s10, v6
	s_and_not1_b32 s35, s16, exec_lo
	s_mov_b32 s33, exec_lo
	s_delay_alu instid0(VALU_DEP_1) | instskip(SKIP_2) | instid1(SALU_CYCLE_1)
	v_cmp_le_u64_e32 vcc_lo, s[12:13], v[20:21]
	v_mov_b64_e32 v[22:23], v[20:21]
	s_and_b32 s36, vcc_lo, exec_lo
	s_or_b32 s35, s35, s36
; %bb.11:                               ;   in Loop: Header=BB249_9 Depth=2
	s_or_b32 exec_lo, exec_lo, s34
	s_and_saveexec_b32 s34, s35
	s_delay_alu instid0(SALU_CYCLE_1)
	s_xor_b32 s34, exec_lo, s34
; %bb.12:                               ;   in Loop: Header=BB249_9 Depth=2
	s_and_not1_b32 s33, s33, exec_lo
	ds_store_b32 v5, v21
; %bb.13:                               ;   in Loop: Header=BB249_9 Depth=2
	s_or_b32 exec_lo, exec_lo, s34
	v_dual_mov_b32 v0, 0 :: v_dual_mov_b32 v2, 0
	s_and_saveexec_b32 s34, s33
	s_cbranch_execz .LBB249_15
; %bb.14:                               ;   in Loop: Header=BB249_9 Depth=2
	v_lshl_add_u64 v[2:3], v[22:23], 3, v[24:25]
	global_load_b64 v[44:45], v[2:3], off
	s_wait_loadcnt 0x0
	s_wait_xcnt 0x0
	v_xor_b32_e32 v2, 0x80000000, v45
	ds_store_b32 v5, v44
.LBB249_15:                             ;   in Loop: Header=BB249_9 Depth=2
	s_or_b32 exec_lo, exec_lo, s34
	v_dual_mov_b32 v1, 0 :: v_dual_add_nc_u32 v20, s10, v4
	ds_store_b32 v5, v2 offset:4
	v_cmp_gt_u64_e32 vcc_lo, s[12:13], v[20:21]
	s_and_b32 s34, vcc_lo, s1
	s_delay_alu instid0(SALU_CYCLE_1)
	s_and_saveexec_b32 s33, s34
	s_cbranch_execz .LBB249_8
; %bb.16:                               ;   in Loop: Header=BB249_9 Depth=2
	v_lshl_add_u64 v[0:1], v[20:21], 3, v[26:27]
	global_load_b64 v[0:1], v[0:1], off
	s_branch .LBB249_8
.LBB249_17:                             ;   in Loop: Header=BB249_6 Depth=1
	v_dual_mov_b32 v40, v21 :: v_dual_mov_b32 v42, v21
	v_dual_mov_b32 v36, v21 :: v_dual_mov_b32 v38, v21
	;; [unrolled: 1-line block ×4, first 2 shown]
.LBB249_18:                             ;   in Loop: Header=BB249_6 Depth=1
	s_wait_kmcnt 0x0
	s_mul_u64 s[10:11], s[6:7], s[26:27]
	s_delay_alu instid0(SALU_CYCLE_1) | instskip(NEXT) | instid1(SALU_CYCLE_1)
	s_lshl_b64 s[10:11], s[10:11], 3
	s_add_nc_u64 s[10:11], s[20:21], s[10:11]
	s_delay_alu instid0(SALU_CYCLE_1)
	v_lshl_add_u64 v[0:1], v[10:11], 3, s[10:11]
	s_and_saveexec_b32 s33, s22
	s_cbranch_execz .LBB249_23
; %bb.19:                               ;   in Loop: Header=BB249_6 Depth=1
	v_mov_b64_e32 v[2:3], s[4:5]
	v_mov_b64_e32 v[24:25], s[14:15]
	s_and_b32 vcc_lo, exec_lo, s17
	s_mov_b32 s34, -1
	s_delay_alu instid0(VALU_DEP_2) | instskip(NEXT) | instid1(VALU_DEP_1)
	v_pk_mul_f32 v[2:3], v[42:43], v[2:3] op_sel_hi:[0,1]
	v_pk_fma_f32 v[26:27], v[40:41], v[24:25], v[2:3] op_sel_hi:[0,1,1]
	v_pk_fma_f32 v[2:3], v[40:41], v[24:25], v[2:3] neg_lo:[0,0,1] neg_hi:[0,0,1]
	v_lshl_add_u64 v[24:25], v[8:9], 3, v[0:1]
	s_delay_alu instid0(VALU_DEP_3)
	v_mov_b32_e32 v3, v27
	s_cbranch_vccz .LBB249_21
; %bb.20:                               ;   in Loop: Header=BB249_6 Depth=1
	global_load_b64 v[26:27], v[24:25], off
	v_mov_b64_e32 v[40:41], s[24:25]
	v_mov_b64_e32 v[42:43], s[2:3]
	s_mov_b32 s34, 0
	s_wait_loadcnt 0x0
	s_delay_alu instid0(VALU_DEP_2) | instskip(NEXT) | instid1(VALU_DEP_1)
	v_pk_mul_f32 v[40:41], v[26:27], v[40:41]
	v_pk_fma_f32 v[44:45], v[26:27], v[42:43], v[40:41] op_sel:[0,0,1] op_sel_hi:[1,1,0]
	v_pk_fma_f32 v[26:27], v[26:27], v[42:43], v[40:41] op_sel:[0,0,1] op_sel_hi:[1,1,0] neg_lo:[0,0,1] neg_hi:[0,0,1]
	s_delay_alu instid0(VALU_DEP_2) | instskip(NEXT) | instid1(VALU_DEP_1)
	v_mov_b32_e32 v27, v45
	v_pk_add_f32 v[26:27], v[2:3], v[26:27]
	global_store_b64 v[24:25], v[26:27], off
.LBB249_21:                             ;   in Loop: Header=BB249_6 Depth=1
	s_and_not1_b32 vcc_lo, exec_lo, s34
	s_cbranch_vccnz .LBB249_23
; %bb.22:                               ;   in Loop: Header=BB249_6 Depth=1
	global_store_b64 v[24:25], v[2:3], off
.LBB249_23:                             ;   in Loop: Header=BB249_6 Depth=1
	s_wait_xcnt 0x0
	s_or_b32 exec_lo, exec_lo, s33
	s_and_saveexec_b32 s33, s23
	s_cbranch_execz .LBB249_28
; %bb.24:                               ;   in Loop: Header=BB249_6 Depth=1
	v_mov_b64_e32 v[2:3], s[4:5]
	v_mov_b64_e32 v[24:25], s[14:15]
	v_lshl_add_u64 v[0:1], v[18:19], 3, v[0:1]
	s_and_not1_b32 vcc_lo, exec_lo, s17
	s_mov_b32 s34, -1
	s_delay_alu instid0(VALU_DEP_3) | instskip(NEXT) | instid1(VALU_DEP_1)
	v_pk_mul_f32 v[2:3], v[38:39], v[2:3] op_sel_hi:[0,1]
	v_pk_fma_f32 v[26:27], v[36:37], v[24:25], v[2:3] op_sel_hi:[0,1,1]
	v_pk_fma_f32 v[2:3], v[36:37], v[24:25], v[2:3] neg_lo:[0,0,1] neg_hi:[0,0,1]
	s_delay_alu instid0(VALU_DEP_2)
	v_mov_b32_e32 v3, v27
	s_cbranch_vccnz .LBB249_26
; %bb.25:                               ;   in Loop: Header=BB249_6 Depth=1
	global_load_b64 v[24:25], v[0:1], off
	v_mov_b64_e32 v[26:27], s[24:25]
	v_mov_b64_e32 v[36:37], s[2:3]
	s_mov_b32 s34, 0
	s_wait_loadcnt 0x0
	s_delay_alu instid0(VALU_DEP_2) | instskip(NEXT) | instid1(VALU_DEP_1)
	v_pk_mul_f32 v[26:27], v[24:25], v[26:27]
	v_pk_fma_f32 v[38:39], v[24:25], v[36:37], v[26:27] op_sel:[0,0,1] op_sel_hi:[1,1,0]
	v_pk_fma_f32 v[24:25], v[24:25], v[36:37], v[26:27] op_sel:[0,0,1] op_sel_hi:[1,1,0] neg_lo:[0,0,1] neg_hi:[0,0,1]
	s_delay_alu instid0(VALU_DEP_2) | instskip(NEXT) | instid1(VALU_DEP_1)
	v_mov_b32_e32 v25, v39
	v_pk_add_f32 v[24:25], v[2:3], v[24:25]
	global_store_b64 v[0:1], v[24:25], off
.LBB249_26:                             ;   in Loop: Header=BB249_6 Depth=1
	s_and_not1_b32 vcc_lo, exec_lo, s34
	s_cbranch_vccnz .LBB249_28
; %bb.27:                               ;   in Loop: Header=BB249_6 Depth=1
	global_store_b64 v[0:1], v[2:3], off
.LBB249_28:                             ;   in Loop: Header=BB249_6 Depth=1
	s_wait_xcnt 0x0
	s_or_b32 exec_lo, exec_lo, s33
	v_lshl_add_u64 v[0:1], v[12:13], 3, s[10:11]
	s_and_saveexec_b32 s10, s29
	s_cbranch_execz .LBB249_33
; %bb.29:                               ;   in Loop: Header=BB249_6 Depth=1
	v_mov_b64_e32 v[2:3], s[4:5]
	v_mov_b64_e32 v[24:25], s[14:15]
	s_and_not1_b32 vcc_lo, exec_lo, s17
	s_mov_b32 s11, -1
	s_delay_alu instid0(VALU_DEP_2) | instskip(NEXT) | instid1(VALU_DEP_1)
	v_pk_mul_f32 v[2:3], v[34:35], v[2:3] op_sel_hi:[0,1]
	v_pk_fma_f32 v[26:27], v[32:33], v[24:25], v[2:3] op_sel_hi:[0,1,1]
	v_pk_fma_f32 v[2:3], v[32:33], v[24:25], v[2:3] neg_lo:[0,0,1] neg_hi:[0,0,1]
	v_lshl_add_u64 v[24:25], v[8:9], 3, v[0:1]
	s_delay_alu instid0(VALU_DEP_3)
	v_mov_b32_e32 v3, v27
	s_cbranch_vccnz .LBB249_31
; %bb.30:                               ;   in Loop: Header=BB249_6 Depth=1
	global_load_b64 v[26:27], v[24:25], off
	v_mov_b64_e32 v[32:33], s[24:25]
	v_mov_b64_e32 v[34:35], s[2:3]
	s_mov_b32 s11, 0
	s_wait_loadcnt 0x0
	s_delay_alu instid0(VALU_DEP_2) | instskip(NEXT) | instid1(VALU_DEP_1)
	v_pk_mul_f32 v[32:33], v[26:27], v[32:33]
	v_pk_fma_f32 v[36:37], v[26:27], v[34:35], v[32:33] op_sel:[0,0,1] op_sel_hi:[1,1,0]
	v_pk_fma_f32 v[26:27], v[26:27], v[34:35], v[32:33] op_sel:[0,0,1] op_sel_hi:[1,1,0] neg_lo:[0,0,1] neg_hi:[0,0,1]
	s_delay_alu instid0(VALU_DEP_2) | instskip(NEXT) | instid1(VALU_DEP_1)
	v_mov_b32_e32 v27, v37
	v_pk_add_f32 v[26:27], v[2:3], v[26:27]
	global_store_b64 v[24:25], v[26:27], off
.LBB249_31:                             ;   in Loop: Header=BB249_6 Depth=1
	s_and_not1_b32 vcc_lo, exec_lo, s11
	s_cbranch_vccnz .LBB249_33
; %bb.32:                               ;   in Loop: Header=BB249_6 Depth=1
	global_store_b64 v[24:25], v[2:3], off
.LBB249_33:                             ;   in Loop: Header=BB249_6 Depth=1
	s_wait_xcnt 0x0
	s_or_b32 exec_lo, exec_lo, s10
	s_and_saveexec_b32 s10, s30
	s_cbranch_execz .LBB249_5
; %bb.34:                               ;   in Loop: Header=BB249_6 Depth=1
	v_mov_b64_e32 v[2:3], s[4:5]
	v_mov_b64_e32 v[24:25], s[14:15]
	v_lshl_add_u64 v[0:1], v[18:19], 3, v[0:1]
	s_and_not1_b32 vcc_lo, exec_lo, s17
	s_mov_b32 s11, -1
	s_delay_alu instid0(VALU_DEP_3) | instskip(NEXT) | instid1(VALU_DEP_1)
	v_pk_mul_f32 v[2:3], v[30:31], v[2:3] op_sel_hi:[0,1]
	v_pk_fma_f32 v[26:27], v[28:29], v[24:25], v[2:3] op_sel_hi:[0,1,1]
	v_pk_fma_f32 v[2:3], v[28:29], v[24:25], v[2:3] neg_lo:[0,0,1] neg_hi:[0,0,1]
	s_delay_alu instid0(VALU_DEP_2)
	v_mov_b32_e32 v3, v27
	s_cbranch_vccnz .LBB249_36
; %bb.35:                               ;   in Loop: Header=BB249_6 Depth=1
	global_load_b64 v[24:25], v[0:1], off
	v_mov_b64_e32 v[26:27], s[24:25]
	v_mov_b64_e32 v[32:33], s[2:3]
	s_mov_b32 s11, 0
	s_wait_loadcnt 0x0
	s_delay_alu instid0(VALU_DEP_2) | instskip(NEXT) | instid1(VALU_DEP_1)
	v_pk_mul_f32 v[26:27], v[24:25], v[26:27]
	v_pk_fma_f32 v[34:35], v[24:25], v[32:33], v[26:27] op_sel:[0,0,1] op_sel_hi:[1,1,0]
	v_pk_fma_f32 v[24:25], v[24:25], v[32:33], v[26:27] op_sel:[0,0,1] op_sel_hi:[1,1,0] neg_lo:[0,0,1] neg_hi:[0,0,1]
	s_delay_alu instid0(VALU_DEP_2) | instskip(NEXT) | instid1(VALU_DEP_1)
	v_mov_b32_e32 v25, v35
	v_pk_add_f32 v[24:25], v[2:3], v[24:25]
	global_store_b64 v[0:1], v[24:25], off
.LBB249_36:                             ;   in Loop: Header=BB249_6 Depth=1
	s_and_not1_b32 vcc_lo, exec_lo, s11
	s_cbranch_vccnz .LBB249_5
; %bb.37:                               ;   in Loop: Header=BB249_6 Depth=1
	global_store_b64 v[0:1], v[2:3], off
	s_branch .LBB249_5
.LBB249_38:
	s_endpgm
	.section	.rodata,"a",@progbits
	.p2align	6, 0x0
	.amdhsa_kernel _ZL29rocblas_internal_gemmt_kernelIlLi16ELi32ELi8ELc67ELc78ELc76ELb1ELb0E19rocblas_complex_numIfES1_PKS1_PS1_EviT_T9_T10_S5_lS7_S5_lS6_T11_S5_li
		.amdhsa_group_segment_fixed_size 4096
		.amdhsa_private_segment_fixed_size 0
		.amdhsa_kernarg_size 108
		.amdhsa_user_sgpr_count 2
		.amdhsa_user_sgpr_dispatch_ptr 0
		.amdhsa_user_sgpr_queue_ptr 0
		.amdhsa_user_sgpr_kernarg_segment_ptr 1
		.amdhsa_user_sgpr_dispatch_id 0
		.amdhsa_user_sgpr_kernarg_preload_length 0
		.amdhsa_user_sgpr_kernarg_preload_offset 0
		.amdhsa_user_sgpr_private_segment_size 0
		.amdhsa_wavefront_size32 1
		.amdhsa_uses_dynamic_stack 0
		.amdhsa_enable_private_segment 0
		.amdhsa_system_sgpr_workgroup_id_x 1
		.amdhsa_system_sgpr_workgroup_id_y 1
		.amdhsa_system_sgpr_workgroup_id_z 1
		.amdhsa_system_sgpr_workgroup_info 0
		.amdhsa_system_vgpr_workitem_id 1
		.amdhsa_next_free_vgpr 60
		.amdhsa_next_free_sgpr 37
		.amdhsa_named_barrier_count 0
		.amdhsa_reserve_vcc 1
		.amdhsa_float_round_mode_32 0
		.amdhsa_float_round_mode_16_64 0
		.amdhsa_float_denorm_mode_32 3
		.amdhsa_float_denorm_mode_16_64 3
		.amdhsa_fp16_overflow 0
		.amdhsa_memory_ordered 1
		.amdhsa_forward_progress 1
		.amdhsa_inst_pref_size 26
		.amdhsa_round_robin_scheduling 0
		.amdhsa_exception_fp_ieee_invalid_op 0
		.amdhsa_exception_fp_denorm_src 0
		.amdhsa_exception_fp_ieee_div_zero 0
		.amdhsa_exception_fp_ieee_overflow 0
		.amdhsa_exception_fp_ieee_underflow 0
		.amdhsa_exception_fp_ieee_inexact 0
		.amdhsa_exception_int_div_zero 0
	.end_amdhsa_kernel
	.section	.text._ZL29rocblas_internal_gemmt_kernelIlLi16ELi32ELi8ELc67ELc78ELc76ELb1ELb0E19rocblas_complex_numIfES1_PKS1_PS1_EviT_T9_T10_S5_lS7_S5_lS6_T11_S5_li,"axG",@progbits,_ZL29rocblas_internal_gemmt_kernelIlLi16ELi32ELi8ELc67ELc78ELc76ELb1ELb0E19rocblas_complex_numIfES1_PKS1_PS1_EviT_T9_T10_S5_lS7_S5_lS6_T11_S5_li,comdat
.Lfunc_end249:
	.size	_ZL29rocblas_internal_gemmt_kernelIlLi16ELi32ELi8ELc67ELc78ELc76ELb1ELb0E19rocblas_complex_numIfES1_PKS1_PS1_EviT_T9_T10_S5_lS7_S5_lS6_T11_S5_li, .Lfunc_end249-_ZL29rocblas_internal_gemmt_kernelIlLi16ELi32ELi8ELc67ELc78ELc76ELb1ELb0E19rocblas_complex_numIfES1_PKS1_PS1_EviT_T9_T10_S5_lS7_S5_lS6_T11_S5_li
                                        ; -- End function
	.set _ZL29rocblas_internal_gemmt_kernelIlLi16ELi32ELi8ELc67ELc78ELc76ELb1ELb0E19rocblas_complex_numIfES1_PKS1_PS1_EviT_T9_T10_S5_lS7_S5_lS6_T11_S5_li.num_vgpr, 60
	.set _ZL29rocblas_internal_gemmt_kernelIlLi16ELi32ELi8ELc67ELc78ELc76ELb1ELb0E19rocblas_complex_numIfES1_PKS1_PS1_EviT_T9_T10_S5_lS7_S5_lS6_T11_S5_li.num_agpr, 0
	.set _ZL29rocblas_internal_gemmt_kernelIlLi16ELi32ELi8ELc67ELc78ELc76ELb1ELb0E19rocblas_complex_numIfES1_PKS1_PS1_EviT_T9_T10_S5_lS7_S5_lS6_T11_S5_li.numbered_sgpr, 37
	.set _ZL29rocblas_internal_gemmt_kernelIlLi16ELi32ELi8ELc67ELc78ELc76ELb1ELb0E19rocblas_complex_numIfES1_PKS1_PS1_EviT_T9_T10_S5_lS7_S5_lS6_T11_S5_li.num_named_barrier, 0
	.set _ZL29rocblas_internal_gemmt_kernelIlLi16ELi32ELi8ELc67ELc78ELc76ELb1ELb0E19rocblas_complex_numIfES1_PKS1_PS1_EviT_T9_T10_S5_lS7_S5_lS6_T11_S5_li.private_seg_size, 0
	.set _ZL29rocblas_internal_gemmt_kernelIlLi16ELi32ELi8ELc67ELc78ELc76ELb1ELb0E19rocblas_complex_numIfES1_PKS1_PS1_EviT_T9_T10_S5_lS7_S5_lS6_T11_S5_li.uses_vcc, 1
	.set _ZL29rocblas_internal_gemmt_kernelIlLi16ELi32ELi8ELc67ELc78ELc76ELb1ELb0E19rocblas_complex_numIfES1_PKS1_PS1_EviT_T9_T10_S5_lS7_S5_lS6_T11_S5_li.uses_flat_scratch, 0
	.set _ZL29rocblas_internal_gemmt_kernelIlLi16ELi32ELi8ELc67ELc78ELc76ELb1ELb0E19rocblas_complex_numIfES1_PKS1_PS1_EviT_T9_T10_S5_lS7_S5_lS6_T11_S5_li.has_dyn_sized_stack, 0
	.set _ZL29rocblas_internal_gemmt_kernelIlLi16ELi32ELi8ELc67ELc78ELc76ELb1ELb0E19rocblas_complex_numIfES1_PKS1_PS1_EviT_T9_T10_S5_lS7_S5_lS6_T11_S5_li.has_recursion, 0
	.set _ZL29rocblas_internal_gemmt_kernelIlLi16ELi32ELi8ELc67ELc78ELc76ELb1ELb0E19rocblas_complex_numIfES1_PKS1_PS1_EviT_T9_T10_S5_lS7_S5_lS6_T11_S5_li.has_indirect_call, 0
	.section	.AMDGPU.csdata,"",@progbits
; Kernel info:
; codeLenInByte = 3248
; TotalNumSgprs: 39
; NumVgprs: 60
; ScratchSize: 0
; MemoryBound: 0
; FloatMode: 240
; IeeeMode: 1
; LDSByteSize: 4096 bytes/workgroup (compile time only)
; SGPRBlocks: 0
; VGPRBlocks: 3
; NumSGPRsForWavesPerEU: 39
; NumVGPRsForWavesPerEU: 60
; NamedBarCnt: 0
; Occupancy: 16
; WaveLimiterHint : 0
; COMPUTE_PGM_RSRC2:SCRATCH_EN: 0
; COMPUTE_PGM_RSRC2:USER_SGPR: 2
; COMPUTE_PGM_RSRC2:TRAP_HANDLER: 0
; COMPUTE_PGM_RSRC2:TGID_X_EN: 1
; COMPUTE_PGM_RSRC2:TGID_Y_EN: 1
; COMPUTE_PGM_RSRC2:TGID_Z_EN: 1
; COMPUTE_PGM_RSRC2:TIDIG_COMP_CNT: 1
	.section	.text._ZL29rocblas_internal_gemmt_kernelIlLi16ELi32ELi8ELc67ELc84ELc76ELb1ELb0E19rocblas_complex_numIfES1_PKS1_PS1_EviT_T9_T10_S5_lS7_S5_lS6_T11_S5_li,"axG",@progbits,_ZL29rocblas_internal_gemmt_kernelIlLi16ELi32ELi8ELc67ELc84ELc76ELb1ELb0E19rocblas_complex_numIfES1_PKS1_PS1_EviT_T9_T10_S5_lS7_S5_lS6_T11_S5_li,comdat
	.globl	_ZL29rocblas_internal_gemmt_kernelIlLi16ELi32ELi8ELc67ELc84ELc76ELb1ELb0E19rocblas_complex_numIfES1_PKS1_PS1_EviT_T9_T10_S5_lS7_S5_lS6_T11_S5_li ; -- Begin function _ZL29rocblas_internal_gemmt_kernelIlLi16ELi32ELi8ELc67ELc84ELc76ELb1ELb0E19rocblas_complex_numIfES1_PKS1_PS1_EviT_T9_T10_S5_lS7_S5_lS6_T11_S5_li
	.p2align	8
	.type	_ZL29rocblas_internal_gemmt_kernelIlLi16ELi32ELi8ELc67ELc84ELc76ELb1ELb0E19rocblas_complex_numIfES1_PKS1_PS1_EviT_T9_T10_S5_lS7_S5_lS6_T11_S5_li,@function
_ZL29rocblas_internal_gemmt_kernelIlLi16ELi32ELi8ELc67ELc84ELc76ELb1ELb0E19rocblas_complex_numIfES1_PKS1_PS1_EviT_T9_T10_S5_lS7_S5_lS6_T11_S5_li: ; @_ZL29rocblas_internal_gemmt_kernelIlLi16ELi32ELi8ELc67ELc84ELc76ELb1ELb0E19rocblas_complex_numIfES1_PKS1_PS1_EviT_T9_T10_S5_lS7_S5_lS6_T11_S5_li
; %bb.0:
	s_clause 0x1
	s_load_b64 s[24:25], s[0:1], 0x48
	s_load_b128 s[12:15], s[0:1], 0x8
	s_wait_kmcnt 0x0
	s_cmp_neq_f32 s24, 1.0
	s_cselect_b32 s3, -1, 0
	s_and_b32 s4, s25, 0x7fffffff
	s_delay_alu instid0(SALU_CYCLE_1) | instskip(SKIP_3) | instid1(SALU_CYCLE_1)
	s_cmp_eq_u32 s4, 0
	s_cselect_b32 s2, -1, 0
	s_cmp_lg_u32 s4, 0
	s_cselect_b32 s4, -1, 0
	s_or_b32 s3, s3, s4
	s_delay_alu instid0(SALU_CYCLE_1)
	s_and_b32 vcc_lo, exec_lo, s3
	s_cbranch_vccnz .LBB250_2
; %bb.1:
	s_cmp_lg_u64 s[12:13], 0
	s_cselect_b32 s3, -1, 0
	s_cmp_neq_f32 s14, 0
	s_cselect_b32 s4, -1, 0
	s_cmp_neq_f32 s15, 0
	s_cselect_b32 s5, -1, 0
	s_delay_alu instid0(SALU_CYCLE_1) | instskip(NEXT) | instid1(SALU_CYCLE_1)
	s_or_b32 s4, s4, s5
	s_and_b32 s3, s3, s4
.LBB250_2:
	s_delay_alu instid0(SALU_CYCLE_1)
	s_and_not1_b32 vcc_lo, exec_lo, s3
	s_cbranch_vccnz .LBB250_38
; %bb.3:
	s_load_b32 s30, s[0:1], 0x68
	s_bfe_u32 s3, ttmp6, 0x40014
	s_lshr_b32 s4, ttmp7, 16
	s_add_co_i32 s3, s3, 1
	s_bfe_u32 s6, ttmp6, 0x40008
	s_mul_i32 s5, s4, s3
	s_getreg_b32 s3, hwreg(HW_REG_IB_STS2, 6, 4)
	s_add_co_i32 s6, s6, s5
	s_cmp_eq_u32 s3, 0
	s_mov_b32 s27, 0
	s_cselect_b32 s26, s4, s6
	s_wait_kmcnt 0x0
	s_cmp_ge_u32 s26, s30
	s_cbranch_scc1 .LBB250_38
; %bb.4:
	v_and_b32_e32 v7, 0x3ff, v0
	v_bfe_u32 v9, v0, 10, 10
	s_bfe_u32 s17, ttmp6, 0x4000c
	s_bfe_u32 s18, ttmp6, 0x40010
	s_add_co_i32 s17, s17, 1
	s_and_b32 s19, ttmp7, 0xffff
	s_add_co_i32 s18, s18, 1
	s_load_b256 s[4:11], s[0:1], 0x18
	v_lshl_add_u32 v8, v9, 4, v7
	s_and_b32 s16, ttmp6, 15
	s_mul_i32 s17, ttmp9, s17
	s_mul_i32 s18, s19, s18
	s_bfe_u32 s20, ttmp6, 0x40004
	s_add_co_i32 s16, s16, s17
	s_add_co_i32 s20, s20, s18
	s_cmp_eq_u32 s3, 0
	v_and_b32_e32 v10, 31, v8
	s_cselect_b32 s3, ttmp9, s16
	s_cselect_b32 s31, s19, s20
	s_lshl_b32 s3, s3, 5
	v_dual_lshlrev_b32 v5, 3, v7 :: v_dual_bitop2_b32 v4, 7, v0 bitop3:0x40
	v_or_b32_e32 v2, s3, v10
	s_clause 0x3
	s_load_b32 s33, s[0:1], 0x0
	s_load_b64 s[28:29], s[0:1], 0x60
	s_load_b128 s[16:19], s[0:1], 0x38
	s_load_b128 s[20:23], s[0:1], 0x50
	s_wait_xcnt 0x0
	s_lshl_b32 s0, s31, 5
	v_dual_lshrrev_b32 v6, 5, v8 :: v_dual_lshrrev_b32 v11, 3, v8
	v_dual_ashrrev_i32 v3, 31, v2 :: v_dual_add_nc_u32 v8, s3, v7
	v_dual_add_nc_u32 v20, s0, v9 :: v_dual_lshlrev_b32 v7, 3, v10
	s_delay_alu instid0(VALU_DEP_3) | instskip(SKIP_1) | instid1(VALU_DEP_3)
	v_add_nc_u32_e32 v14, s0, v11
	s_wait_kmcnt 0x0
	v_mul_u64_e32 v[0:1], s[6:7], v[2:3]
	v_lshlrev_b32_e32 v3, 3, v4
	v_dual_add_nc_u32 v22, 16, v20 :: v_dual_ashrrev_i32 v21, 31, v20
	v_add_nc_u32_e32 v18, 16, v8
	s_cmp_neq_f32 s14, 0
	s_delay_alu instid0(VALU_DEP_3) | instskip(NEXT) | instid1(VALU_DEP_3)
	v_lshl_or_b32 v3, v11, 6, v3
	v_ashrrev_i32_e32 v23, 31, v22
	v_ashrrev_i32_e32 v15, 31, v14
	s_cselect_b32 s3, -1, 0
	s_cmp_neq_f32 s15, 0
	v_mul_u64_e32 v[10:11], s[22:23], v[20:21]
	v_mul_u64_e32 v[12:13], s[22:23], v[22:23]
	v_cmp_le_i32_e32 vcc_lo, v20, v8
	s_cselect_b32 s7, -1, 0
	v_cmp_gt_i64_e64 s6, s[12:13], 0
	s_or_b32 s7, s3, s7
	s_cmp_neq_f32 s24, 0
	v_cmp_gt_i32_e64 s1, s33, v14
	v_lshl_add_u32 v31, v9, 6, 0x800
	v_ashrrev_i32_e32 v9, 31, v8
	s_cselect_b32 s3, -1, 0
	v_lshl_add_u64 v[14:15], v[14:15], 3, s[10:11]
	v_cmp_gt_i32_e64 s0, s33, v2
	v_cmp_le_i32_e64 s31, s33, v2
	v_lshl_or_b32 v7, v6, 8, v7
	v_add_nc_u32_e32 v29, 0x800, v3
	v_dual_ashrrev_i32 v19, 31, v18 :: v_dual_mov_b32 v21, 0
	s_and_b32 s34, s7, s6
	v_lshl_add_u64 v[16:17], v[0:1], 3, s[4:5]
	s_xor_b32 s4, s2, -1
	v_cmp_gt_i32_e64 s2, s33, v8
	s_or_b32 s10, s3, s4
	v_cmp_le_i32_e64 s3, v20, v18
	v_cmp_gt_i32_e64 s4, s33, v18
	v_cmp_le_i32_e64 s5, v22, v18
	s_and_b32 s11, vcc_lo, s2
	v_cmp_le_i32_e32 vcc_lo, v22, v8
                                        ; implicit-def: $vgpr22_vgpr23
	s_and_b32 s22, s3, s4
	s_and_b32 s33, s5, s4
	s_mov_b32 s3, s24
	s_and_b32 s23, vcc_lo, s2
	s_mov_b32 s2, s24
	s_mov_b32 s24, s25
	;; [unrolled: 1-line block ×4, first 2 shown]
	s_branch .LBB250_6
.LBB250_5:                              ;   in Loop: Header=BB250_6 Depth=1
	s_wait_xcnt 0x0
	s_or_b32 exec_lo, exec_lo, s6
	s_add_co_i32 s26, s26, 0x10000
	s_delay_alu instid0(SALU_CYCLE_1)
	s_cmp_lt_u32 s26, s30
	s_cbranch_scc0 .LBB250_38
.LBB250_6:                              ; =>This Loop Header: Depth=1
                                        ;     Child Loop BB250_9 Depth 2
	s_and_not1_b32 vcc_lo, exec_lo, s34
	s_cbranch_vccnz .LBB250_17
; %bb.7:                                ;   in Loop: Header=BB250_6 Depth=1
	s_mul_u64 s[6:7], s[8:9], s[26:27]
	s_mul_u64 s[36:37], s[18:19], s[26:27]
	v_lshl_add_u64 v[24:25], s[6:7], 3, v[16:17]
	v_lshl_add_u64 v[26:27], s[36:37], 3, v[14:15]
	v_dual_mov_b32 v30, 0 :: v_dual_mov_b32 v28, 0
	v_dual_mov_b32 v34, 0 :: v_dual_mov_b32 v32, 0
	;; [unrolled: 1-line block ×4, first 2 shown]
	s_mov_b64 s[6:7], 0
	s_branch .LBB250_9
.LBB250_8:                              ;   in Loop: Header=BB250_9 Depth=2
	s_wait_xcnt 0x0
	s_or_b32 exec_lo, exec_lo, s35
	s_wait_loadcnt 0x0
	ds_store_b64 v29, v[0:1]
	s_wait_dscnt 0x0
	s_barrier_signal -1
	s_barrier_wait -1
	ds_load_b128 v[44:47], v31
	ds_load_b128 v[48:51], v31 offset:16
	ds_load_b128 v[52:55], v31 offset:32
	;; [unrolled: 1-line block ×3, first 2 shown]
	ds_load_2addr_b64 v[56:59], v5 offset1:16
	s_add_nc_u64 s[6:7], s[6:7], 8
	s_delay_alu instid0(SALU_CYCLE_1) | instskip(SKIP_3) | instid1(VALU_DEP_1)
	v_cmp_gt_i64_e64 s35, s[12:13], s[6:7]
	s_and_b32 vcc_lo, exec_lo, s35
	s_wait_dscnt 0x0
	v_dual_mul_f32 v20, v45, v57 :: v_dual_mul_f32 v33, v44, v57
	v_dual_mul_f32 v35, v44, v59 :: v_dual_fma_f32 v20, v44, v56, -v20
	s_delay_alu instid0(VALU_DEP_1) | instskip(NEXT) | instid1(VALU_DEP_1)
	v_dual_fmac_f32 v33, v45, v56 :: v_dual_fmac_f32 v35, v45, v58
	v_dual_add_f32 v20, v40, v20 :: v_dual_add_f32 v40, v42, v33
	v_mul_f32_e32 v33, v45, v59
	s_delay_alu instid0(VALU_DEP_1) | instskip(NEXT) | instid1(VALU_DEP_1)
	v_dual_add_f32 v42, v38, v35 :: v_dual_fma_f32 v33, v44, v58, -v33
	v_add_f32_e32 v41, v36, v33
	ds_load_b128 v[36:39], v31 offset:1024
	s_wait_dscnt 0x0
	v_dual_mul_f32 v33, v37, v57 :: v_dual_mul_f32 v35, v36, v57
	s_delay_alu instid0(VALU_DEP_1) | instskip(NEXT) | instid1(VALU_DEP_1)
	v_dual_fma_f32 v33, v36, v56, -v33 :: v_dual_fmac_f32 v35, v37, v56
	v_dual_add_f32 v43, v32, v33 :: v_dual_add_f32 v44, v34, v35
	v_dual_mul_f32 v32, v37, v59 :: v_dual_mul_f32 v33, v36, v59
	s_delay_alu instid0(VALU_DEP_1) | instskip(NEXT) | instid1(VALU_DEP_1)
	v_dual_fma_f32 v32, v36, v58, -v32 :: v_dual_fmac_f32 v33, v37, v58
	v_dual_add_f32 v28, v28, v32 :: v_dual_add_f32 v30, v30, v33
	ds_load_2addr_b64 v[32:35], v5 offset0:32 offset1:48
	s_wait_dscnt 0x0
	v_dual_mul_f32 v36, v47, v33 :: v_dual_mul_f32 v37, v46, v33
	s_delay_alu instid0(VALU_DEP_1) | instskip(NEXT) | instid1(VALU_DEP_1)
	v_dual_fma_f32 v36, v46, v32, -v36 :: v_dual_fmac_f32 v37, v47, v32
	v_add_f32_e32 v20, v20, v36
	s_delay_alu instid0(VALU_DEP_2) | instskip(NEXT) | instid1(VALU_DEP_1)
	v_dual_add_f32 v36, v40, v37 :: v_dual_mul_f32 v37, v47, v35
	v_dual_fma_f32 v37, v46, v34, -v37 :: v_dual_mul_f32 v40, v46, v35
	s_delay_alu instid0(VALU_DEP_1) | instskip(SKIP_1) | instid1(VALU_DEP_1)
	v_add_f32_e32 v37, v41, v37
	v_dual_mul_f32 v41, v39, v33 :: v_dual_mul_f32 v33, v38, v33
	v_dual_fmac_f32 v40, v47, v34 :: v_dual_fma_f32 v41, v38, v32, -v41
	s_delay_alu instid0(VALU_DEP_2) | instskip(NEXT) | instid1(VALU_DEP_2)
	v_dual_fmac_f32 v33, v39, v32 :: v_dual_mul_f32 v32, v39, v35
	v_dual_add_f32 v40, v42, v40 :: v_dual_add_f32 v41, v43, v41
	s_delay_alu instid0(VALU_DEP_2) | instskip(NEXT) | instid1(VALU_DEP_1)
	v_dual_add_f32 v42, v44, v33 :: v_dual_fma_f32 v32, v38, v34, -v32
	v_dual_mul_f32 v33, v38, v35 :: v_dual_add_f32 v28, v28, v32
	s_delay_alu instid0(VALU_DEP_1) | instskip(NEXT) | instid1(VALU_DEP_1)
	v_fmac_f32_e32 v33, v39, v34
	v_add_f32_e32 v30, v30, v33
	ds_load_2addr_b64 v[32:35], v5 offset0:64 offset1:80
	s_wait_dscnt 0x0
	v_dual_mul_f32 v38, v49, v33 :: v_dual_mul_f32 v39, v48, v33
	s_delay_alu instid0(VALU_DEP_1) | instskip(NEXT) | instid1(VALU_DEP_1)
	v_dual_fma_f32 v38, v48, v32, -v38 :: v_dual_fmac_f32 v39, v49, v32
	v_add_f32_e32 v20, v20, v38
	v_mul_f32_e32 v38, v48, v35
	s_delay_alu instid0(VALU_DEP_3) | instskip(SKIP_1) | instid1(VALU_DEP_1)
	v_add_f32_e32 v43, v36, v39
	v_mul_f32_e32 v36, v49, v35
	v_fma_f32 v36, v48, v34, -v36
	s_delay_alu instid0(VALU_DEP_1) | instskip(SKIP_1) | instid1(VALU_DEP_1)
	v_add_f32_e32 v44, v37, v36
	v_fmac_f32_e32 v38, v49, v34
	v_add_f32_e32 v40, v40, v38
	ds_load_b128 v[36:39], v31 offset:1040
	s_wait_dscnt 0x0
	v_dual_mul_f32 v45, v37, v33 :: v_dual_mul_f32 v33, v36, v33
	s_delay_alu instid0(VALU_DEP_1) | instskip(NEXT) | instid1(VALU_DEP_2)
	v_fma_f32 v45, v36, v32, -v45
	v_dual_fmac_f32 v33, v37, v32 :: v_dual_mul_f32 v32, v37, v35
	s_delay_alu instid0(VALU_DEP_2) | instskip(NEXT) | instid1(VALU_DEP_2)
	v_add_f32_e32 v41, v41, v45
	v_dual_add_f32 v42, v42, v33 :: v_dual_mul_f32 v33, v36, v35
	s_delay_alu instid0(VALU_DEP_1) | instskip(NEXT) | instid1(VALU_DEP_1)
	v_dual_fma_f32 v32, v36, v34, -v32 :: v_dual_fmac_f32 v33, v37, v34
	v_dual_add_f32 v28, v28, v32 :: v_dual_add_f32 v30, v30, v33
	ds_load_2addr_b64 v[32:35], v5 offset0:96 offset1:112
	s_wait_dscnt 0x0
	v_mul_f32_e32 v36, v51, v33
	s_delay_alu instid0(VALU_DEP_1) | instskip(NEXT) | instid1(VALU_DEP_1)
	v_dual_fma_f32 v36, v50, v32, -v36 :: v_dual_mul_f32 v37, v50, v33
	v_add_f32_e32 v20, v20, v36
	s_delay_alu instid0(VALU_DEP_2) | instskip(NEXT) | instid1(VALU_DEP_1)
	v_fmac_f32_e32 v37, v51, v32
	v_dual_add_f32 v36, v43, v37 :: v_dual_mul_f32 v43, v50, v35
	s_delay_alu instid0(VALU_DEP_1) | instskip(NEXT) | instid1(VALU_DEP_1)
	v_dual_mul_f32 v37, v51, v35 :: v_dual_fmac_f32 v43, v51, v34
	v_dual_fma_f32 v37, v50, v34, -v37 :: v_dual_add_f32 v40, v40, v43
	v_mul_f32_e32 v43, v39, v33
	s_delay_alu instid0(VALU_DEP_1) | instskip(NEXT) | instid1(VALU_DEP_1)
	v_dual_add_f32 v37, v44, v37 :: v_dual_fma_f32 v43, v38, v32, -v43
	v_dual_mul_f32 v33, v38, v33 :: v_dual_add_f32 v41, v41, v43
	s_delay_alu instid0(VALU_DEP_1) | instskip(NEXT) | instid1(VALU_DEP_1)
	v_dual_fmac_f32 v33, v39, v32 :: v_dual_mul_f32 v32, v39, v35
	v_add_f32_e32 v42, v42, v33
	s_delay_alu instid0(VALU_DEP_2) | instskip(NEXT) | instid1(VALU_DEP_1)
	v_dual_fma_f32 v32, v38, v34, -v32 :: v_dual_mul_f32 v33, v38, v35
	v_dual_fmac_f32 v33, v39, v34 :: v_dual_add_f32 v28, v28, v32
	s_delay_alu instid0(VALU_DEP_1) | instskip(SKIP_3) | instid1(VALU_DEP_1)
	v_add_f32_e32 v30, v30, v33
	ds_load_2addr_b64 v[32:35], v5 offset0:128 offset1:144
	s_wait_dscnt 0x0
	v_dual_mul_f32 v38, v53, v33 :: v_dual_mul_f32 v39, v52, v33
	v_dual_fma_f32 v38, v52, v32, -v38 :: v_dual_fmac_f32 v39, v53, v32
	s_delay_alu instid0(VALU_DEP_1) | instskip(SKIP_1) | instid1(VALU_DEP_3)
	v_add_f32_e32 v20, v20, v38
	v_mul_f32_e32 v38, v52, v35
	v_add_f32_e32 v43, v36, v39
	v_mul_f32_e32 v36, v53, v35
	s_delay_alu instid0(VALU_DEP_1) | instskip(NEXT) | instid1(VALU_DEP_1)
	v_fma_f32 v36, v52, v34, -v36
	v_add_f32_e32 v44, v37, v36
	v_fmac_f32_e32 v38, v53, v34
	s_delay_alu instid0(VALU_DEP_1) | instskip(SKIP_3) | instid1(VALU_DEP_1)
	v_add_f32_e32 v40, v40, v38
	ds_load_b128 v[36:39], v31 offset:1056
	s_wait_dscnt 0x0
	v_dual_mul_f32 v45, v37, v33 :: v_dual_mul_f32 v33, v36, v33
	v_fma_f32 v45, v36, v32, -v45
	s_delay_alu instid0(VALU_DEP_2) | instskip(NEXT) | instid1(VALU_DEP_2)
	v_dual_fmac_f32 v33, v37, v32 :: v_dual_mul_f32 v32, v37, v35
	v_add_f32_e32 v41, v41, v45
	s_delay_alu instid0(VALU_DEP_2) | instskip(NEXT) | instid1(VALU_DEP_1)
	v_dual_add_f32 v42, v42, v33 :: v_dual_mul_f32 v33, v36, v35
	v_dual_fma_f32 v32, v36, v34, -v32 :: v_dual_fmac_f32 v33, v37, v34
	s_delay_alu instid0(VALU_DEP_1) | instskip(SKIP_3) | instid1(VALU_DEP_1)
	v_dual_add_f32 v28, v28, v32 :: v_dual_add_f32 v30, v30, v33
	ds_load_2addr_b64 v[32:35], v5 offset0:160 offset1:176
	s_wait_dscnt 0x0
	v_mul_f32_e32 v36, v55, v33
	v_dual_fma_f32 v36, v54, v32, -v36 :: v_dual_mul_f32 v37, v54, v33
	s_delay_alu instid0(VALU_DEP_1) | instskip(NEXT) | instid1(VALU_DEP_2)
	v_add_f32_e32 v20, v20, v36
	v_fmac_f32_e32 v37, v55, v32
	s_delay_alu instid0(VALU_DEP_1) | instskip(NEXT) | instid1(VALU_DEP_1)
	v_dual_add_f32 v36, v43, v37 :: v_dual_mul_f32 v43, v54, v35
	v_dual_mul_f32 v37, v55, v35 :: v_dual_fmac_f32 v43, v55, v34
	s_delay_alu instid0(VALU_DEP_1) | instskip(SKIP_1) | instid1(VALU_DEP_1)
	v_dual_fma_f32 v37, v54, v34, -v37 :: v_dual_add_f32 v40, v40, v43
	v_mul_f32_e32 v43, v39, v33
	v_dual_add_f32 v37, v44, v37 :: v_dual_fma_f32 v43, v38, v32, -v43
	s_delay_alu instid0(VALU_DEP_1) | instskip(NEXT) | instid1(VALU_DEP_1)
	v_dual_mul_f32 v33, v38, v33 :: v_dual_add_f32 v41, v41, v43
	v_dual_fmac_f32 v33, v39, v32 :: v_dual_mul_f32 v32, v39, v35
	s_delay_alu instid0(VALU_DEP_1) | instskip(NEXT) | instid1(VALU_DEP_2)
	v_add_f32_e32 v46, v42, v33
	v_dual_fma_f32 v32, v38, v34, -v32 :: v_dual_mul_f32 v33, v38, v35
	ds_load_b128 v[42:45], v31 offset:1072
	v_dual_fmac_f32 v33, v39, v34 :: v_dual_add_f32 v28, v28, v32
	s_delay_alu instid0(VALU_DEP_1) | instskip(SKIP_3) | instid1(VALU_DEP_1)
	v_add_f32_e32 v30, v30, v33
	ds_load_2addr_b64 v[32:35], v5 offset0:192 offset1:208
	s_wait_dscnt 0x0
	v_dual_mul_f32 v38, v1, v33 :: v_dual_mul_f32 v39, v0, v33
	v_dual_fma_f32 v38, v0, v32, -v38 :: v_dual_fmac_f32 v39, v1, v32
	s_delay_alu instid0(VALU_DEP_1) | instskip(NEXT) | instid1(VALU_DEP_1)
	v_dual_add_f32 v20, v20, v38 :: v_dual_mul_f32 v38, v1, v35
	v_dual_fma_f32 v38, v0, v34, -v38 :: v_dual_mul_f32 v0, v0, v35
	s_delay_alu instid0(VALU_DEP_1) | instskip(NEXT) | instid1(VALU_DEP_2)
	v_dual_add_f32 v36, v36, v39 :: v_dual_fmac_f32 v0, v1, v34
	v_dual_add_f32 v1, v37, v38 :: v_dual_mul_f32 v37, v43, v33
	s_delay_alu instid0(VALU_DEP_2) | instskip(NEXT) | instid1(VALU_DEP_2)
	v_dual_mul_f32 v33, v42, v33 :: v_dual_add_f32 v0, v40, v0
	v_fma_f32 v37, v42, v32, -v37
	s_delay_alu instid0(VALU_DEP_1) | instskip(NEXT) | instid1(VALU_DEP_1)
	v_dual_fmac_f32 v33, v43, v32 :: v_dual_add_f32 v32, v41, v37
	v_dual_add_f32 v33, v46, v33 :: v_dual_mul_f32 v37, v43, v35
	ds_load_2addr_b64 v[46:49], v5 offset0:224 offset1:240
	v_mul_f32_e32 v35, v42, v35
	s_wait_dscnt 0x0
	s_barrier_signal -1
	v_fma_f32 v37, v42, v34, -v37
	s_barrier_wait -1
	v_fmac_f32_e32 v35, v43, v34
	s_delay_alu instid0(VALU_DEP_1) | instskip(SKIP_1) | instid1(VALU_DEP_1)
	v_dual_add_f32 v28, v28, v37 :: v_dual_add_f32 v30, v30, v35
	v_dual_mul_f32 v34, v3, v47 :: v_dual_mul_f32 v35, v2, v47
	v_dual_fma_f32 v34, v2, v46, -v34 :: v_dual_fmac_f32 v35, v3, v46
	s_delay_alu instid0(VALU_DEP_1) | instskip(NEXT) | instid1(VALU_DEP_1)
	v_dual_add_f32 v40, v20, v34 :: v_dual_mul_f32 v20, v3, v49
	v_dual_add_f32 v42, v36, v35 :: v_dual_fma_f32 v20, v2, v48, -v20
	s_delay_alu instid0(VALU_DEP_1) | instskip(NEXT) | instid1(VALU_DEP_1)
	v_dual_mul_f32 v2, v2, v49 :: v_dual_add_f32 v36, v1, v20
	v_dual_fmac_f32 v2, v3, v48 :: v_dual_mul_f32 v1, v44, v47
	s_delay_alu instid0(VALU_DEP_1) | instskip(NEXT) | instid1(VALU_DEP_2)
	v_fmac_f32_e32 v1, v45, v46
	v_dual_add_f32 v38, v0, v2 :: v_dual_mul_f32 v0, v45, v47
	s_delay_alu instid0(VALU_DEP_2) | instskip(NEXT) | instid1(VALU_DEP_2)
	v_add_f32_e32 v34, v33, v1
	v_dual_mul_f32 v1, v44, v49 :: v_dual_fma_f32 v0, v44, v46, -v0
	s_delay_alu instid0(VALU_DEP_1) | instskip(NEXT) | instid1(VALU_DEP_2)
	v_fmac_f32_e32 v1, v45, v48
	v_dual_add_f32 v32, v32, v0 :: v_dual_mul_f32 v0, v45, v49
	s_delay_alu instid0(VALU_DEP_1) | instskip(NEXT) | instid1(VALU_DEP_1)
	v_dual_add_f32 v30, v30, v1 :: v_dual_fma_f32 v0, v44, v48, -v0
	v_add_f32_e32 v28, v28, v0
	s_cbranch_vccz .LBB250_18
.LBB250_9:                              ;   Parent Loop BB250_6 Depth=1
                                        ; =>  This Inner Loop Header: Depth=2
	s_mov_b32 s35, 0
	s_mov_b32 s37, s31
	s_and_saveexec_b32 s36, s0
; %bb.10:                               ;   in Loop: Header=BB250_9 Depth=2
	v_add_nc_u32_e32 v20, s6, v6
	s_and_not1_b32 s37, s31, exec_lo
	s_mov_b32 s35, exec_lo
	s_delay_alu instid0(VALU_DEP_1) | instskip(SKIP_2) | instid1(SALU_CYCLE_1)
	v_cmp_le_u64_e32 vcc_lo, s[12:13], v[20:21]
	v_mov_b64_e32 v[22:23], v[20:21]
	s_and_b32 s38, vcc_lo, exec_lo
	s_or_b32 s37, s37, s38
; %bb.11:                               ;   in Loop: Header=BB250_9 Depth=2
	s_or_b32 exec_lo, exec_lo, s36
	s_and_saveexec_b32 s36, s37
	s_delay_alu instid0(SALU_CYCLE_1)
	s_xor_b32 s36, exec_lo, s36
; %bb.12:                               ;   in Loop: Header=BB250_9 Depth=2
	s_and_not1_b32 s35, s35, exec_lo
	ds_store_b32 v7, v21
; %bb.13:                               ;   in Loop: Header=BB250_9 Depth=2
	s_or_b32 exec_lo, exec_lo, s36
	v_dual_mov_b32 v0, 0 :: v_dual_mov_b32 v2, 0
	s_and_saveexec_b32 s36, s35
	s_cbranch_execz .LBB250_15
; %bb.14:                               ;   in Loop: Header=BB250_9 Depth=2
	v_lshl_add_u64 v[2:3], v[22:23], 3, v[24:25]
	global_load_b64 v[44:45], v[2:3], off
	s_wait_loadcnt 0x0
	s_wait_xcnt 0x0
	v_xor_b32_e32 v2, 0x80000000, v45
	ds_store_b32 v7, v44
.LBB250_15:                             ;   in Loop: Header=BB250_9 Depth=2
	s_or_b32 exec_lo, exec_lo, s36
	v_dual_mov_b32 v1, 0 :: v_dual_add_nc_u32 v20, s6, v4
	ds_store_b32 v7, v2 offset:4
	v_cmp_gt_u64_e32 vcc_lo, s[12:13], v[20:21]
	s_and_b32 s36, vcc_lo, s1
	s_delay_alu instid0(SALU_CYCLE_1)
	s_and_saveexec_b32 s35, s36
	s_cbranch_execz .LBB250_8
; %bb.16:                               ;   in Loop: Header=BB250_9 Depth=2
	v_mul_u64_e32 v[0:1], s[16:17], v[20:21]
	s_delay_alu instid0(VALU_DEP_1)
	v_lshl_add_u64 v[0:1], v[0:1], 3, v[26:27]
	global_load_b64 v[0:1], v[0:1], off
	s_branch .LBB250_8
.LBB250_17:                             ;   in Loop: Header=BB250_6 Depth=1
	v_dual_mov_b32 v40, v21 :: v_dual_mov_b32 v42, v21
	v_dual_mov_b32 v36, v21 :: v_dual_mov_b32 v38, v21
	;; [unrolled: 1-line block ×4, first 2 shown]
.LBB250_18:                             ;   in Loop: Header=BB250_6 Depth=1
	s_mul_u64 s[6:7], s[28:29], s[26:27]
	s_delay_alu instid0(SALU_CYCLE_1) | instskip(NEXT) | instid1(SALU_CYCLE_1)
	s_lshl_b64 s[6:7], s[6:7], 3
	s_add_nc_u64 s[6:7], s[20:21], s[6:7]
	s_delay_alu instid0(SALU_CYCLE_1)
	v_lshl_add_u64 v[0:1], v[10:11], 3, s[6:7]
	s_and_saveexec_b32 s35, s11
	s_cbranch_execz .LBB250_23
; %bb.19:                               ;   in Loop: Header=BB250_6 Depth=1
	v_mov_b64_e32 v[2:3], s[4:5]
	v_mov_b64_e32 v[24:25], s[14:15]
	s_and_b32 vcc_lo, exec_lo, s10
	s_mov_b32 s36, -1
	s_delay_alu instid0(VALU_DEP_2) | instskip(NEXT) | instid1(VALU_DEP_1)
	v_pk_mul_f32 v[2:3], v[42:43], v[2:3] op_sel_hi:[0,1]
	v_pk_fma_f32 v[26:27], v[40:41], v[24:25], v[2:3] op_sel_hi:[0,1,1]
	v_pk_fma_f32 v[2:3], v[40:41], v[24:25], v[2:3] neg_lo:[0,0,1] neg_hi:[0,0,1]
	v_lshl_add_u64 v[24:25], v[8:9], 3, v[0:1]
	s_delay_alu instid0(VALU_DEP_3)
	v_mov_b32_e32 v3, v27
	s_cbranch_vccz .LBB250_21
; %bb.20:                               ;   in Loop: Header=BB250_6 Depth=1
	global_load_b64 v[26:27], v[24:25], off
	v_mov_b64_e32 v[40:41], s[24:25]
	v_mov_b64_e32 v[42:43], s[2:3]
	s_mov_b32 s36, 0
	s_wait_loadcnt 0x0
	s_delay_alu instid0(VALU_DEP_2) | instskip(NEXT) | instid1(VALU_DEP_1)
	v_pk_mul_f32 v[40:41], v[26:27], v[40:41]
	v_pk_fma_f32 v[44:45], v[26:27], v[42:43], v[40:41] op_sel:[0,0,1] op_sel_hi:[1,1,0]
	v_pk_fma_f32 v[26:27], v[26:27], v[42:43], v[40:41] op_sel:[0,0,1] op_sel_hi:[1,1,0] neg_lo:[0,0,1] neg_hi:[0,0,1]
	s_delay_alu instid0(VALU_DEP_2) | instskip(NEXT) | instid1(VALU_DEP_1)
	v_mov_b32_e32 v27, v45
	v_pk_add_f32 v[26:27], v[2:3], v[26:27]
	global_store_b64 v[24:25], v[26:27], off
.LBB250_21:                             ;   in Loop: Header=BB250_6 Depth=1
	s_and_not1_b32 vcc_lo, exec_lo, s36
	s_cbranch_vccnz .LBB250_23
; %bb.22:                               ;   in Loop: Header=BB250_6 Depth=1
	global_store_b64 v[24:25], v[2:3], off
.LBB250_23:                             ;   in Loop: Header=BB250_6 Depth=1
	s_wait_xcnt 0x0
	s_or_b32 exec_lo, exec_lo, s35
	s_and_saveexec_b32 s35, s22
	s_cbranch_execz .LBB250_28
; %bb.24:                               ;   in Loop: Header=BB250_6 Depth=1
	v_mov_b64_e32 v[2:3], s[4:5]
	v_mov_b64_e32 v[24:25], s[14:15]
	v_lshl_add_u64 v[0:1], v[18:19], 3, v[0:1]
	s_and_not1_b32 vcc_lo, exec_lo, s10
	s_mov_b32 s36, -1
	s_delay_alu instid0(VALU_DEP_3) | instskip(NEXT) | instid1(VALU_DEP_1)
	v_pk_mul_f32 v[2:3], v[38:39], v[2:3] op_sel_hi:[0,1]
	v_pk_fma_f32 v[26:27], v[36:37], v[24:25], v[2:3] op_sel_hi:[0,1,1]
	v_pk_fma_f32 v[2:3], v[36:37], v[24:25], v[2:3] neg_lo:[0,0,1] neg_hi:[0,0,1]
	s_delay_alu instid0(VALU_DEP_2)
	v_mov_b32_e32 v3, v27
	s_cbranch_vccnz .LBB250_26
; %bb.25:                               ;   in Loop: Header=BB250_6 Depth=1
	global_load_b64 v[24:25], v[0:1], off
	v_mov_b64_e32 v[26:27], s[24:25]
	v_mov_b64_e32 v[36:37], s[2:3]
	s_mov_b32 s36, 0
	s_wait_loadcnt 0x0
	s_delay_alu instid0(VALU_DEP_2) | instskip(NEXT) | instid1(VALU_DEP_1)
	v_pk_mul_f32 v[26:27], v[24:25], v[26:27]
	v_pk_fma_f32 v[38:39], v[24:25], v[36:37], v[26:27] op_sel:[0,0,1] op_sel_hi:[1,1,0]
	v_pk_fma_f32 v[24:25], v[24:25], v[36:37], v[26:27] op_sel:[0,0,1] op_sel_hi:[1,1,0] neg_lo:[0,0,1] neg_hi:[0,0,1]
	s_delay_alu instid0(VALU_DEP_2) | instskip(NEXT) | instid1(VALU_DEP_1)
	v_mov_b32_e32 v25, v39
	v_pk_add_f32 v[24:25], v[2:3], v[24:25]
	global_store_b64 v[0:1], v[24:25], off
.LBB250_26:                             ;   in Loop: Header=BB250_6 Depth=1
	s_and_not1_b32 vcc_lo, exec_lo, s36
	s_cbranch_vccnz .LBB250_28
; %bb.27:                               ;   in Loop: Header=BB250_6 Depth=1
	global_store_b64 v[0:1], v[2:3], off
.LBB250_28:                             ;   in Loop: Header=BB250_6 Depth=1
	s_wait_xcnt 0x0
	s_or_b32 exec_lo, exec_lo, s35
	v_lshl_add_u64 v[0:1], v[12:13], 3, s[6:7]
	s_and_saveexec_b32 s6, s23
	s_cbranch_execz .LBB250_33
; %bb.29:                               ;   in Loop: Header=BB250_6 Depth=1
	v_mov_b64_e32 v[2:3], s[4:5]
	v_mov_b64_e32 v[24:25], s[14:15]
	s_and_not1_b32 vcc_lo, exec_lo, s10
	s_mov_b32 s7, -1
	s_delay_alu instid0(VALU_DEP_2) | instskip(NEXT) | instid1(VALU_DEP_1)
	v_pk_mul_f32 v[2:3], v[34:35], v[2:3] op_sel_hi:[0,1]
	v_pk_fma_f32 v[26:27], v[32:33], v[24:25], v[2:3] op_sel_hi:[0,1,1]
	v_pk_fma_f32 v[2:3], v[32:33], v[24:25], v[2:3] neg_lo:[0,0,1] neg_hi:[0,0,1]
	v_lshl_add_u64 v[24:25], v[8:9], 3, v[0:1]
	s_delay_alu instid0(VALU_DEP_3)
	v_mov_b32_e32 v3, v27
	s_cbranch_vccnz .LBB250_31
; %bb.30:                               ;   in Loop: Header=BB250_6 Depth=1
	global_load_b64 v[26:27], v[24:25], off
	v_mov_b64_e32 v[32:33], s[24:25]
	v_mov_b64_e32 v[34:35], s[2:3]
	s_mov_b32 s7, 0
	s_wait_loadcnt 0x0
	s_delay_alu instid0(VALU_DEP_2) | instskip(NEXT) | instid1(VALU_DEP_1)
	v_pk_mul_f32 v[32:33], v[26:27], v[32:33]
	v_pk_fma_f32 v[36:37], v[26:27], v[34:35], v[32:33] op_sel:[0,0,1] op_sel_hi:[1,1,0]
	v_pk_fma_f32 v[26:27], v[26:27], v[34:35], v[32:33] op_sel:[0,0,1] op_sel_hi:[1,1,0] neg_lo:[0,0,1] neg_hi:[0,0,1]
	s_delay_alu instid0(VALU_DEP_2) | instskip(NEXT) | instid1(VALU_DEP_1)
	v_mov_b32_e32 v27, v37
	v_pk_add_f32 v[26:27], v[2:3], v[26:27]
	global_store_b64 v[24:25], v[26:27], off
.LBB250_31:                             ;   in Loop: Header=BB250_6 Depth=1
	s_and_not1_b32 vcc_lo, exec_lo, s7
	s_cbranch_vccnz .LBB250_33
; %bb.32:                               ;   in Loop: Header=BB250_6 Depth=1
	global_store_b64 v[24:25], v[2:3], off
.LBB250_33:                             ;   in Loop: Header=BB250_6 Depth=1
	s_wait_xcnt 0x0
	s_or_b32 exec_lo, exec_lo, s6
	s_and_saveexec_b32 s6, s33
	s_cbranch_execz .LBB250_5
; %bb.34:                               ;   in Loop: Header=BB250_6 Depth=1
	v_mov_b64_e32 v[2:3], s[4:5]
	v_mov_b64_e32 v[24:25], s[14:15]
	v_lshl_add_u64 v[0:1], v[18:19], 3, v[0:1]
	s_and_not1_b32 vcc_lo, exec_lo, s10
	s_mov_b32 s7, -1
	s_delay_alu instid0(VALU_DEP_3) | instskip(NEXT) | instid1(VALU_DEP_1)
	v_pk_mul_f32 v[2:3], v[30:31], v[2:3] op_sel_hi:[0,1]
	v_pk_fma_f32 v[26:27], v[28:29], v[24:25], v[2:3] op_sel_hi:[0,1,1]
	v_pk_fma_f32 v[2:3], v[28:29], v[24:25], v[2:3] neg_lo:[0,0,1] neg_hi:[0,0,1]
	s_delay_alu instid0(VALU_DEP_2)
	v_mov_b32_e32 v3, v27
	s_cbranch_vccnz .LBB250_36
; %bb.35:                               ;   in Loop: Header=BB250_6 Depth=1
	global_load_b64 v[24:25], v[0:1], off
	v_mov_b64_e32 v[26:27], s[24:25]
	v_mov_b64_e32 v[32:33], s[2:3]
	s_mov_b32 s7, 0
	s_wait_loadcnt 0x0
	s_delay_alu instid0(VALU_DEP_2) | instskip(NEXT) | instid1(VALU_DEP_1)
	v_pk_mul_f32 v[26:27], v[24:25], v[26:27]
	v_pk_fma_f32 v[34:35], v[24:25], v[32:33], v[26:27] op_sel:[0,0,1] op_sel_hi:[1,1,0]
	v_pk_fma_f32 v[24:25], v[24:25], v[32:33], v[26:27] op_sel:[0,0,1] op_sel_hi:[1,1,0] neg_lo:[0,0,1] neg_hi:[0,0,1]
	s_delay_alu instid0(VALU_DEP_2) | instskip(NEXT) | instid1(VALU_DEP_1)
	v_mov_b32_e32 v25, v35
	v_pk_add_f32 v[24:25], v[2:3], v[24:25]
	global_store_b64 v[0:1], v[24:25], off
.LBB250_36:                             ;   in Loop: Header=BB250_6 Depth=1
	s_and_not1_b32 vcc_lo, exec_lo, s7
	s_cbranch_vccnz .LBB250_5
; %bb.37:                               ;   in Loop: Header=BB250_6 Depth=1
	global_store_b64 v[0:1], v[2:3], off
	s_branch .LBB250_5
.LBB250_38:
	s_endpgm
	.section	.rodata,"a",@progbits
	.p2align	6, 0x0
	.amdhsa_kernel _ZL29rocblas_internal_gemmt_kernelIlLi16ELi32ELi8ELc67ELc84ELc76ELb1ELb0E19rocblas_complex_numIfES1_PKS1_PS1_EviT_T9_T10_S5_lS7_S5_lS6_T11_S5_li
		.amdhsa_group_segment_fixed_size 4096
		.amdhsa_private_segment_fixed_size 0
		.amdhsa_kernarg_size 108
		.amdhsa_user_sgpr_count 2
		.amdhsa_user_sgpr_dispatch_ptr 0
		.amdhsa_user_sgpr_queue_ptr 0
		.amdhsa_user_sgpr_kernarg_segment_ptr 1
		.amdhsa_user_sgpr_dispatch_id 0
		.amdhsa_user_sgpr_kernarg_preload_length 0
		.amdhsa_user_sgpr_kernarg_preload_offset 0
		.amdhsa_user_sgpr_private_segment_size 0
		.amdhsa_wavefront_size32 1
		.amdhsa_uses_dynamic_stack 0
		.amdhsa_enable_private_segment 0
		.amdhsa_system_sgpr_workgroup_id_x 1
		.amdhsa_system_sgpr_workgroup_id_y 1
		.amdhsa_system_sgpr_workgroup_id_z 1
		.amdhsa_system_sgpr_workgroup_info 0
		.amdhsa_system_vgpr_workitem_id 1
		.amdhsa_next_free_vgpr 60
		.amdhsa_next_free_sgpr 39
		.amdhsa_named_barrier_count 0
		.amdhsa_reserve_vcc 1
		.amdhsa_float_round_mode_32 0
		.amdhsa_float_round_mode_16_64 0
		.amdhsa_float_denorm_mode_32 3
		.amdhsa_float_denorm_mode_16_64 3
		.amdhsa_fp16_overflow 0
		.amdhsa_memory_ordered 1
		.amdhsa_forward_progress 1
		.amdhsa_inst_pref_size 26
		.amdhsa_round_robin_scheduling 0
		.amdhsa_exception_fp_ieee_invalid_op 0
		.amdhsa_exception_fp_denorm_src 0
		.amdhsa_exception_fp_ieee_div_zero 0
		.amdhsa_exception_fp_ieee_overflow 0
		.amdhsa_exception_fp_ieee_underflow 0
		.amdhsa_exception_fp_ieee_inexact 0
		.amdhsa_exception_int_div_zero 0
	.end_amdhsa_kernel
	.section	.text._ZL29rocblas_internal_gemmt_kernelIlLi16ELi32ELi8ELc67ELc84ELc76ELb1ELb0E19rocblas_complex_numIfES1_PKS1_PS1_EviT_T9_T10_S5_lS7_S5_lS6_T11_S5_li,"axG",@progbits,_ZL29rocblas_internal_gemmt_kernelIlLi16ELi32ELi8ELc67ELc84ELc76ELb1ELb0E19rocblas_complex_numIfES1_PKS1_PS1_EviT_T9_T10_S5_lS7_S5_lS6_T11_S5_li,comdat
.Lfunc_end250:
	.size	_ZL29rocblas_internal_gemmt_kernelIlLi16ELi32ELi8ELc67ELc84ELc76ELb1ELb0E19rocblas_complex_numIfES1_PKS1_PS1_EviT_T9_T10_S5_lS7_S5_lS6_T11_S5_li, .Lfunc_end250-_ZL29rocblas_internal_gemmt_kernelIlLi16ELi32ELi8ELc67ELc84ELc76ELb1ELb0E19rocblas_complex_numIfES1_PKS1_PS1_EviT_T9_T10_S5_lS7_S5_lS6_T11_S5_li
                                        ; -- End function
	.set _ZL29rocblas_internal_gemmt_kernelIlLi16ELi32ELi8ELc67ELc84ELc76ELb1ELb0E19rocblas_complex_numIfES1_PKS1_PS1_EviT_T9_T10_S5_lS7_S5_lS6_T11_S5_li.num_vgpr, 60
	.set _ZL29rocblas_internal_gemmt_kernelIlLi16ELi32ELi8ELc67ELc84ELc76ELb1ELb0E19rocblas_complex_numIfES1_PKS1_PS1_EviT_T9_T10_S5_lS7_S5_lS6_T11_S5_li.num_agpr, 0
	.set _ZL29rocblas_internal_gemmt_kernelIlLi16ELi32ELi8ELc67ELc84ELc76ELb1ELb0E19rocblas_complex_numIfES1_PKS1_PS1_EviT_T9_T10_S5_lS7_S5_lS6_T11_S5_li.numbered_sgpr, 39
	.set _ZL29rocblas_internal_gemmt_kernelIlLi16ELi32ELi8ELc67ELc84ELc76ELb1ELb0E19rocblas_complex_numIfES1_PKS1_PS1_EviT_T9_T10_S5_lS7_S5_lS6_T11_S5_li.num_named_barrier, 0
	.set _ZL29rocblas_internal_gemmt_kernelIlLi16ELi32ELi8ELc67ELc84ELc76ELb1ELb0E19rocblas_complex_numIfES1_PKS1_PS1_EviT_T9_T10_S5_lS7_S5_lS6_T11_S5_li.private_seg_size, 0
	.set _ZL29rocblas_internal_gemmt_kernelIlLi16ELi32ELi8ELc67ELc84ELc76ELb1ELb0E19rocblas_complex_numIfES1_PKS1_PS1_EviT_T9_T10_S5_lS7_S5_lS6_T11_S5_li.uses_vcc, 1
	.set _ZL29rocblas_internal_gemmt_kernelIlLi16ELi32ELi8ELc67ELc84ELc76ELb1ELb0E19rocblas_complex_numIfES1_PKS1_PS1_EviT_T9_T10_S5_lS7_S5_lS6_T11_S5_li.uses_flat_scratch, 0
	.set _ZL29rocblas_internal_gemmt_kernelIlLi16ELi32ELi8ELc67ELc84ELc76ELb1ELb0E19rocblas_complex_numIfES1_PKS1_PS1_EviT_T9_T10_S5_lS7_S5_lS6_T11_S5_li.has_dyn_sized_stack, 0
	.set _ZL29rocblas_internal_gemmt_kernelIlLi16ELi32ELi8ELc67ELc84ELc76ELb1ELb0E19rocblas_complex_numIfES1_PKS1_PS1_EviT_T9_T10_S5_lS7_S5_lS6_T11_S5_li.has_recursion, 0
	.set _ZL29rocblas_internal_gemmt_kernelIlLi16ELi32ELi8ELc67ELc84ELc76ELb1ELb0E19rocblas_complex_numIfES1_PKS1_PS1_EviT_T9_T10_S5_lS7_S5_lS6_T11_S5_li.has_indirect_call, 0
	.section	.AMDGPU.csdata,"",@progbits
; Kernel info:
; codeLenInByte = 3228
; TotalNumSgprs: 41
; NumVgprs: 60
; ScratchSize: 0
; MemoryBound: 0
; FloatMode: 240
; IeeeMode: 1
; LDSByteSize: 4096 bytes/workgroup (compile time only)
; SGPRBlocks: 0
; VGPRBlocks: 3
; NumSGPRsForWavesPerEU: 41
; NumVGPRsForWavesPerEU: 60
; NamedBarCnt: 0
; Occupancy: 16
; WaveLimiterHint : 0
; COMPUTE_PGM_RSRC2:SCRATCH_EN: 0
; COMPUTE_PGM_RSRC2:USER_SGPR: 2
; COMPUTE_PGM_RSRC2:TRAP_HANDLER: 0
; COMPUTE_PGM_RSRC2:TGID_X_EN: 1
; COMPUTE_PGM_RSRC2:TGID_Y_EN: 1
; COMPUTE_PGM_RSRC2:TGID_Z_EN: 1
; COMPUTE_PGM_RSRC2:TIDIG_COMP_CNT: 1
	.section	.text._ZL29rocblas_internal_gemmt_kernelIlLi16ELi32ELi8ELc67ELc67ELc76ELb1ELb1E19rocblas_complex_numIfES1_PKS1_PS1_EviT_T9_T10_S5_lS7_S5_lS6_T11_S5_li,"axG",@progbits,_ZL29rocblas_internal_gemmt_kernelIlLi16ELi32ELi8ELc67ELc67ELc76ELb1ELb1E19rocblas_complex_numIfES1_PKS1_PS1_EviT_T9_T10_S5_lS7_S5_lS6_T11_S5_li,comdat
	.globl	_ZL29rocblas_internal_gemmt_kernelIlLi16ELi32ELi8ELc67ELc67ELc76ELb1ELb1E19rocblas_complex_numIfES1_PKS1_PS1_EviT_T9_T10_S5_lS7_S5_lS6_T11_S5_li ; -- Begin function _ZL29rocblas_internal_gemmt_kernelIlLi16ELi32ELi8ELc67ELc67ELc76ELb1ELb1E19rocblas_complex_numIfES1_PKS1_PS1_EviT_T9_T10_S5_lS7_S5_lS6_T11_S5_li
	.p2align	8
	.type	_ZL29rocblas_internal_gemmt_kernelIlLi16ELi32ELi8ELc67ELc67ELc76ELb1ELb1E19rocblas_complex_numIfES1_PKS1_PS1_EviT_T9_T10_S5_lS7_S5_lS6_T11_S5_li,@function
_ZL29rocblas_internal_gemmt_kernelIlLi16ELi32ELi8ELc67ELc67ELc76ELb1ELb1E19rocblas_complex_numIfES1_PKS1_PS1_EviT_T9_T10_S5_lS7_S5_lS6_T11_S5_li: ; @_ZL29rocblas_internal_gemmt_kernelIlLi16ELi32ELi8ELc67ELc67ELc76ELb1ELb1E19rocblas_complex_numIfES1_PKS1_PS1_EviT_T9_T10_S5_lS7_S5_lS6_T11_S5_li
; %bb.0:
	s_clause 0x1
	s_load_b64 s[24:25], s[0:1], 0x48
	s_load_b128 s[12:15], s[0:1], 0x8
	s_wait_kmcnt 0x0
	s_cmp_neq_f32 s24, 1.0
	s_cselect_b32 s3, -1, 0
	s_and_b32 s4, s25, 0x7fffffff
	s_delay_alu instid0(SALU_CYCLE_1) | instskip(SKIP_3) | instid1(SALU_CYCLE_1)
	s_cmp_eq_u32 s4, 0
	s_cselect_b32 s2, -1, 0
	s_cmp_lg_u32 s4, 0
	s_cselect_b32 s4, -1, 0
	s_or_b32 s3, s3, s4
	s_delay_alu instid0(SALU_CYCLE_1)
	s_and_b32 vcc_lo, exec_lo, s3
	s_cbranch_vccnz .LBB251_2
; %bb.1:
	s_cmp_lg_u64 s[12:13], 0
	s_cselect_b32 s3, -1, 0
	s_cmp_neq_f32 s14, 0
	s_cselect_b32 s4, -1, 0
	s_cmp_neq_f32 s15, 0
	s_cselect_b32 s5, -1, 0
	s_delay_alu instid0(SALU_CYCLE_1) | instskip(NEXT) | instid1(SALU_CYCLE_1)
	s_or_b32 s4, s4, s5
	s_and_b32 s3, s3, s4
.LBB251_2:
	s_delay_alu instid0(SALU_CYCLE_1)
	s_and_not1_b32 vcc_lo, exec_lo, s3
	s_cbranch_vccnz .LBB251_40
; %bb.3:
	s_load_b32 s30, s[0:1], 0x68
	s_bfe_u32 s3, ttmp6, 0x40014
	s_lshr_b32 s4, ttmp7, 16
	s_add_co_i32 s3, s3, 1
	s_bfe_u32 s6, ttmp6, 0x40008
	s_mul_i32 s5, s4, s3
	s_getreg_b32 s3, hwreg(HW_REG_IB_STS2, 6, 4)
	s_add_co_i32 s6, s6, s5
	s_cmp_eq_u32 s3, 0
	s_mov_b32 s27, 0
	s_cselect_b32 s26, s4, s6
	s_wait_kmcnt 0x0
	s_cmp_ge_u32 s26, s30
	s_cbranch_scc1 .LBB251_40
; %bb.4:
	v_and_b32_e32 v7, 0x3ff, v0
	v_bfe_u32 v9, v0, 10, 10
	s_bfe_u32 s17, ttmp6, 0x4000c
	s_bfe_u32 s18, ttmp6, 0x40010
	s_add_co_i32 s17, s17, 1
	s_and_b32 s19, ttmp7, 0xffff
	s_add_co_i32 s18, s18, 1
	s_load_b256 s[4:11], s[0:1], 0x18
	v_lshl_add_u32 v8, v9, 4, v7
	s_and_b32 s16, ttmp6, 15
	s_mul_i32 s17, ttmp9, s17
	s_mul_i32 s18, s19, s18
	s_bfe_u32 s20, ttmp6, 0x40004
	s_add_co_i32 s16, s16, s17
	s_add_co_i32 s20, s20, s18
	s_cmp_eq_u32 s3, 0
	v_and_b32_e32 v10, 31, v8
	s_cselect_b32 s3, ttmp9, s16
	s_cselect_b32 s31, s19, s20
	s_lshl_b32 s3, s3, 5
	v_dual_lshlrev_b32 v5, 3, v7 :: v_dual_bitop2_b32 v4, 7, v0 bitop3:0x40
	v_or_b32_e32 v2, s3, v10
	s_clause 0x3
	s_load_b32 s33, s[0:1], 0x0
	s_load_b64 s[28:29], s[0:1], 0x60
	s_load_b128 s[16:19], s[0:1], 0x38
	s_load_b128 s[20:23], s[0:1], 0x50
	s_wait_xcnt 0x0
	s_lshl_b32 s0, s31, 5
	v_dual_lshrrev_b32 v6, 5, v8 :: v_dual_lshrrev_b32 v11, 3, v8
	v_dual_ashrrev_i32 v3, 31, v2 :: v_dual_add_nc_u32 v8, s3, v7
	v_dual_add_nc_u32 v20, s0, v9 :: v_dual_lshlrev_b32 v7, 3, v10
	s_delay_alu instid0(VALU_DEP_3) | instskip(SKIP_1) | instid1(VALU_DEP_3)
	v_add_nc_u32_e32 v14, s0, v11
	s_wait_kmcnt 0x0
	v_mul_u64_e32 v[0:1], s[6:7], v[2:3]
	v_lshlrev_b32_e32 v3, 3, v4
	v_dual_ashrrev_i32 v21, 31, v20 :: v_dual_add_nc_u32 v22, 16, v20
	v_add_nc_u32_e32 v18, 16, v8
	s_cmp_neq_f32 s14, 0
	s_delay_alu instid0(VALU_DEP_3)
	v_lshl_or_b32 v3, v11, 6, v3
	v_ashrrev_i32_e32 v15, 31, v14
	v_ashrrev_i32_e32 v23, 31, v22
	s_cselect_b32 s1, -1, 0
	s_cmp_neq_f32 s15, 0
	v_mul_u64_e32 v[10:11], s[22:23], v[20:21]
	v_cmp_gt_i64_e64 s6, s[12:13], 0
	v_mul_u64_e32 v[12:13], s[22:23], v[22:23]
	s_cselect_b32 s3, -1, 0
	v_cmp_gt_i32_e32 vcc_lo, s33, v14
	s_or_b32 s7, s1, s3
	s_cmp_neq_f32 s24, 0
	v_cmp_le_i32_e64 s1, v20, v8
	v_lshl_add_u32 v31, v9, 6, 0x800
	v_ashrrev_i32_e32 v9, 31, v8
	s_cselect_b32 s3, -1, 0
	v_lshl_add_u64 v[14:15], v[14:15], 3, s[10:11]
	v_cmp_gt_i32_e64 s0, s33, v2
	v_cmp_le_i32_e64 s31, s33, v2
	v_lshl_or_b32 v7, v6, 8, v7
	v_add_nc_u32_e32 v29, 0x800, v3
	v_dual_ashrrev_i32 v19, 31, v18 :: v_dual_mov_b32 v21, 0
	s_xor_b32 s34, vcc_lo, -1
	v_lshl_add_u64 v[16:17], v[0:1], 3, s[4:5]
	s_xor_b32 s4, s2, -1
	v_cmp_gt_i32_e64 s2, s33, v8
	s_or_b32 s10, s3, s4
	v_cmp_le_i32_e64 s3, v20, v18
	v_cmp_gt_i32_e64 s4, s33, v18
	v_cmp_le_i32_e64 s5, v22, v18
	s_and_b32 s11, s1, s2
	v_cmp_le_i32_e64 s1, v22, v8
	s_and_b32 s33, s7, s6
	s_and_b32 s22, s3, s4
	;; [unrolled: 1-line block ×3, first 2 shown]
	s_mov_b32 s3, s24
	s_and_b32 s1, s1, s2
	s_mov_b32 s2, s24
	s_mov_b32 s24, s25
	;; [unrolled: 1-line block ×4, first 2 shown]
                                        ; implicit-def: $vgpr22_vgpr23
	s_branch .LBB251_6
.LBB251_5:                              ;   in Loop: Header=BB251_6 Depth=1
	s_wait_xcnt 0x0
	s_or_b32 exec_lo, exec_lo, s6
	s_add_co_i32 s26, s26, 0x10000
	s_delay_alu instid0(SALU_CYCLE_1)
	s_cmp_lt_u32 s26, s30
	s_cbranch_scc0 .LBB251_40
.LBB251_6:                              ; =>This Loop Header: Depth=1
                                        ;     Child Loop BB251_9 Depth 2
	s_and_not1_b32 vcc_lo, exec_lo, s33
	s_cbranch_vccnz .LBB251_19
; %bb.7:                                ;   in Loop: Header=BB251_6 Depth=1
	s_mul_u64 s[6:7], s[8:9], s[26:27]
	s_mul_u64 s[36:37], s[18:19], s[26:27]
	v_lshl_add_u64 v[24:25], s[6:7], 3, v[16:17]
	v_lshl_add_u64 v[26:27], s[36:37], 3, v[14:15]
	v_dual_mov_b32 v30, 0 :: v_dual_mov_b32 v28, 0
	v_dual_mov_b32 v34, 0 :: v_dual_mov_b32 v32, 0
	;; [unrolled: 1-line block ×4, first 2 shown]
	s_mov_b64 s[6:7], 0
	s_branch .LBB251_9
.LBB251_8:                              ;   in Loop: Header=BB251_9 Depth=2
	s_or_b32 exec_lo, exec_lo, s35
	ds_store_b32 v29, v0 offset:4
	s_wait_dscnt 0x0
	s_barrier_signal -1
	s_barrier_wait -1
	ds_load_b128 v[44:47], v31
	ds_load_b128 v[48:51], v31 offset:16
	ds_load_b128 v[52:55], v31 offset:32
	;; [unrolled: 1-line block ×3, first 2 shown]
	ds_load_2addr_b64 v[56:59], v5 offset1:16
	s_add_nc_u64 s[6:7], s[6:7], 8
	s_delay_alu instid0(SALU_CYCLE_1) | instskip(SKIP_3) | instid1(VALU_DEP_1)
	v_cmp_gt_i64_e64 s35, s[12:13], s[6:7]
	s_and_b32 vcc_lo, exec_lo, s35
	s_wait_dscnt 0x0
	v_dual_mul_f32 v20, v45, v57 :: v_dual_mul_f32 v33, v44, v57
	v_dual_mul_f32 v35, v44, v59 :: v_dual_fma_f32 v20, v44, v56, -v20
	s_delay_alu instid0(VALU_DEP_1) | instskip(NEXT) | instid1(VALU_DEP_1)
	v_dual_fmac_f32 v33, v45, v56 :: v_dual_fmac_f32 v35, v45, v58
	v_dual_add_f32 v20, v40, v20 :: v_dual_add_f32 v40, v42, v33
	v_mul_f32_e32 v33, v45, v59
	s_delay_alu instid0(VALU_DEP_1) | instskip(NEXT) | instid1(VALU_DEP_1)
	v_dual_add_f32 v42, v38, v35 :: v_dual_fma_f32 v33, v44, v58, -v33
	v_add_f32_e32 v41, v36, v33
	ds_load_b128 v[36:39], v31 offset:1024
	s_wait_dscnt 0x0
	v_dual_mul_f32 v33, v37, v57 :: v_dual_mul_f32 v35, v36, v57
	s_delay_alu instid0(VALU_DEP_1) | instskip(NEXT) | instid1(VALU_DEP_1)
	v_dual_fma_f32 v33, v36, v56, -v33 :: v_dual_fmac_f32 v35, v37, v56
	v_dual_add_f32 v43, v32, v33 :: v_dual_add_f32 v44, v34, v35
	v_dual_mul_f32 v32, v37, v59 :: v_dual_mul_f32 v33, v36, v59
	s_delay_alu instid0(VALU_DEP_1) | instskip(NEXT) | instid1(VALU_DEP_1)
	v_dual_fma_f32 v32, v36, v58, -v32 :: v_dual_fmac_f32 v33, v37, v58
	v_dual_add_f32 v28, v28, v32 :: v_dual_add_f32 v30, v30, v33
	ds_load_2addr_b64 v[32:35], v5 offset0:32 offset1:48
	s_wait_dscnt 0x0
	v_dual_mul_f32 v36, v47, v33 :: v_dual_mul_f32 v37, v46, v33
	s_delay_alu instid0(VALU_DEP_1) | instskip(NEXT) | instid1(VALU_DEP_1)
	v_dual_fma_f32 v36, v46, v32, -v36 :: v_dual_fmac_f32 v37, v47, v32
	v_add_f32_e32 v20, v20, v36
	s_delay_alu instid0(VALU_DEP_2) | instskip(NEXT) | instid1(VALU_DEP_1)
	v_dual_add_f32 v36, v40, v37 :: v_dual_mul_f32 v37, v47, v35
	v_dual_fma_f32 v37, v46, v34, -v37 :: v_dual_mul_f32 v40, v46, v35
	s_delay_alu instid0(VALU_DEP_1) | instskip(SKIP_1) | instid1(VALU_DEP_1)
	v_add_f32_e32 v37, v41, v37
	v_dual_mul_f32 v41, v39, v33 :: v_dual_mul_f32 v33, v38, v33
	v_dual_fmac_f32 v40, v47, v34 :: v_dual_fma_f32 v41, v38, v32, -v41
	s_delay_alu instid0(VALU_DEP_2) | instskip(NEXT) | instid1(VALU_DEP_2)
	v_dual_fmac_f32 v33, v39, v32 :: v_dual_mul_f32 v32, v39, v35
	v_dual_add_f32 v40, v42, v40 :: v_dual_add_f32 v41, v43, v41
	s_delay_alu instid0(VALU_DEP_2) | instskip(NEXT) | instid1(VALU_DEP_1)
	v_dual_add_f32 v42, v44, v33 :: v_dual_fma_f32 v32, v38, v34, -v32
	v_dual_mul_f32 v33, v38, v35 :: v_dual_add_f32 v28, v28, v32
	s_delay_alu instid0(VALU_DEP_1) | instskip(NEXT) | instid1(VALU_DEP_1)
	v_fmac_f32_e32 v33, v39, v34
	v_add_f32_e32 v30, v30, v33
	ds_load_2addr_b64 v[32:35], v5 offset0:64 offset1:80
	s_wait_dscnt 0x0
	v_dual_mul_f32 v38, v49, v33 :: v_dual_mul_f32 v39, v48, v33
	s_delay_alu instid0(VALU_DEP_1) | instskip(NEXT) | instid1(VALU_DEP_1)
	v_dual_fma_f32 v38, v48, v32, -v38 :: v_dual_fmac_f32 v39, v49, v32
	v_add_f32_e32 v20, v20, v38
	v_mul_f32_e32 v38, v48, v35
	s_delay_alu instid0(VALU_DEP_3) | instskip(SKIP_1) | instid1(VALU_DEP_1)
	v_add_f32_e32 v43, v36, v39
	v_mul_f32_e32 v36, v49, v35
	v_fma_f32 v36, v48, v34, -v36
	s_delay_alu instid0(VALU_DEP_1) | instskip(SKIP_1) | instid1(VALU_DEP_1)
	v_add_f32_e32 v44, v37, v36
	v_fmac_f32_e32 v38, v49, v34
	v_add_f32_e32 v40, v40, v38
	ds_load_b128 v[36:39], v31 offset:1040
	s_wait_dscnt 0x0
	v_dual_mul_f32 v45, v37, v33 :: v_dual_mul_f32 v33, v36, v33
	s_delay_alu instid0(VALU_DEP_1) | instskip(NEXT) | instid1(VALU_DEP_2)
	v_fma_f32 v45, v36, v32, -v45
	v_dual_fmac_f32 v33, v37, v32 :: v_dual_mul_f32 v32, v37, v35
	s_delay_alu instid0(VALU_DEP_2) | instskip(NEXT) | instid1(VALU_DEP_2)
	v_add_f32_e32 v41, v41, v45
	v_dual_add_f32 v42, v42, v33 :: v_dual_mul_f32 v33, v36, v35
	s_delay_alu instid0(VALU_DEP_1) | instskip(NEXT) | instid1(VALU_DEP_1)
	v_dual_fma_f32 v32, v36, v34, -v32 :: v_dual_fmac_f32 v33, v37, v34
	v_dual_add_f32 v28, v28, v32 :: v_dual_add_f32 v30, v30, v33
	ds_load_2addr_b64 v[32:35], v5 offset0:96 offset1:112
	s_wait_dscnt 0x0
	v_mul_f32_e32 v36, v51, v33
	s_delay_alu instid0(VALU_DEP_1) | instskip(NEXT) | instid1(VALU_DEP_1)
	v_dual_fma_f32 v36, v50, v32, -v36 :: v_dual_mul_f32 v37, v50, v33
	v_add_f32_e32 v20, v20, v36
	s_delay_alu instid0(VALU_DEP_2) | instskip(NEXT) | instid1(VALU_DEP_1)
	v_fmac_f32_e32 v37, v51, v32
	v_dual_add_f32 v36, v43, v37 :: v_dual_mul_f32 v43, v50, v35
	s_delay_alu instid0(VALU_DEP_1) | instskip(NEXT) | instid1(VALU_DEP_1)
	v_dual_mul_f32 v37, v51, v35 :: v_dual_fmac_f32 v43, v51, v34
	v_dual_fma_f32 v37, v50, v34, -v37 :: v_dual_add_f32 v40, v40, v43
	v_mul_f32_e32 v43, v39, v33
	s_delay_alu instid0(VALU_DEP_1) | instskip(NEXT) | instid1(VALU_DEP_1)
	v_dual_add_f32 v37, v44, v37 :: v_dual_fma_f32 v43, v38, v32, -v43
	v_dual_mul_f32 v33, v38, v33 :: v_dual_add_f32 v41, v41, v43
	s_delay_alu instid0(VALU_DEP_1) | instskip(NEXT) | instid1(VALU_DEP_1)
	v_dual_fmac_f32 v33, v39, v32 :: v_dual_mul_f32 v32, v39, v35
	v_add_f32_e32 v42, v42, v33
	s_delay_alu instid0(VALU_DEP_2) | instskip(NEXT) | instid1(VALU_DEP_1)
	v_dual_fma_f32 v32, v38, v34, -v32 :: v_dual_mul_f32 v33, v38, v35
	v_dual_fmac_f32 v33, v39, v34 :: v_dual_add_f32 v28, v28, v32
	s_delay_alu instid0(VALU_DEP_1) | instskip(SKIP_3) | instid1(VALU_DEP_1)
	v_add_f32_e32 v30, v30, v33
	ds_load_2addr_b64 v[32:35], v5 offset0:128 offset1:144
	s_wait_dscnt 0x0
	v_dual_mul_f32 v38, v53, v33 :: v_dual_mul_f32 v39, v52, v33
	v_dual_fma_f32 v38, v52, v32, -v38 :: v_dual_fmac_f32 v39, v53, v32
	s_delay_alu instid0(VALU_DEP_1) | instskip(SKIP_1) | instid1(VALU_DEP_3)
	v_add_f32_e32 v20, v20, v38
	v_mul_f32_e32 v38, v52, v35
	v_add_f32_e32 v43, v36, v39
	v_mul_f32_e32 v36, v53, v35
	s_delay_alu instid0(VALU_DEP_1) | instskip(NEXT) | instid1(VALU_DEP_1)
	v_fma_f32 v36, v52, v34, -v36
	v_add_f32_e32 v44, v37, v36
	v_fmac_f32_e32 v38, v53, v34
	s_delay_alu instid0(VALU_DEP_1) | instskip(SKIP_3) | instid1(VALU_DEP_1)
	v_add_f32_e32 v40, v40, v38
	ds_load_b128 v[36:39], v31 offset:1056
	s_wait_dscnt 0x0
	v_dual_mul_f32 v45, v37, v33 :: v_dual_mul_f32 v33, v36, v33
	v_fma_f32 v45, v36, v32, -v45
	s_delay_alu instid0(VALU_DEP_2) | instskip(NEXT) | instid1(VALU_DEP_2)
	v_dual_fmac_f32 v33, v37, v32 :: v_dual_mul_f32 v32, v37, v35
	v_add_f32_e32 v41, v41, v45
	s_delay_alu instid0(VALU_DEP_2) | instskip(NEXT) | instid1(VALU_DEP_1)
	v_dual_add_f32 v42, v42, v33 :: v_dual_mul_f32 v33, v36, v35
	v_dual_fma_f32 v32, v36, v34, -v32 :: v_dual_fmac_f32 v33, v37, v34
	s_delay_alu instid0(VALU_DEP_1) | instskip(SKIP_3) | instid1(VALU_DEP_1)
	v_dual_add_f32 v28, v28, v32 :: v_dual_add_f32 v30, v30, v33
	ds_load_2addr_b64 v[32:35], v5 offset0:160 offset1:176
	s_wait_dscnt 0x0
	v_mul_f32_e32 v36, v55, v33
	v_dual_fma_f32 v36, v54, v32, -v36 :: v_dual_mul_f32 v37, v54, v33
	s_delay_alu instid0(VALU_DEP_1) | instskip(NEXT) | instid1(VALU_DEP_2)
	v_add_f32_e32 v20, v20, v36
	v_fmac_f32_e32 v37, v55, v32
	s_delay_alu instid0(VALU_DEP_1) | instskip(NEXT) | instid1(VALU_DEP_1)
	v_dual_add_f32 v36, v43, v37 :: v_dual_mul_f32 v43, v54, v35
	v_dual_mul_f32 v37, v55, v35 :: v_dual_fmac_f32 v43, v55, v34
	s_delay_alu instid0(VALU_DEP_1) | instskip(SKIP_1) | instid1(VALU_DEP_1)
	v_dual_fma_f32 v37, v54, v34, -v37 :: v_dual_add_f32 v40, v40, v43
	v_mul_f32_e32 v43, v39, v33
	v_dual_add_f32 v37, v44, v37 :: v_dual_fma_f32 v43, v38, v32, -v43
	s_delay_alu instid0(VALU_DEP_1) | instskip(NEXT) | instid1(VALU_DEP_1)
	v_dual_mul_f32 v33, v38, v33 :: v_dual_add_f32 v41, v41, v43
	v_dual_fmac_f32 v33, v39, v32 :: v_dual_mul_f32 v32, v39, v35
	s_delay_alu instid0(VALU_DEP_1) | instskip(NEXT) | instid1(VALU_DEP_2)
	v_add_f32_e32 v46, v42, v33
	v_dual_fma_f32 v32, v38, v34, -v32 :: v_dual_mul_f32 v33, v38, v35
	ds_load_b128 v[42:45], v31 offset:1072
	v_dual_fmac_f32 v33, v39, v34 :: v_dual_add_f32 v28, v28, v32
	s_delay_alu instid0(VALU_DEP_1) | instskip(SKIP_3) | instid1(VALU_DEP_1)
	v_add_f32_e32 v30, v30, v33
	ds_load_2addr_b64 v[32:35], v5 offset0:192 offset1:208
	s_wait_dscnt 0x0
	v_dual_mul_f32 v38, v1, v33 :: v_dual_mul_f32 v39, v0, v33
	v_dual_fma_f32 v38, v0, v32, -v38 :: v_dual_fmac_f32 v39, v1, v32
	s_delay_alu instid0(VALU_DEP_1) | instskip(NEXT) | instid1(VALU_DEP_1)
	v_dual_add_f32 v20, v20, v38 :: v_dual_mul_f32 v38, v1, v35
	v_dual_fma_f32 v38, v0, v34, -v38 :: v_dual_mul_f32 v0, v0, v35
	s_delay_alu instid0(VALU_DEP_1) | instskip(NEXT) | instid1(VALU_DEP_2)
	v_dual_add_f32 v36, v36, v39 :: v_dual_fmac_f32 v0, v1, v34
	v_dual_add_f32 v1, v37, v38 :: v_dual_mul_f32 v37, v43, v33
	s_delay_alu instid0(VALU_DEP_2) | instskip(NEXT) | instid1(VALU_DEP_2)
	v_dual_mul_f32 v33, v42, v33 :: v_dual_add_f32 v0, v40, v0
	v_fma_f32 v37, v42, v32, -v37
	s_delay_alu instid0(VALU_DEP_1) | instskip(NEXT) | instid1(VALU_DEP_1)
	v_dual_fmac_f32 v33, v43, v32 :: v_dual_add_f32 v32, v41, v37
	v_dual_add_f32 v33, v46, v33 :: v_dual_mul_f32 v37, v43, v35
	ds_load_2addr_b64 v[46:49], v5 offset0:224 offset1:240
	v_mul_f32_e32 v35, v42, v35
	s_wait_dscnt 0x0
	s_barrier_signal -1
	v_fma_f32 v37, v42, v34, -v37
	s_barrier_wait -1
	v_fmac_f32_e32 v35, v43, v34
	s_delay_alu instid0(VALU_DEP_1) | instskip(SKIP_1) | instid1(VALU_DEP_1)
	v_dual_add_f32 v28, v28, v37 :: v_dual_add_f32 v30, v30, v35
	v_dual_mul_f32 v34, v3, v47 :: v_dual_mul_f32 v35, v2, v47
	v_dual_fma_f32 v34, v2, v46, -v34 :: v_dual_fmac_f32 v35, v3, v46
	s_delay_alu instid0(VALU_DEP_1) | instskip(NEXT) | instid1(VALU_DEP_1)
	v_dual_add_f32 v40, v20, v34 :: v_dual_mul_f32 v20, v3, v49
	v_dual_add_f32 v42, v36, v35 :: v_dual_fma_f32 v20, v2, v48, -v20
	s_delay_alu instid0(VALU_DEP_1) | instskip(NEXT) | instid1(VALU_DEP_1)
	v_dual_mul_f32 v2, v2, v49 :: v_dual_add_f32 v36, v1, v20
	v_dual_fmac_f32 v2, v3, v48 :: v_dual_mul_f32 v1, v44, v47
	s_delay_alu instid0(VALU_DEP_1) | instskip(NEXT) | instid1(VALU_DEP_2)
	v_fmac_f32_e32 v1, v45, v46
	v_dual_add_f32 v38, v0, v2 :: v_dual_mul_f32 v0, v45, v47
	s_delay_alu instid0(VALU_DEP_2) | instskip(NEXT) | instid1(VALU_DEP_2)
	v_add_f32_e32 v34, v33, v1
	v_dual_mul_f32 v1, v44, v49 :: v_dual_fma_f32 v0, v44, v46, -v0
	s_delay_alu instid0(VALU_DEP_1) | instskip(NEXT) | instid1(VALU_DEP_2)
	v_fmac_f32_e32 v1, v45, v48
	v_dual_add_f32 v32, v32, v0 :: v_dual_mul_f32 v0, v45, v49
	s_delay_alu instid0(VALU_DEP_1) | instskip(NEXT) | instid1(VALU_DEP_1)
	v_dual_add_f32 v30, v30, v1 :: v_dual_fma_f32 v0, v44, v48, -v0
	v_add_f32_e32 v28, v28, v0
	s_cbranch_vccz .LBB251_20
.LBB251_9:                              ;   Parent Loop BB251_6 Depth=1
                                        ; =>  This Inner Loop Header: Depth=2
	s_mov_b32 s35, 0
	s_mov_b32 s37, s31
	s_and_saveexec_b32 s36, s0
	s_cbranch_execnz .LBB251_17
; %bb.10:                               ;   in Loop: Header=BB251_9 Depth=2
	s_or_b32 exec_lo, exec_lo, s36
	s_and_saveexec_b32 s36, s37
	s_delay_alu instid0(SALU_CYCLE_1)
	s_xor_b32 s36, exec_lo, s36
	s_cbranch_execnz .LBB251_18
.LBB251_11:                             ;   in Loop: Header=BB251_9 Depth=2
	s_or_b32 exec_lo, exec_lo, s36
	v_mov_b32_e32 v0, 0
	s_and_saveexec_b32 s36, s35
	s_cbranch_execz .LBB251_13
.LBB251_12:                             ;   in Loop: Header=BB251_9 Depth=2
	v_lshl_add_u64 v[0:1], v[22:23], 3, v[24:25]
	global_load_b64 v[2:3], v[0:1], off
	s_wait_loadcnt 0x0
	s_wait_xcnt 0x0
	v_xor_b32_e32 v0, 0x80000000, v3
	ds_store_b32 v7, v2
.LBB251_13:                             ;   in Loop: Header=BB251_9 Depth=2
	s_or_b32 exec_lo, exec_lo, s36
	v_add_nc_u32_e32 v20, s6, v4
	ds_store_b32 v7, v0 offset:4
	v_cmp_le_u64_e32 vcc_lo, s[12:13], v[20:21]
	s_or_b32 s35, vcc_lo, s34
	s_delay_alu instid0(SALU_CYCLE_1) | instskip(NEXT) | instid1(SALU_CYCLE_1)
	s_and_saveexec_b32 s36, s35
	s_xor_b32 s35, exec_lo, s36
; %bb.14:                               ;   in Loop: Header=BB251_9 Depth=2
	ds_store_b32 v29, v21
; %bb.15:                               ;   in Loop: Header=BB251_9 Depth=2
	s_or_saveexec_b32 s35, s35
	v_mov_b32_e32 v0, 0
	s_xor_b32 exec_lo, exec_lo, s35
	s_cbranch_execz .LBB251_8
; %bb.16:                               ;   in Loop: Header=BB251_9 Depth=2
	v_mul_u64_e32 v[0:1], s[16:17], v[20:21]
	s_delay_alu instid0(VALU_DEP_1)
	v_lshl_add_u64 v[0:1], v[0:1], 3, v[26:27]
	global_load_b64 v[2:3], v[0:1], off
	s_wait_loadcnt 0x0
	s_wait_xcnt 0x0
	v_xor_b32_e32 v0, 0x80000000, v3
	ds_store_b32 v29, v2
	s_branch .LBB251_8
.LBB251_17:                             ;   in Loop: Header=BB251_9 Depth=2
	v_add_nc_u32_e32 v20, s6, v6
	s_and_not1_b32 s37, s31, exec_lo
	s_mov_b32 s35, exec_lo
	s_delay_alu instid0(VALU_DEP_1) | instskip(SKIP_2) | instid1(SALU_CYCLE_1)
	v_cmp_le_u64_e32 vcc_lo, s[12:13], v[20:21]
	v_mov_b64_e32 v[22:23], v[20:21]
	s_and_b32 s38, vcc_lo, exec_lo
	s_or_b32 s37, s37, s38
	s_or_b32 exec_lo, exec_lo, s36
	s_and_saveexec_b32 s36, s37
	s_delay_alu instid0(SALU_CYCLE_1)
	s_xor_b32 s36, exec_lo, s36
	s_cbranch_execz .LBB251_11
.LBB251_18:                             ;   in Loop: Header=BB251_9 Depth=2
	s_and_not1_b32 s35, s35, exec_lo
	ds_store_b32 v7, v21
	s_or_b32 exec_lo, exec_lo, s36
	v_mov_b32_e32 v0, 0
	s_and_saveexec_b32 s36, s35
	s_cbranch_execnz .LBB251_12
	s_branch .LBB251_13
.LBB251_19:                             ;   in Loop: Header=BB251_6 Depth=1
	v_dual_mov_b32 v40, v21 :: v_dual_mov_b32 v42, v21
	v_dual_mov_b32 v36, v21 :: v_dual_mov_b32 v38, v21
	;; [unrolled: 1-line block ×4, first 2 shown]
.LBB251_20:                             ;   in Loop: Header=BB251_6 Depth=1
	s_mul_u64 s[6:7], s[28:29], s[26:27]
	s_delay_alu instid0(SALU_CYCLE_1) | instskip(NEXT) | instid1(SALU_CYCLE_1)
	s_lshl_b64 s[6:7], s[6:7], 3
	s_add_nc_u64 s[6:7], s[20:21], s[6:7]
	s_delay_alu instid0(SALU_CYCLE_1)
	v_lshl_add_u64 v[0:1], v[10:11], 3, s[6:7]
	s_and_saveexec_b32 s35, s11
	s_cbranch_execz .LBB251_25
; %bb.21:                               ;   in Loop: Header=BB251_6 Depth=1
	v_mov_b64_e32 v[2:3], s[4:5]
	v_mov_b64_e32 v[24:25], s[14:15]
	s_and_b32 vcc_lo, exec_lo, s10
	s_mov_b32 s36, -1
	s_delay_alu instid0(VALU_DEP_2) | instskip(NEXT) | instid1(VALU_DEP_1)
	v_pk_mul_f32 v[2:3], v[42:43], v[2:3] op_sel_hi:[0,1]
	v_pk_fma_f32 v[26:27], v[40:41], v[24:25], v[2:3] op_sel_hi:[0,1,1]
	v_pk_fma_f32 v[2:3], v[40:41], v[24:25], v[2:3] neg_lo:[0,0,1] neg_hi:[0,0,1]
	v_lshl_add_u64 v[24:25], v[8:9], 3, v[0:1]
	s_delay_alu instid0(VALU_DEP_3)
	v_mov_b32_e32 v3, v27
	s_cbranch_vccz .LBB251_23
; %bb.22:                               ;   in Loop: Header=BB251_6 Depth=1
	global_load_b64 v[26:27], v[24:25], off
	v_mov_b64_e32 v[40:41], s[24:25]
	v_mov_b64_e32 v[42:43], s[2:3]
	s_mov_b32 s36, 0
	s_wait_loadcnt 0x0
	s_delay_alu instid0(VALU_DEP_2) | instskip(NEXT) | instid1(VALU_DEP_1)
	v_pk_mul_f32 v[40:41], v[26:27], v[40:41]
	v_pk_fma_f32 v[44:45], v[26:27], v[42:43], v[40:41] op_sel:[0,0,1] op_sel_hi:[1,1,0]
	v_pk_fma_f32 v[26:27], v[26:27], v[42:43], v[40:41] op_sel:[0,0,1] op_sel_hi:[1,1,0] neg_lo:[0,0,1] neg_hi:[0,0,1]
	s_delay_alu instid0(VALU_DEP_2) | instskip(NEXT) | instid1(VALU_DEP_1)
	v_mov_b32_e32 v27, v45
	v_pk_add_f32 v[26:27], v[2:3], v[26:27]
	global_store_b64 v[24:25], v[26:27], off
.LBB251_23:                             ;   in Loop: Header=BB251_6 Depth=1
	s_and_not1_b32 vcc_lo, exec_lo, s36
	s_cbranch_vccnz .LBB251_25
; %bb.24:                               ;   in Loop: Header=BB251_6 Depth=1
	global_store_b64 v[24:25], v[2:3], off
.LBB251_25:                             ;   in Loop: Header=BB251_6 Depth=1
	s_wait_xcnt 0x0
	s_or_b32 exec_lo, exec_lo, s35
	s_and_saveexec_b32 s35, s22
	s_cbranch_execz .LBB251_30
; %bb.26:                               ;   in Loop: Header=BB251_6 Depth=1
	v_mov_b64_e32 v[2:3], s[4:5]
	v_mov_b64_e32 v[24:25], s[14:15]
	v_lshl_add_u64 v[0:1], v[18:19], 3, v[0:1]
	s_and_not1_b32 vcc_lo, exec_lo, s10
	s_mov_b32 s36, -1
	s_delay_alu instid0(VALU_DEP_3) | instskip(NEXT) | instid1(VALU_DEP_1)
	v_pk_mul_f32 v[2:3], v[38:39], v[2:3] op_sel_hi:[0,1]
	v_pk_fma_f32 v[26:27], v[36:37], v[24:25], v[2:3] op_sel_hi:[0,1,1]
	v_pk_fma_f32 v[2:3], v[36:37], v[24:25], v[2:3] neg_lo:[0,0,1] neg_hi:[0,0,1]
	s_delay_alu instid0(VALU_DEP_2)
	v_mov_b32_e32 v3, v27
	s_cbranch_vccnz .LBB251_28
; %bb.27:                               ;   in Loop: Header=BB251_6 Depth=1
	global_load_b64 v[24:25], v[0:1], off
	v_mov_b64_e32 v[26:27], s[24:25]
	v_mov_b64_e32 v[36:37], s[2:3]
	s_mov_b32 s36, 0
	s_wait_loadcnt 0x0
	s_delay_alu instid0(VALU_DEP_2) | instskip(NEXT) | instid1(VALU_DEP_1)
	v_pk_mul_f32 v[26:27], v[24:25], v[26:27]
	v_pk_fma_f32 v[38:39], v[24:25], v[36:37], v[26:27] op_sel:[0,0,1] op_sel_hi:[1,1,0]
	v_pk_fma_f32 v[24:25], v[24:25], v[36:37], v[26:27] op_sel:[0,0,1] op_sel_hi:[1,1,0] neg_lo:[0,0,1] neg_hi:[0,0,1]
	s_delay_alu instid0(VALU_DEP_2) | instskip(NEXT) | instid1(VALU_DEP_1)
	v_mov_b32_e32 v25, v39
	v_pk_add_f32 v[24:25], v[2:3], v[24:25]
	global_store_b64 v[0:1], v[24:25], off
.LBB251_28:                             ;   in Loop: Header=BB251_6 Depth=1
	s_and_not1_b32 vcc_lo, exec_lo, s36
	s_cbranch_vccnz .LBB251_30
; %bb.29:                               ;   in Loop: Header=BB251_6 Depth=1
	global_store_b64 v[0:1], v[2:3], off
.LBB251_30:                             ;   in Loop: Header=BB251_6 Depth=1
	s_wait_xcnt 0x0
	s_or_b32 exec_lo, exec_lo, s35
	v_lshl_add_u64 v[0:1], v[12:13], 3, s[6:7]
	s_and_saveexec_b32 s6, s1
	s_cbranch_execz .LBB251_35
; %bb.31:                               ;   in Loop: Header=BB251_6 Depth=1
	v_mov_b64_e32 v[2:3], s[4:5]
	v_mov_b64_e32 v[24:25], s[14:15]
	s_and_not1_b32 vcc_lo, exec_lo, s10
	s_mov_b32 s7, -1
	s_delay_alu instid0(VALU_DEP_2) | instskip(NEXT) | instid1(VALU_DEP_1)
	v_pk_mul_f32 v[2:3], v[34:35], v[2:3] op_sel_hi:[0,1]
	v_pk_fma_f32 v[26:27], v[32:33], v[24:25], v[2:3] op_sel_hi:[0,1,1]
	v_pk_fma_f32 v[2:3], v[32:33], v[24:25], v[2:3] neg_lo:[0,0,1] neg_hi:[0,0,1]
	v_lshl_add_u64 v[24:25], v[8:9], 3, v[0:1]
	s_delay_alu instid0(VALU_DEP_3)
	v_mov_b32_e32 v3, v27
	s_cbranch_vccnz .LBB251_33
; %bb.32:                               ;   in Loop: Header=BB251_6 Depth=1
	global_load_b64 v[26:27], v[24:25], off
	v_mov_b64_e32 v[32:33], s[24:25]
	v_mov_b64_e32 v[34:35], s[2:3]
	s_mov_b32 s7, 0
	s_wait_loadcnt 0x0
	s_delay_alu instid0(VALU_DEP_2) | instskip(NEXT) | instid1(VALU_DEP_1)
	v_pk_mul_f32 v[32:33], v[26:27], v[32:33]
	v_pk_fma_f32 v[36:37], v[26:27], v[34:35], v[32:33] op_sel:[0,0,1] op_sel_hi:[1,1,0]
	v_pk_fma_f32 v[26:27], v[26:27], v[34:35], v[32:33] op_sel:[0,0,1] op_sel_hi:[1,1,0] neg_lo:[0,0,1] neg_hi:[0,0,1]
	s_delay_alu instid0(VALU_DEP_2) | instskip(NEXT) | instid1(VALU_DEP_1)
	v_mov_b32_e32 v27, v37
	v_pk_add_f32 v[26:27], v[2:3], v[26:27]
	global_store_b64 v[24:25], v[26:27], off
.LBB251_33:                             ;   in Loop: Header=BB251_6 Depth=1
	s_and_not1_b32 vcc_lo, exec_lo, s7
	s_cbranch_vccnz .LBB251_35
; %bb.34:                               ;   in Loop: Header=BB251_6 Depth=1
	global_store_b64 v[24:25], v[2:3], off
.LBB251_35:                             ;   in Loop: Header=BB251_6 Depth=1
	s_wait_xcnt 0x0
	s_or_b32 exec_lo, exec_lo, s6
	s_and_saveexec_b32 s6, s23
	s_cbranch_execz .LBB251_5
; %bb.36:                               ;   in Loop: Header=BB251_6 Depth=1
	v_mov_b64_e32 v[2:3], s[4:5]
	v_mov_b64_e32 v[24:25], s[14:15]
	v_lshl_add_u64 v[0:1], v[18:19], 3, v[0:1]
	s_and_not1_b32 vcc_lo, exec_lo, s10
	s_mov_b32 s7, -1
	s_delay_alu instid0(VALU_DEP_3) | instskip(NEXT) | instid1(VALU_DEP_1)
	v_pk_mul_f32 v[2:3], v[30:31], v[2:3] op_sel_hi:[0,1]
	v_pk_fma_f32 v[26:27], v[28:29], v[24:25], v[2:3] op_sel_hi:[0,1,1]
	v_pk_fma_f32 v[2:3], v[28:29], v[24:25], v[2:3] neg_lo:[0,0,1] neg_hi:[0,0,1]
	s_delay_alu instid0(VALU_DEP_2)
	v_mov_b32_e32 v3, v27
	s_cbranch_vccnz .LBB251_38
; %bb.37:                               ;   in Loop: Header=BB251_6 Depth=1
	global_load_b64 v[24:25], v[0:1], off
	v_mov_b64_e32 v[26:27], s[24:25]
	v_mov_b64_e32 v[32:33], s[2:3]
	s_mov_b32 s7, 0
	s_wait_loadcnt 0x0
	s_delay_alu instid0(VALU_DEP_2) | instskip(NEXT) | instid1(VALU_DEP_1)
	v_pk_mul_f32 v[26:27], v[24:25], v[26:27]
	v_pk_fma_f32 v[34:35], v[24:25], v[32:33], v[26:27] op_sel:[0,0,1] op_sel_hi:[1,1,0]
	v_pk_fma_f32 v[24:25], v[24:25], v[32:33], v[26:27] op_sel:[0,0,1] op_sel_hi:[1,1,0] neg_lo:[0,0,1] neg_hi:[0,0,1]
	s_delay_alu instid0(VALU_DEP_2) | instskip(NEXT) | instid1(VALU_DEP_1)
	v_mov_b32_e32 v25, v35
	v_pk_add_f32 v[24:25], v[2:3], v[24:25]
	global_store_b64 v[0:1], v[24:25], off
.LBB251_38:                             ;   in Loop: Header=BB251_6 Depth=1
	s_and_not1_b32 vcc_lo, exec_lo, s7
	s_cbranch_vccnz .LBB251_5
; %bb.39:                               ;   in Loop: Header=BB251_6 Depth=1
	global_store_b64 v[0:1], v[2:3], off
	s_branch .LBB251_5
.LBB251_40:
	s_endpgm
	.section	.rodata,"a",@progbits
	.p2align	6, 0x0
	.amdhsa_kernel _ZL29rocblas_internal_gemmt_kernelIlLi16ELi32ELi8ELc67ELc67ELc76ELb1ELb1E19rocblas_complex_numIfES1_PKS1_PS1_EviT_T9_T10_S5_lS7_S5_lS6_T11_S5_li
		.amdhsa_group_segment_fixed_size 4096
		.amdhsa_private_segment_fixed_size 0
		.amdhsa_kernarg_size 108
		.amdhsa_user_sgpr_count 2
		.amdhsa_user_sgpr_dispatch_ptr 0
		.amdhsa_user_sgpr_queue_ptr 0
		.amdhsa_user_sgpr_kernarg_segment_ptr 1
		.amdhsa_user_sgpr_dispatch_id 0
		.amdhsa_user_sgpr_kernarg_preload_length 0
		.amdhsa_user_sgpr_kernarg_preload_offset 0
		.amdhsa_user_sgpr_private_segment_size 0
		.amdhsa_wavefront_size32 1
		.amdhsa_uses_dynamic_stack 0
		.amdhsa_enable_private_segment 0
		.amdhsa_system_sgpr_workgroup_id_x 1
		.amdhsa_system_sgpr_workgroup_id_y 1
		.amdhsa_system_sgpr_workgroup_id_z 1
		.amdhsa_system_sgpr_workgroup_info 0
		.amdhsa_system_vgpr_workitem_id 1
		.amdhsa_next_free_vgpr 60
		.amdhsa_next_free_sgpr 39
		.amdhsa_named_barrier_count 0
		.amdhsa_reserve_vcc 1
		.amdhsa_float_round_mode_32 0
		.amdhsa_float_round_mode_16_64 0
		.amdhsa_float_denorm_mode_32 3
		.amdhsa_float_denorm_mode_16_64 3
		.amdhsa_fp16_overflow 0
		.amdhsa_memory_ordered 1
		.amdhsa_forward_progress 1
		.amdhsa_inst_pref_size 26
		.amdhsa_round_robin_scheduling 0
		.amdhsa_exception_fp_ieee_invalid_op 0
		.amdhsa_exception_fp_denorm_src 0
		.amdhsa_exception_fp_ieee_div_zero 0
		.amdhsa_exception_fp_ieee_overflow 0
		.amdhsa_exception_fp_ieee_underflow 0
		.amdhsa_exception_fp_ieee_inexact 0
		.amdhsa_exception_int_div_zero 0
	.end_amdhsa_kernel
	.section	.text._ZL29rocblas_internal_gemmt_kernelIlLi16ELi32ELi8ELc67ELc67ELc76ELb1ELb1E19rocblas_complex_numIfES1_PKS1_PS1_EviT_T9_T10_S5_lS7_S5_lS6_T11_S5_li,"axG",@progbits,_ZL29rocblas_internal_gemmt_kernelIlLi16ELi32ELi8ELc67ELc67ELc76ELb1ELb1E19rocblas_complex_numIfES1_PKS1_PS1_EviT_T9_T10_S5_lS7_S5_lS6_T11_S5_li,comdat
.Lfunc_end251:
	.size	_ZL29rocblas_internal_gemmt_kernelIlLi16ELi32ELi8ELc67ELc67ELc76ELb1ELb1E19rocblas_complex_numIfES1_PKS1_PS1_EviT_T9_T10_S5_lS7_S5_lS6_T11_S5_li, .Lfunc_end251-_ZL29rocblas_internal_gemmt_kernelIlLi16ELi32ELi8ELc67ELc67ELc76ELb1ELb1E19rocblas_complex_numIfES1_PKS1_PS1_EviT_T9_T10_S5_lS7_S5_lS6_T11_S5_li
                                        ; -- End function
	.set _ZL29rocblas_internal_gemmt_kernelIlLi16ELi32ELi8ELc67ELc67ELc76ELb1ELb1E19rocblas_complex_numIfES1_PKS1_PS1_EviT_T9_T10_S5_lS7_S5_lS6_T11_S5_li.num_vgpr, 60
	.set _ZL29rocblas_internal_gemmt_kernelIlLi16ELi32ELi8ELc67ELc67ELc76ELb1ELb1E19rocblas_complex_numIfES1_PKS1_PS1_EviT_T9_T10_S5_lS7_S5_lS6_T11_S5_li.num_agpr, 0
	.set _ZL29rocblas_internal_gemmt_kernelIlLi16ELi32ELi8ELc67ELc67ELc76ELb1ELb1E19rocblas_complex_numIfES1_PKS1_PS1_EviT_T9_T10_S5_lS7_S5_lS6_T11_S5_li.numbered_sgpr, 39
	.set _ZL29rocblas_internal_gemmt_kernelIlLi16ELi32ELi8ELc67ELc67ELc76ELb1ELb1E19rocblas_complex_numIfES1_PKS1_PS1_EviT_T9_T10_S5_lS7_S5_lS6_T11_S5_li.num_named_barrier, 0
	.set _ZL29rocblas_internal_gemmt_kernelIlLi16ELi32ELi8ELc67ELc67ELc76ELb1ELb1E19rocblas_complex_numIfES1_PKS1_PS1_EviT_T9_T10_S5_lS7_S5_lS6_T11_S5_li.private_seg_size, 0
	.set _ZL29rocblas_internal_gemmt_kernelIlLi16ELi32ELi8ELc67ELc67ELc76ELb1ELb1E19rocblas_complex_numIfES1_PKS1_PS1_EviT_T9_T10_S5_lS7_S5_lS6_T11_S5_li.uses_vcc, 1
	.set _ZL29rocblas_internal_gemmt_kernelIlLi16ELi32ELi8ELc67ELc67ELc76ELb1ELb1E19rocblas_complex_numIfES1_PKS1_PS1_EviT_T9_T10_S5_lS7_S5_lS6_T11_S5_li.uses_flat_scratch, 0
	.set _ZL29rocblas_internal_gemmt_kernelIlLi16ELi32ELi8ELc67ELc67ELc76ELb1ELb1E19rocblas_complex_numIfES1_PKS1_PS1_EviT_T9_T10_S5_lS7_S5_lS6_T11_S5_li.has_dyn_sized_stack, 0
	.set _ZL29rocblas_internal_gemmt_kernelIlLi16ELi32ELi8ELc67ELc67ELc76ELb1ELb1E19rocblas_complex_numIfES1_PKS1_PS1_EviT_T9_T10_S5_lS7_S5_lS6_T11_S5_li.has_recursion, 0
	.set _ZL29rocblas_internal_gemmt_kernelIlLi16ELi32ELi8ELc67ELc67ELc76ELb1ELb1E19rocblas_complex_numIfES1_PKS1_PS1_EviT_T9_T10_S5_lS7_S5_lS6_T11_S5_li.has_indirect_call, 0
	.section	.AMDGPU.csdata,"",@progbits
; Kernel info:
; codeLenInByte = 3312
; TotalNumSgprs: 41
; NumVgprs: 60
; ScratchSize: 0
; MemoryBound: 0
; FloatMode: 240
; IeeeMode: 1
; LDSByteSize: 4096 bytes/workgroup (compile time only)
; SGPRBlocks: 0
; VGPRBlocks: 3
; NumSGPRsForWavesPerEU: 41
; NumVGPRsForWavesPerEU: 60
; NamedBarCnt: 0
; Occupancy: 16
; WaveLimiterHint : 0
; COMPUTE_PGM_RSRC2:SCRATCH_EN: 0
; COMPUTE_PGM_RSRC2:USER_SGPR: 2
; COMPUTE_PGM_RSRC2:TRAP_HANDLER: 0
; COMPUTE_PGM_RSRC2:TGID_X_EN: 1
; COMPUTE_PGM_RSRC2:TGID_Y_EN: 1
; COMPUTE_PGM_RSRC2:TGID_Z_EN: 1
; COMPUTE_PGM_RSRC2:TIDIG_COMP_CNT: 1
	.section	.text._ZL29rocblas_internal_gemmt_kernelIlLi16ELi32ELi8ELc78ELc78ELc85ELb0ELb0E19rocblas_complex_numIdEPKS1_S3_PS1_EviT_T9_T10_S5_lS7_S5_lS6_T11_S5_li,"axG",@progbits,_ZL29rocblas_internal_gemmt_kernelIlLi16ELi32ELi8ELc78ELc78ELc85ELb0ELb0E19rocblas_complex_numIdEPKS1_S3_PS1_EviT_T9_T10_S5_lS7_S5_lS6_T11_S5_li,comdat
	.globl	_ZL29rocblas_internal_gemmt_kernelIlLi16ELi32ELi8ELc78ELc78ELc85ELb0ELb0E19rocblas_complex_numIdEPKS1_S3_PS1_EviT_T9_T10_S5_lS7_S5_lS6_T11_S5_li ; -- Begin function _ZL29rocblas_internal_gemmt_kernelIlLi16ELi32ELi8ELc78ELc78ELc85ELb0ELb0E19rocblas_complex_numIdEPKS1_S3_PS1_EviT_T9_T10_S5_lS7_S5_lS6_T11_S5_li
	.p2align	8
	.type	_ZL29rocblas_internal_gemmt_kernelIlLi16ELi32ELi8ELc78ELc78ELc85ELb0ELb0E19rocblas_complex_numIdEPKS1_S3_PS1_EviT_T9_T10_S5_lS7_S5_lS6_T11_S5_li,@function
_ZL29rocblas_internal_gemmt_kernelIlLi16ELi32ELi8ELc78ELc78ELc85ELb0ELb0E19rocblas_complex_numIdEPKS1_S3_PS1_EviT_T9_T10_S5_lS7_S5_lS6_T11_S5_li: ; @_ZL29rocblas_internal_gemmt_kernelIlLi16ELi32ELi8ELc78ELc78ELc85ELb0ELb0E19rocblas_complex_numIdEPKS1_S3_PS1_EviT_T9_T10_S5_lS7_S5_lS6_T11_S5_li
; %bb.0:
	s_clause 0x1
	s_load_b256 s[20:27], s[0:1], 0x48
	s_load_b512 s[4:19], s[0:1], 0x8
	s_wait_kmcnt 0x0
	s_load_b128 s[28:31], s[20:21], 0x0
	s_load_b128 s[36:39], s[6:7], 0x0
	s_wait_kmcnt 0x0
	v_cmp_eq_f64_e64 s3, s[28:29], 1.0
	v_cmp_eq_f64_e64 s2, s[30:31], 0
	s_and_b32 s3, s3, s2
	s_delay_alu instid0(SALU_CYCLE_1)
	s_and_not1_b32 vcc_lo, exec_lo, s3
	s_mov_b32 s3, -1
	s_cbranch_vccnz .LBB252_3
; %bb.1:
	s_cmp_lg_u64 s[4:5], 0
	s_cbranch_scc0 .LBB252_41
; %bb.2:
	v_cmp_neq_f64_e64 s3, s[36:37], 0
	v_cmp_neq_f64_e64 s6, s[38:39], 0
	s_or_b32 s3, s3, s6
.LBB252_3:
	s_delay_alu instid0(SALU_CYCLE_1)
	s_and_b32 vcc_lo, exec_lo, s3
	s_cbranch_vccz .LBB252_42
; %bb.4:
	s_load_b32 s20, s[0:1], 0x68
	s_bfe_u32 s3, ttmp6, 0x40014
	s_lshr_b32 s6, ttmp7, 16
	s_add_co_i32 s3, s3, 1
	s_bfe_u32 s21, ttmp6, 0x40008
	s_mul_i32 s7, s6, s3
	s_getreg_b32 s3, hwreg(HW_REG_IB_STS2, 6, 4)
	s_add_co_i32 s21, s21, s7
	s_cmp_eq_u32 s3, 0
	s_mov_b32 s7, 0
	s_cselect_b32 s6, s6, s21
	s_wait_kmcnt 0x0
	s_cmp_ge_u32 s6, s20
	s_cbranch_scc1 .LBB252_42
; %bb.5:
	v_and_b32_e32 v10, 0x3ff, v0
	v_bfe_u32 v5, v0, 10, 10
	s_bfe_u32 s21, ttmp6, 0x4000c
	s_bfe_u32 s34, ttmp6, 0x40010
	s_add_co_i32 s21, s21, 1
	s_and_b32 s35, ttmp7, 0xffff
	s_add_co_i32 s34, s34, 1
	v_lshl_add_u32 v8, v5, 4, v10
	s_and_b32 s33, ttmp6, 15
	s_mul_i32 s21, ttmp9, s21
	s_mul_i32 s34, s35, s34
	s_bfe_u32 s40, ttmp6, 0x40004
	s_add_co_i32 s33, s33, s21
	s_add_co_i32 s40, s40, s34
	s_cmp_eq_u32 s3, 0
	v_lshrrev_b32_e32 v11, 3, v8
	s_cselect_b32 s3, s35, s40
	s_cselect_b32 s21, ttmp9, s33
	s_lshl_b32 s3, s3, 5
	s_delay_alu instid0(VALU_DEP_1) | instid1(SALU_CYCLE_1)
	v_dual_add_nc_u32 v2, s3, v11 :: v_dual_bitop2_b32 v6, 7, v0 bitop3:0x40
	v_add_nc_u32_e32 v4, s3, v5
	v_lshl_add_u32 v9, v5, 7, 0x1000
	v_cmp_neq_f64_e64 s33, s[36:37], 0
	v_cmp_neq_f64_e64 s34, s[38:39], 0
	v_ashrrev_i32_e32 v3, 31, v2
	v_cmp_neq_f64_e64 s35, s[28:29], 0
	s_xor_b32 s41, s2, -1
	v_cmp_gt_i64_e64 s40, s[4:5], 0
	v_mul_u64_e32 v[0:1], s[16:17], v[2:3]
	v_lshlrev_b32_e32 v3, 4, v6
	v_dual_lshlrev_b32 v7, 4, v10 :: v_dual_add_nc_u32 v22, 16, v4
	s_load_b32 s17, s[0:1], 0x0
	v_and_b32_e32 v16, 31, v8
	s_wait_xcnt 0x0
	s_lshl_b32 s0, s21, 5
	s_delay_alu instid0(SALU_CYCLE_1) | instskip(SKIP_2) | instid1(VALU_DEP_3)
	v_dual_ashrrev_i32 v5, 31, v4 :: v_dual_add_nc_u32 v10, s0, v10
	v_dual_ashrrev_i32 v23, 31, v22 :: v_dual_lshrrev_b32 v8, 5, v8
	v_or_b32_e32 v18, s0, v16
	v_mul_u64_e32 v[12:13], s[24:25], v[4:5]
	v_lshlrev_b32_e32 v5, 4, v16
	s_delay_alu instid0(VALU_DEP_4)
	v_mul_u64_e32 v[14:15], s[24:25], v[22:23]
	v_add_nc_u32_e32 v16, 16, v10
	v_cmp_le_i32_e32 vcc_lo, v10, v4
	v_ashrrev_i32_e32 v19, 31, v18
	v_lshl_or_b32 v3, v11, 7, v3
	v_lshl_or_b32 v42, v8, 9, v5
	v_cmp_le_i32_e64 s3, v16, v4
	v_dual_ashrrev_i32 v17, 31, v16 :: v_dual_ashrrev_i32 v11, 31, v10
	s_delay_alu instid0(VALU_DEP_4)
	v_add_nc_u32_e32 v43, 0x1000, v3
	s_wait_kmcnt 0x0
	v_cmp_gt_i32_e64 s2, s17, v4
	v_cmp_gt_i32_e64 s0, s17, v18
	v_cmp_le_i32_e64 s16, s17, v18
	v_cmp_gt_i32_e64 s1, s17, v2
	v_lshl_add_u64 v[18:19], v[18:19], 4, s[8:9]
	s_and_b32 s9, s2, vcc_lo
	v_cmp_gt_i32_e32 vcc_lo, s17, v22
	s_or_b32 s21, s33, s34
	v_lshl_add_u64 v[20:21], v[0:1], 4, s[14:15]
	s_and_b32 s14, s2, s3
	v_cmp_le_i32_e64 s2, v10, v22
	v_cmp_le_i32_e64 s3, v16, v22
	v_mov_b32_e32 v1, 0
	s_or_b32 s8, s35, s41
	s_and_b32 s15, s21, s40
	s_and_b32 s17, vcc_lo, s2
	s_and_b32 s21, vcc_lo, s3
	s_xor_b32 s1, s1, -1
                                        ; implicit-def: $vgpr22_vgpr23
	s_branch .LBB252_7
.LBB252_6:                              ;   in Loop: Header=BB252_7 Depth=1
	s_wait_xcnt 0x0
	s_or_b32 exec_lo, exec_lo, s2
	s_add_co_i32 s6, s6, 0x10000
	s_delay_alu instid0(SALU_CYCLE_1)
	s_cmp_lt_u32 s6, s20
	s_cbranch_scc0 .LBB252_42
.LBB252_7:                              ; =>This Loop Header: Depth=1
                                        ;     Child Loop BB252_10 Depth 2
	v_mov_b64_e32 v[34:35], 0
	s_and_not1_b32 vcc_lo, exec_lo, s15
	s_cbranch_vccnz .LBB252_20
; %bb.8:                                ;   in Loop: Header=BB252_7 Depth=1
	s_mul_u64 s[2:3], s[18:19], s[6:7]
	s_mul_u64 s[24:25], s[12:13], s[6:7]
	v_mov_b64_e32 v[38:39], 0
	v_mov_b64_e32 v[40:41], 0
	;; [unrolled: 1-line block ×8, first 2 shown]
	v_lshl_add_u64 v[4:5], s[24:25], 4, v[18:19]
	v_lshl_add_u64 v[24:25], s[2:3], 4, v[20:21]
	s_mov_b64 s[2:3], 0
	s_branch .LBB252_10
.LBB252_9:                              ;   in Loop: Header=BB252_10 Depth=2
	s_wait_xcnt 0x0
	s_or_b32 exec_lo, exec_lo, s24
	s_wait_dscnt 0x0
	s_barrier_signal -1
	s_barrier_wait -1
	ds_load_b128 v[44:47], v9
	ds_load_b128 v[48:51], v9 offset:16
	ds_load_b128 v[52:55], v9 offset:32
	;; [unrolled: 1-line block ×3, first 2 shown]
	ds_load_b128 v[60:63], v7
	s_add_nc_u64 s[2:3], s[2:3], 8
	s_delay_alu instid0(SALU_CYCLE_1) | instskip(SKIP_4) | instid1(VALU_DEP_2)
	v_cmp_gt_i64_e64 s24, s[4:5], s[2:3]
	s_and_b32 vcc_lo, exec_lo, s24
	s_wait_dscnt 0x0
	v_mul_f64_e32 v[2:3], v[46:47], v[62:63]
	v_mul_f64_e32 v[64:65], v[44:45], v[62:63]
	v_fma_f64 v[2:3], v[44:45], v[60:61], -v[2:3]
	s_delay_alu instid0(VALU_DEP_2) | instskip(NEXT) | instid1(VALU_DEP_2)
	v_fmac_f64_e32 v[64:65], v[46:47], v[60:61]
	v_add_f64_e32 v[2:3], v[34:35], v[2:3]
	s_delay_alu instid0(VALU_DEP_2) | instskip(SKIP_3) | instid1(VALU_DEP_1)
	v_add_f64_e32 v[64:65], v[64:65], v[36:37]
	ds_load_b128 v[34:37], v7 offset:256
	s_wait_dscnt 0x0
	v_mul_f64_e32 v[66:67], v[46:47], v[36:37]
	v_fma_f64 v[66:67], v[44:45], v[34:35], -v[66:67]
	v_mul_f64_e32 v[44:45], v[44:45], v[36:37]
	s_delay_alu instid0(VALU_DEP_1) | instskip(NEXT) | instid1(VALU_DEP_3)
	v_fmac_f64_e32 v[44:45], v[46:47], v[34:35]
	v_add_f64_e32 v[46:47], v[26:27], v[66:67]
	s_delay_alu instid0(VALU_DEP_2) | instskip(SKIP_4) | instid1(VALU_DEP_2)
	v_add_f64_e32 v[44:45], v[44:45], v[28:29]
	ds_load_b128 v[26:29], v9 offset:2048
	s_wait_dscnt 0x0
	v_mul_f64_e32 v[66:67], v[28:29], v[62:63]
	v_mul_f64_e32 v[62:63], v[26:27], v[62:63]
	v_fma_f64 v[66:67], v[26:27], v[60:61], -v[66:67]
	s_delay_alu instid0(VALU_DEP_2) | instskip(NEXT) | instid1(VALU_DEP_2)
	v_fmac_f64_e32 v[62:63], v[28:29], v[60:61]
	v_add_f64_e32 v[60:61], v[30:31], v[66:67]
	v_mul_f64_e32 v[30:31], v[28:29], v[36:37]
	s_delay_alu instid0(VALU_DEP_3) | instskip(NEXT) | instid1(VALU_DEP_2)
	v_add_f64_e32 v[62:63], v[62:63], v[32:33]
	v_fma_f64 v[30:31], v[26:27], v[34:35], -v[30:31]
	v_mul_f64_e32 v[26:27], v[26:27], v[36:37]
	s_delay_alu instid0(VALU_DEP_2) | instskip(NEXT) | instid1(VALU_DEP_2)
	v_add_f64_e32 v[40:41], v[40:41], v[30:31]
	v_fmac_f64_e32 v[26:27], v[28:29], v[34:35]
	s_delay_alu instid0(VALU_DEP_1) | instskip(SKIP_4) | instid1(VALU_DEP_2)
	v_add_f64_e32 v[38:39], v[26:27], v[38:39]
	ds_load_b128 v[26:29], v7 offset:512
	s_wait_dscnt 0x0
	v_mul_f64_e32 v[30:31], v[50:51], v[28:29]
	v_mul_f64_e32 v[32:33], v[48:49], v[28:29]
	v_fma_f64 v[30:31], v[48:49], v[26:27], -v[30:31]
	s_delay_alu instid0(VALU_DEP_2) | instskip(NEXT) | instid1(VALU_DEP_2)
	v_fmac_f64_e32 v[32:33], v[50:51], v[26:27]
	v_add_f64_e32 v[2:3], v[2:3], v[30:31]
	s_delay_alu instid0(VALU_DEP_2) | instskip(SKIP_4) | instid1(VALU_DEP_2)
	v_add_f64_e32 v[64:65], v[32:33], v[64:65]
	ds_load_b128 v[30:33], v7 offset:768
	s_wait_dscnt 0x0
	v_mul_f64_e32 v[34:35], v[50:51], v[32:33]
	v_mul_f64_e32 v[36:37], v[48:49], v[32:33]
	v_fma_f64 v[34:35], v[48:49], v[30:31], -v[34:35]
	s_delay_alu instid0(VALU_DEP_2) | instskip(NEXT) | instid1(VALU_DEP_2)
	v_fmac_f64_e32 v[36:37], v[50:51], v[30:31]
	v_add_f64_e32 v[46:47], v[46:47], v[34:35]
	s_delay_alu instid0(VALU_DEP_2) | instskip(SKIP_4) | instid1(VALU_DEP_2)
	v_add_f64_e32 v[44:45], v[36:37], v[44:45]
	ds_load_b128 v[34:37], v9 offset:2064
	s_wait_dscnt 0x0
	v_mul_f64_e32 v[48:49], v[36:37], v[28:29]
	v_mul_f64_e32 v[28:29], v[34:35], v[28:29]
	v_fma_f64 v[48:49], v[34:35], v[26:27], -v[48:49]
	s_delay_alu instid0(VALU_DEP_2) | instskip(SKIP_1) | instid1(VALU_DEP_3)
	v_fmac_f64_e32 v[28:29], v[36:37], v[26:27]
	v_mul_f64_e32 v[26:27], v[36:37], v[32:33]
	v_add_f64_e32 v[48:49], v[60:61], v[48:49]
	s_delay_alu instid0(VALU_DEP_3) | instskip(SKIP_1) | instid1(VALU_DEP_4)
	v_add_f64_e32 v[50:51], v[28:29], v[62:63]
	v_mul_f64_e32 v[28:29], v[34:35], v[32:33]
	v_fma_f64 v[26:27], v[34:35], v[30:31], -v[26:27]
	s_delay_alu instid0(VALU_DEP_2) | instskip(NEXT) | instid1(VALU_DEP_2)
	v_fmac_f64_e32 v[28:29], v[36:37], v[30:31]
	v_add_f64_e32 v[40:41], v[40:41], v[26:27]
	s_delay_alu instid0(VALU_DEP_2) | instskip(SKIP_4) | instid1(VALU_DEP_2)
	v_add_f64_e32 v[38:39], v[28:29], v[38:39]
	ds_load_b128 v[26:29], v7 offset:1024
	s_wait_dscnt 0x0
	v_mul_f64_e32 v[30:31], v[54:55], v[28:29]
	v_mul_f64_e32 v[32:33], v[52:53], v[28:29]
	v_fma_f64 v[30:31], v[52:53], v[26:27], -v[30:31]
	s_delay_alu instid0(VALU_DEP_2) | instskip(NEXT) | instid1(VALU_DEP_2)
	v_fmac_f64_e32 v[32:33], v[54:55], v[26:27]
	v_add_f64_e32 v[2:3], v[2:3], v[30:31]
	s_delay_alu instid0(VALU_DEP_2) | instskip(SKIP_4) | instid1(VALU_DEP_2)
	v_add_f64_e32 v[60:61], v[32:33], v[64:65]
	ds_load_b128 v[30:33], v7 offset:1280
	s_wait_dscnt 0x0
	v_mul_f64_e32 v[34:35], v[54:55], v[32:33]
	;; [unrolled: 10-line block ×3, first 2 shown]
	v_mul_f64_e32 v[28:29], v[34:35], v[28:29]
	v_fma_f64 v[52:53], v[34:35], v[26:27], -v[52:53]
	s_delay_alu instid0(VALU_DEP_2) | instskip(SKIP_1) | instid1(VALU_DEP_3)
	v_fmac_f64_e32 v[28:29], v[36:37], v[26:27]
	v_mul_f64_e32 v[26:27], v[36:37], v[32:33]
	v_add_f64_e32 v[48:49], v[48:49], v[52:53]
	s_delay_alu instid0(VALU_DEP_3) | instskip(SKIP_1) | instid1(VALU_DEP_4)
	v_add_f64_e32 v[50:51], v[28:29], v[50:51]
	v_mul_f64_e32 v[28:29], v[34:35], v[32:33]
	v_fma_f64 v[26:27], v[34:35], v[30:31], -v[26:27]
	s_delay_alu instid0(VALU_DEP_2) | instskip(NEXT) | instid1(VALU_DEP_2)
	v_fmac_f64_e32 v[28:29], v[36:37], v[30:31]
	v_add_f64_e32 v[40:41], v[40:41], v[26:27]
	s_delay_alu instid0(VALU_DEP_2) | instskip(SKIP_4) | instid1(VALU_DEP_2)
	v_add_f64_e32 v[38:39], v[28:29], v[38:39]
	ds_load_b128 v[26:29], v7 offset:1536
	s_wait_dscnt 0x0
	v_mul_f64_e32 v[30:31], v[58:59], v[28:29]
	v_mul_f64_e32 v[32:33], v[56:57], v[28:29]
	v_fma_f64 v[30:31], v[56:57], v[26:27], -v[30:31]
	s_delay_alu instid0(VALU_DEP_2) | instskip(NEXT) | instid1(VALU_DEP_2)
	v_fmac_f64_e32 v[32:33], v[58:59], v[26:27]
	v_add_f64_e32 v[2:3], v[2:3], v[30:31]
	s_delay_alu instid0(VALU_DEP_2) | instskip(SKIP_4) | instid1(VALU_DEP_2)
	v_add_f64_e32 v[52:53], v[32:33], v[60:61]
	ds_load_b128 v[30:33], v7 offset:1792
	s_wait_dscnt 0x0
	v_mul_f64_e32 v[34:35], v[58:59], v[32:33]
	;; [unrolled: 10-line block ×3, first 2 shown]
	v_mul_f64_e32 v[28:29], v[34:35], v[28:29]
	v_fma_f64 v[54:55], v[34:35], v[26:27], -v[54:55]
	s_delay_alu instid0(VALU_DEP_2) | instskip(SKIP_1) | instid1(VALU_DEP_3)
	v_fmac_f64_e32 v[28:29], v[36:37], v[26:27]
	v_mul_f64_e32 v[26:27], v[36:37], v[32:33]
	v_add_f64_e32 v[48:49], v[48:49], v[54:55]
	s_delay_alu instid0(VALU_DEP_3) | instskip(SKIP_1) | instid1(VALU_DEP_4)
	v_add_f64_e32 v[50:51], v[28:29], v[50:51]
	v_mul_f64_e32 v[28:29], v[34:35], v[32:33]
	v_fma_f64 v[26:27], v[34:35], v[30:31], -v[26:27]
	s_delay_alu instid0(VALU_DEP_2) | instskip(NEXT) | instid1(VALU_DEP_2)
	v_fmac_f64_e32 v[28:29], v[36:37], v[30:31]
	v_add_f64_e32 v[40:41], v[40:41], v[26:27]
	s_delay_alu instid0(VALU_DEP_2)
	v_add_f64_e32 v[38:39], v[28:29], v[38:39]
	ds_load_b128 v[26:29], v9 offset:64
	ds_load_b128 v[30:33], v7 offset:2048
	s_wait_dscnt 0x0
	v_mul_f64_e32 v[34:35], v[28:29], v[32:33]
	v_mul_f64_e32 v[36:37], v[26:27], v[32:33]
	s_delay_alu instid0(VALU_DEP_2) | instskip(NEXT) | instid1(VALU_DEP_2)
	v_fma_f64 v[34:35], v[26:27], v[30:31], -v[34:35]
	v_fmac_f64_e32 v[36:37], v[28:29], v[30:31]
	s_delay_alu instid0(VALU_DEP_2) | instskip(NEXT) | instid1(VALU_DEP_2)
	v_add_f64_e32 v[2:3], v[2:3], v[34:35]
	v_add_f64_e32 v[52:53], v[36:37], v[52:53]
	ds_load_b128 v[34:37], v7 offset:2304
	s_wait_dscnt 0x0
	v_mul_f64_e32 v[54:55], v[28:29], v[36:37]
	s_delay_alu instid0(VALU_DEP_1) | instskip(SKIP_1) | instid1(VALU_DEP_2)
	v_fma_f64 v[54:55], v[26:27], v[34:35], -v[54:55]
	v_mul_f64_e32 v[26:27], v[26:27], v[36:37]
	v_add_f64_e32 v[46:47], v[46:47], v[54:55]
	s_delay_alu instid0(VALU_DEP_2) | instskip(NEXT) | instid1(VALU_DEP_1)
	v_fmac_f64_e32 v[26:27], v[28:29], v[34:35]
	v_add_f64_e32 v[44:45], v[26:27], v[44:45]
	ds_load_b128 v[26:29], v9 offset:2112
	s_wait_dscnt 0x0
	v_mul_f64_e32 v[54:55], v[28:29], v[32:33]
	v_mul_f64_e32 v[32:33], v[26:27], v[32:33]
	s_delay_alu instid0(VALU_DEP_2) | instskip(NEXT) | instid1(VALU_DEP_2)
	v_fma_f64 v[54:55], v[26:27], v[30:31], -v[54:55]
	v_fmac_f64_e32 v[32:33], v[28:29], v[30:31]
	v_mul_f64_e32 v[30:31], v[28:29], v[36:37]
	s_delay_alu instid0(VALU_DEP_3) | instskip(NEXT) | instid1(VALU_DEP_3)
	v_add_f64_e32 v[48:49], v[48:49], v[54:55]
	v_add_f64_e32 v[50:51], v[32:33], v[50:51]
	s_delay_alu instid0(VALU_DEP_3) | instskip(SKIP_1) | instid1(VALU_DEP_2)
	v_fma_f64 v[30:31], v[26:27], v[34:35], -v[30:31]
	v_mul_f64_e32 v[26:27], v[26:27], v[36:37]
	v_add_f64_e32 v[40:41], v[40:41], v[30:31]
	s_delay_alu instid0(VALU_DEP_2) | instskip(NEXT) | instid1(VALU_DEP_1)
	v_fmac_f64_e32 v[26:27], v[28:29], v[34:35]
	v_add_f64_e32 v[38:39], v[26:27], v[38:39]
	ds_load_b128 v[26:29], v9 offset:80
	ds_load_b128 v[30:33], v7 offset:2560
	s_wait_dscnt 0x0
	v_mul_f64_e32 v[34:35], v[28:29], v[32:33]
	v_mul_f64_e32 v[36:37], v[26:27], v[32:33]
	s_delay_alu instid0(VALU_DEP_2) | instskip(NEXT) | instid1(VALU_DEP_2)
	v_fma_f64 v[34:35], v[26:27], v[30:31], -v[34:35]
	v_fmac_f64_e32 v[36:37], v[28:29], v[30:31]
	s_delay_alu instid0(VALU_DEP_2) | instskip(NEXT) | instid1(VALU_DEP_2)
	v_add_f64_e32 v[2:3], v[2:3], v[34:35]
	v_add_f64_e32 v[52:53], v[36:37], v[52:53]
	ds_load_b128 v[34:37], v7 offset:2816
	s_wait_dscnt 0x0
	v_mul_f64_e32 v[54:55], v[28:29], v[36:37]
	s_delay_alu instid0(VALU_DEP_1) | instskip(SKIP_1) | instid1(VALU_DEP_2)
	v_fma_f64 v[54:55], v[26:27], v[34:35], -v[54:55]
	v_mul_f64_e32 v[26:27], v[26:27], v[36:37]
	v_add_f64_e32 v[46:47], v[46:47], v[54:55]
	s_delay_alu instid0(VALU_DEP_2) | instskip(NEXT) | instid1(VALU_DEP_1)
	v_fmac_f64_e32 v[26:27], v[28:29], v[34:35]
	v_add_f64_e32 v[44:45], v[26:27], v[44:45]
	ds_load_b128 v[26:29], v9 offset:2128
	s_wait_dscnt 0x0
	v_mul_f64_e32 v[54:55], v[28:29], v[32:33]
	v_mul_f64_e32 v[32:33], v[26:27], v[32:33]
	s_delay_alu instid0(VALU_DEP_2) | instskip(NEXT) | instid1(VALU_DEP_2)
	v_fma_f64 v[54:55], v[26:27], v[30:31], -v[54:55]
	v_fmac_f64_e32 v[32:33], v[28:29], v[30:31]
	v_mul_f64_e32 v[30:31], v[28:29], v[36:37]
	s_delay_alu instid0(VALU_DEP_3) | instskip(NEXT) | instid1(VALU_DEP_3)
	v_add_f64_e32 v[48:49], v[48:49], v[54:55]
	v_add_f64_e32 v[50:51], v[32:33], v[50:51]
	s_delay_alu instid0(VALU_DEP_3) | instskip(SKIP_1) | instid1(VALU_DEP_2)
	v_fma_f64 v[30:31], v[26:27], v[34:35], -v[30:31]
	v_mul_f64_e32 v[26:27], v[26:27], v[36:37]
	v_add_f64_e32 v[40:41], v[40:41], v[30:31]
	s_delay_alu instid0(VALU_DEP_2) | instskip(NEXT) | instid1(VALU_DEP_1)
	v_fmac_f64_e32 v[26:27], v[28:29], v[34:35]
	;; [unrolled: 39-line block ×3, first 2 shown]
	v_add_f64_e32 v[56:57], v[26:27], v[38:39]
	ds_load_b128 v[26:29], v9 offset:112
	ds_load_b128 v[30:33], v7 offset:3584
	;; [unrolled: 1-line block ×3, first 2 shown]
	s_wait_dscnt 0x1
	v_mul_f64_e32 v[34:35], v[28:29], v[32:33]
	v_mul_f64_e32 v[36:37], v[26:27], v[32:33]
	s_delay_alu instid0(VALU_DEP_2) | instskip(NEXT) | instid1(VALU_DEP_2)
	v_fma_f64 v[34:35], v[26:27], v[30:31], -v[34:35]
	v_fmac_f64_e32 v[36:37], v[28:29], v[30:31]
	s_delay_alu instid0(VALU_DEP_2) | instskip(NEXT) | instid1(VALU_DEP_2)
	v_add_f64_e32 v[34:35], v[2:3], v[34:35]
	v_add_f64_e32 v[36:37], v[36:37], v[52:53]
	s_wait_dscnt 0x0
	v_mul_f64_e32 v[2:3], v[28:29], v[40:41]
	v_mul_f64_e32 v[52:53], v[26:27], v[40:41]
	s_delay_alu instid0(VALU_DEP_2) | instskip(NEXT) | instid1(VALU_DEP_2)
	v_fma_f64 v[2:3], v[26:27], v[38:39], -v[2:3]
	v_fmac_f64_e32 v[52:53], v[28:29], v[38:39]
	s_delay_alu instid0(VALU_DEP_2) | instskip(NEXT) | instid1(VALU_DEP_2)
	v_add_f64_e32 v[26:27], v[46:47], v[2:3]
	v_add_f64_e32 v[28:29], v[52:53], v[44:45]
	ds_load_b128 v[44:47], v9 offset:2160
	s_wait_dscnt 0x0
	s_barrier_signal -1
	s_barrier_wait -1
	v_mul_f64_e32 v[2:3], v[46:47], v[32:33]
	v_mul_f64_e32 v[32:33], v[44:45], v[32:33]
	s_delay_alu instid0(VALU_DEP_2) | instskip(NEXT) | instid1(VALU_DEP_2)
	v_fma_f64 v[2:3], v[44:45], v[30:31], -v[2:3]
	v_fmac_f64_e32 v[32:33], v[46:47], v[30:31]
	s_delay_alu instid0(VALU_DEP_2) | instskip(SKIP_1) | instid1(VALU_DEP_3)
	v_add_f64_e32 v[30:31], v[48:49], v[2:3]
	v_mul_f64_e32 v[2:3], v[46:47], v[40:41]
	v_add_f64_e32 v[32:33], v[32:33], v[50:51]
	s_delay_alu instid0(VALU_DEP_2) | instskip(SKIP_1) | instid1(VALU_DEP_2)
	v_fma_f64 v[2:3], v[44:45], v[38:39], -v[2:3]
	v_mul_f64_e32 v[44:45], v[44:45], v[40:41]
	v_add_f64_e32 v[40:41], v[54:55], v[2:3]
	s_delay_alu instid0(VALU_DEP_2) | instskip(NEXT) | instid1(VALU_DEP_1)
	v_fmac_f64_e32 v[44:45], v[46:47], v[38:39]
	v_add_f64_e32 v[38:39], v[44:45], v[56:57]
	s_cbranch_vccz .LBB252_21
.LBB252_10:                             ;   Parent Loop BB252_7 Depth=1
                                        ; =>  This Inner Loop Header: Depth=2
	s_mov_b32 s24, 0
	s_mov_b32 s33, s16
	s_and_saveexec_b32 s25, s0
	s_cbranch_execnz .LBB252_18
; %bb.11:                               ;   in Loop: Header=BB252_10 Depth=2
	s_or_b32 exec_lo, exec_lo, s25
	s_and_saveexec_b32 s25, s33
	s_delay_alu instid0(SALU_CYCLE_1)
	s_xor_b32 s25, exec_lo, s25
	s_cbranch_execnz .LBB252_19
.LBB252_12:                             ;   in Loop: Header=BB252_10 Depth=2
	s_or_b32 exec_lo, exec_lo, s25
	s_and_saveexec_b32 s25, s24
	s_cbranch_execz .LBB252_14
.LBB252_13:                             ;   in Loop: Header=BB252_10 Depth=2
	v_mul_u64_e32 v[2:3], s[10:11], v[22:23]
	s_delay_alu instid0(VALU_DEP_1)
	v_lshl_add_u64 v[2:3], v[2:3], 4, v[4:5]
	global_load_b128 v[44:47], v[2:3], off
	s_wait_loadcnt 0x0
	ds_store_2addr_b64 v42, v[44:45], v[46:47] offset1:1
.LBB252_14:                             ;   in Loop: Header=BB252_10 Depth=2
	s_wait_xcnt 0x0
	s_or_b32 exec_lo, exec_lo, s25
	v_add_nc_u32_e32 v0, s2, v6
	s_delay_alu instid0(VALU_DEP_1) | instskip(SKIP_1) | instid1(SALU_CYCLE_1)
	v_cmp_le_u64_e32 vcc_lo, s[4:5], v[0:1]
	s_or_b32 s24, vcc_lo, s1
	s_and_saveexec_b32 s25, s24
	s_delay_alu instid0(SALU_CYCLE_1)
	s_xor_b32 s24, exec_lo, s25
; %bb.15:                               ;   in Loop: Header=BB252_10 Depth=2
	v_dual_mov_b32 v0, v1 :: v_dual_mov_b32 v2, v1
	v_mov_b32_e32 v3, v1
	ds_store_b128 v43, v[0:3]
; %bb.16:                               ;   in Loop: Header=BB252_10 Depth=2
	s_and_not1_saveexec_b32 s24, s24
	s_cbranch_execz .LBB252_9
; %bb.17:                               ;   in Loop: Header=BB252_10 Depth=2
	v_lshl_add_u64 v[2:3], v[0:1], 4, v[24:25]
	global_load_b128 v[44:47], v[2:3], off
	s_wait_loadcnt 0x0
	ds_store_2addr_b64 v43, v[44:45], v[46:47] offset1:1
	s_branch .LBB252_9
.LBB252_18:                             ;   in Loop: Header=BB252_10 Depth=2
	v_add_nc_u32_e32 v0, s2, v8
	s_and_not1_b32 s33, s16, exec_lo
	s_mov_b32 s24, exec_lo
	s_delay_alu instid0(VALU_DEP_1) | instskip(SKIP_2) | instid1(SALU_CYCLE_1)
	v_cmp_le_u64_e32 vcc_lo, s[4:5], v[0:1]
	v_mov_b64_e32 v[22:23], v[0:1]
	s_and_b32 s34, vcc_lo, exec_lo
	s_or_b32 s33, s33, s34
	s_or_b32 exec_lo, exec_lo, s25
	s_and_saveexec_b32 s25, s33
	s_delay_alu instid0(SALU_CYCLE_1)
	s_xor_b32 s25, exec_lo, s25
	s_cbranch_execz .LBB252_12
.LBB252_19:                             ;   in Loop: Header=BB252_10 Depth=2
	v_dual_mov_b32 v0, v1 :: v_dual_mov_b32 v2, v1
	v_mov_b32_e32 v3, v1
	s_and_not1_b32 s24, s24, exec_lo
	ds_store_b128 v42, v[0:3]
	s_or_b32 exec_lo, exec_lo, s25
	s_and_saveexec_b32 s25, s24
	s_cbranch_execnz .LBB252_13
	s_branch .LBB252_14
.LBB252_20:                             ;   in Loop: Header=BB252_7 Depth=1
	v_mov_b64_e32 v[36:37], 0
	v_mov_b64_e32 v[26:27], 0
	;; [unrolled: 1-line block ×7, first 2 shown]
.LBB252_21:                             ;   in Loop: Header=BB252_7 Depth=1
	s_mul_u64 s[2:3], s[26:27], s[6:7]
	s_delay_alu instid0(SALU_CYCLE_1) | instskip(NEXT) | instid1(SALU_CYCLE_1)
	s_lshl_b64 s[2:3], s[2:3], 4
	s_add_nc_u64 s[2:3], s[22:23], s[2:3]
	s_delay_alu instid0(SALU_CYCLE_1)
	v_lshl_add_u64 v[24:25], v[12:13], 4, s[2:3]
	s_and_saveexec_b32 s24, s9
	s_cbranch_execz .LBB252_26
; %bb.22:                               ;   in Loop: Header=BB252_7 Depth=1
	v_mul_f64_e32 v[2:3], s[38:39], v[36:37]
	v_mul_f64_e32 v[4:5], s[36:37], v[36:37]
	s_and_b32 vcc_lo, exec_lo, s8
	s_mov_b32 s25, -1
	s_delay_alu instid0(VALU_DEP_2) | instskip(NEXT) | instid1(VALU_DEP_2)
	v_fma_f64 v[2:3], s[36:37], v[34:35], -v[2:3]
	v_fmac_f64_e32 v[4:5], s[38:39], v[34:35]
	v_lshl_add_u64 v[34:35], v[10:11], 4, v[24:25]
	s_cbranch_vccz .LBB252_24
; %bb.23:                               ;   in Loop: Header=BB252_7 Depth=1
	global_load_b128 v[44:47], v[34:35], off
	s_mov_b32 s25, 0
	s_wait_loadcnt 0x0
	v_mul_f64_e32 v[36:37], s[30:31], v[46:47]
	v_mul_f64_e32 v[46:47], s[28:29], v[46:47]
	s_delay_alu instid0(VALU_DEP_2) | instskip(NEXT) | instid1(VALU_DEP_2)
	v_fma_f64 v[36:37], s[28:29], v[44:45], -v[36:37]
	v_fmac_f64_e32 v[46:47], s[30:31], v[44:45]
	s_delay_alu instid0(VALU_DEP_2) | instskip(NEXT) | instid1(VALU_DEP_2)
	v_add_f64_e32 v[44:45], v[2:3], v[36:37]
	v_add_f64_e32 v[46:47], v[4:5], v[46:47]
	global_store_b128 v[34:35], v[44:47], off
.LBB252_24:                             ;   in Loop: Header=BB252_7 Depth=1
	s_and_not1_b32 vcc_lo, exec_lo, s25
	s_cbranch_vccnz .LBB252_26
; %bb.25:                               ;   in Loop: Header=BB252_7 Depth=1
	global_store_b128 v[34:35], v[2:5], off
.LBB252_26:                             ;   in Loop: Header=BB252_7 Depth=1
	s_wait_xcnt 0x0
	s_or_b32 exec_lo, exec_lo, s24
	s_and_saveexec_b32 s24, s14
	s_cbranch_execz .LBB252_31
; %bb.27:                               ;   in Loop: Header=BB252_7 Depth=1
	v_mul_f64_e32 v[2:3], s[38:39], v[28:29]
	v_mul_f64_e32 v[4:5], s[36:37], v[28:29]
	v_lshl_add_u64 v[24:25], v[16:17], 4, v[24:25]
	s_and_not1_b32 vcc_lo, exec_lo, s8
	s_mov_b32 s25, -1
	s_delay_alu instid0(VALU_DEP_3) | instskip(NEXT) | instid1(VALU_DEP_3)
	v_fma_f64 v[2:3], s[36:37], v[26:27], -v[2:3]
	v_fmac_f64_e32 v[4:5], s[38:39], v[26:27]
	s_cbranch_vccnz .LBB252_29
; %bb.28:                               ;   in Loop: Header=BB252_7 Depth=1
	global_load_b128 v[26:29], v[24:25], off
	s_mov_b32 s25, 0
	s_wait_loadcnt 0x0
	v_mul_f64_e32 v[34:35], s[30:31], v[28:29]
	v_mul_f64_e32 v[28:29], s[28:29], v[28:29]
	s_delay_alu instid0(VALU_DEP_2) | instskip(NEXT) | instid1(VALU_DEP_2)
	v_fma_f64 v[34:35], s[28:29], v[26:27], -v[34:35]
	v_fmac_f64_e32 v[28:29], s[30:31], v[26:27]
	s_delay_alu instid0(VALU_DEP_2) | instskip(NEXT) | instid1(VALU_DEP_2)
	v_add_f64_e32 v[26:27], v[2:3], v[34:35]
	v_add_f64_e32 v[28:29], v[4:5], v[28:29]
	global_store_b128 v[24:25], v[26:29], off
.LBB252_29:                             ;   in Loop: Header=BB252_7 Depth=1
	s_and_not1_b32 vcc_lo, exec_lo, s25
	s_cbranch_vccnz .LBB252_31
; %bb.30:                               ;   in Loop: Header=BB252_7 Depth=1
	global_store_b128 v[24:25], v[2:5], off
.LBB252_31:                             ;   in Loop: Header=BB252_7 Depth=1
	s_wait_xcnt 0x0
	s_or_b32 exec_lo, exec_lo, s24
	v_lshl_add_u64 v[24:25], v[14:15], 4, s[2:3]
	s_and_saveexec_b32 s2, s17
	s_cbranch_execz .LBB252_36
; %bb.32:                               ;   in Loop: Header=BB252_7 Depth=1
	v_mul_f64_e32 v[2:3], s[38:39], v[32:33]
	v_mul_f64_e32 v[4:5], s[36:37], v[32:33]
	v_lshl_add_u64 v[26:27], v[10:11], 4, v[24:25]
	s_and_not1_b32 vcc_lo, exec_lo, s8
	s_mov_b32 s3, -1
	s_delay_alu instid0(VALU_DEP_3) | instskip(NEXT) | instid1(VALU_DEP_3)
	v_fma_f64 v[2:3], s[36:37], v[30:31], -v[2:3]
	v_fmac_f64_e32 v[4:5], s[38:39], v[30:31]
	s_cbranch_vccnz .LBB252_34
; %bb.33:                               ;   in Loop: Header=BB252_7 Depth=1
	global_load_b128 v[28:31], v[26:27], off
	s_mov_b32 s3, 0
	s_wait_loadcnt 0x0
	v_mul_f64_e32 v[32:33], s[30:31], v[30:31]
	v_mul_f64_e32 v[30:31], s[28:29], v[30:31]
	s_delay_alu instid0(VALU_DEP_2) | instskip(NEXT) | instid1(VALU_DEP_2)
	v_fma_f64 v[32:33], s[28:29], v[28:29], -v[32:33]
	v_fmac_f64_e32 v[30:31], s[30:31], v[28:29]
	s_delay_alu instid0(VALU_DEP_2) | instskip(NEXT) | instid1(VALU_DEP_2)
	v_add_f64_e32 v[28:29], v[2:3], v[32:33]
	v_add_f64_e32 v[30:31], v[4:5], v[30:31]
	global_store_b128 v[26:27], v[28:31], off
.LBB252_34:                             ;   in Loop: Header=BB252_7 Depth=1
	s_and_not1_b32 vcc_lo, exec_lo, s3
	s_cbranch_vccnz .LBB252_36
; %bb.35:                               ;   in Loop: Header=BB252_7 Depth=1
	global_store_b128 v[26:27], v[2:5], off
.LBB252_36:                             ;   in Loop: Header=BB252_7 Depth=1
	s_wait_xcnt 0x0
	s_or_b32 exec_lo, exec_lo, s2
	s_and_saveexec_b32 s2, s21
	s_cbranch_execz .LBB252_6
; %bb.37:                               ;   in Loop: Header=BB252_7 Depth=1
	s_delay_alu instid0(VALU_DEP_3) | instskip(SKIP_4) | instid1(VALU_DEP_3)
	v_mul_f64_e32 v[2:3], s[38:39], v[38:39]
	v_mul_f64_e32 v[4:5], s[36:37], v[38:39]
	v_lshl_add_u64 v[24:25], v[16:17], 4, v[24:25]
	s_and_not1_b32 vcc_lo, exec_lo, s8
	s_mov_b32 s3, -1
	v_fma_f64 v[2:3], s[36:37], v[40:41], -v[2:3]
	s_delay_alu instid0(VALU_DEP_3)
	v_fmac_f64_e32 v[4:5], s[38:39], v[40:41]
	s_cbranch_vccnz .LBB252_39
; %bb.38:                               ;   in Loop: Header=BB252_7 Depth=1
	global_load_b128 v[26:29], v[24:25], off
	s_mov_b32 s3, 0
	s_wait_loadcnt 0x0
	v_mul_f64_e32 v[30:31], s[30:31], v[28:29]
	v_mul_f64_e32 v[28:29], s[28:29], v[28:29]
	s_delay_alu instid0(VALU_DEP_2) | instskip(NEXT) | instid1(VALU_DEP_2)
	v_fma_f64 v[30:31], s[28:29], v[26:27], -v[30:31]
	v_fmac_f64_e32 v[28:29], s[30:31], v[26:27]
	s_delay_alu instid0(VALU_DEP_2) | instskip(NEXT) | instid1(VALU_DEP_2)
	v_add_f64_e32 v[26:27], v[2:3], v[30:31]
	v_add_f64_e32 v[28:29], v[4:5], v[28:29]
	global_store_b128 v[24:25], v[26:29], off
.LBB252_39:                             ;   in Loop: Header=BB252_7 Depth=1
	s_and_not1_b32 vcc_lo, exec_lo, s3
	s_cbranch_vccnz .LBB252_6
; %bb.40:                               ;   in Loop: Header=BB252_7 Depth=1
	global_store_b128 v[24:25], v[2:5], off
	s_branch .LBB252_6
.LBB252_41:
.LBB252_42:
	s_sendmsg sendmsg(MSG_DEALLOC_VGPRS)
	s_endpgm
	.section	.rodata,"a",@progbits
	.p2align	6, 0x0
	.amdhsa_kernel _ZL29rocblas_internal_gemmt_kernelIlLi16ELi32ELi8ELc78ELc78ELc85ELb0ELb0E19rocblas_complex_numIdEPKS1_S3_PS1_EviT_T9_T10_S5_lS7_S5_lS6_T11_S5_li
		.amdhsa_group_segment_fixed_size 8192
		.amdhsa_private_segment_fixed_size 0
		.amdhsa_kernarg_size 108
		.amdhsa_user_sgpr_count 2
		.amdhsa_user_sgpr_dispatch_ptr 0
		.amdhsa_user_sgpr_queue_ptr 0
		.amdhsa_user_sgpr_kernarg_segment_ptr 1
		.amdhsa_user_sgpr_dispatch_id 0
		.amdhsa_user_sgpr_kernarg_preload_length 0
		.amdhsa_user_sgpr_kernarg_preload_offset 0
		.amdhsa_user_sgpr_private_segment_size 0
		.amdhsa_wavefront_size32 1
		.amdhsa_uses_dynamic_stack 0
		.amdhsa_enable_private_segment 0
		.amdhsa_system_sgpr_workgroup_id_x 1
		.amdhsa_system_sgpr_workgroup_id_y 1
		.amdhsa_system_sgpr_workgroup_id_z 1
		.amdhsa_system_sgpr_workgroup_info 0
		.amdhsa_system_vgpr_workitem_id 1
		.amdhsa_next_free_vgpr 68
		.amdhsa_next_free_sgpr 42
		.amdhsa_named_barrier_count 0
		.amdhsa_reserve_vcc 1
		.amdhsa_float_round_mode_32 0
		.amdhsa_float_round_mode_16_64 0
		.amdhsa_float_denorm_mode_32 3
		.amdhsa_float_denorm_mode_16_64 3
		.amdhsa_fp16_overflow 0
		.amdhsa_memory_ordered 1
		.amdhsa_forward_progress 1
		.amdhsa_inst_pref_size 26
		.amdhsa_round_robin_scheduling 0
		.amdhsa_exception_fp_ieee_invalid_op 0
		.amdhsa_exception_fp_denorm_src 0
		.amdhsa_exception_fp_ieee_div_zero 0
		.amdhsa_exception_fp_ieee_overflow 0
		.amdhsa_exception_fp_ieee_underflow 0
		.amdhsa_exception_fp_ieee_inexact 0
		.amdhsa_exception_int_div_zero 0
	.end_amdhsa_kernel
	.section	.text._ZL29rocblas_internal_gemmt_kernelIlLi16ELi32ELi8ELc78ELc78ELc85ELb0ELb0E19rocblas_complex_numIdEPKS1_S3_PS1_EviT_T9_T10_S5_lS7_S5_lS6_T11_S5_li,"axG",@progbits,_ZL29rocblas_internal_gemmt_kernelIlLi16ELi32ELi8ELc78ELc78ELc85ELb0ELb0E19rocblas_complex_numIdEPKS1_S3_PS1_EviT_T9_T10_S5_lS7_S5_lS6_T11_S5_li,comdat
.Lfunc_end252:
	.size	_ZL29rocblas_internal_gemmt_kernelIlLi16ELi32ELi8ELc78ELc78ELc85ELb0ELb0E19rocblas_complex_numIdEPKS1_S3_PS1_EviT_T9_T10_S5_lS7_S5_lS6_T11_S5_li, .Lfunc_end252-_ZL29rocblas_internal_gemmt_kernelIlLi16ELi32ELi8ELc78ELc78ELc85ELb0ELb0E19rocblas_complex_numIdEPKS1_S3_PS1_EviT_T9_T10_S5_lS7_S5_lS6_T11_S5_li
                                        ; -- End function
	.set _ZL29rocblas_internal_gemmt_kernelIlLi16ELi32ELi8ELc78ELc78ELc85ELb0ELb0E19rocblas_complex_numIdEPKS1_S3_PS1_EviT_T9_T10_S5_lS7_S5_lS6_T11_S5_li.num_vgpr, 68
	.set _ZL29rocblas_internal_gemmt_kernelIlLi16ELi32ELi8ELc78ELc78ELc85ELb0ELb0E19rocblas_complex_numIdEPKS1_S3_PS1_EviT_T9_T10_S5_lS7_S5_lS6_T11_S5_li.num_agpr, 0
	.set _ZL29rocblas_internal_gemmt_kernelIlLi16ELi32ELi8ELc78ELc78ELc85ELb0ELb0E19rocblas_complex_numIdEPKS1_S3_PS1_EviT_T9_T10_S5_lS7_S5_lS6_T11_S5_li.numbered_sgpr, 42
	.set _ZL29rocblas_internal_gemmt_kernelIlLi16ELi32ELi8ELc78ELc78ELc85ELb0ELb0E19rocblas_complex_numIdEPKS1_S3_PS1_EviT_T9_T10_S5_lS7_S5_lS6_T11_S5_li.num_named_barrier, 0
	.set _ZL29rocblas_internal_gemmt_kernelIlLi16ELi32ELi8ELc78ELc78ELc85ELb0ELb0E19rocblas_complex_numIdEPKS1_S3_PS1_EviT_T9_T10_S5_lS7_S5_lS6_T11_S5_li.private_seg_size, 0
	.set _ZL29rocblas_internal_gemmt_kernelIlLi16ELi32ELi8ELc78ELc78ELc85ELb0ELb0E19rocblas_complex_numIdEPKS1_S3_PS1_EviT_T9_T10_S5_lS7_S5_lS6_T11_S5_li.uses_vcc, 1
	.set _ZL29rocblas_internal_gemmt_kernelIlLi16ELi32ELi8ELc78ELc78ELc85ELb0ELb0E19rocblas_complex_numIdEPKS1_S3_PS1_EviT_T9_T10_S5_lS7_S5_lS6_T11_S5_li.uses_flat_scratch, 0
	.set _ZL29rocblas_internal_gemmt_kernelIlLi16ELi32ELi8ELc78ELc78ELc85ELb0ELb0E19rocblas_complex_numIdEPKS1_S3_PS1_EviT_T9_T10_S5_lS7_S5_lS6_T11_S5_li.has_dyn_sized_stack, 0
	.set _ZL29rocblas_internal_gemmt_kernelIlLi16ELi32ELi8ELc78ELc78ELc85ELb0ELb0E19rocblas_complex_numIdEPKS1_S3_PS1_EviT_T9_T10_S5_lS7_S5_lS6_T11_S5_li.has_recursion, 0
	.set _ZL29rocblas_internal_gemmt_kernelIlLi16ELi32ELi8ELc78ELc78ELc85ELb0ELb0E19rocblas_complex_numIdEPKS1_S3_PS1_EviT_T9_T10_S5_lS7_S5_lS6_T11_S5_li.has_indirect_call, 0
	.section	.AMDGPU.csdata,"",@progbits
; Kernel info:
; codeLenInByte = 3236
; TotalNumSgprs: 44
; NumVgprs: 68
; ScratchSize: 0
; MemoryBound: 0
; FloatMode: 240
; IeeeMode: 1
; LDSByteSize: 8192 bytes/workgroup (compile time only)
; SGPRBlocks: 0
; VGPRBlocks: 4
; NumSGPRsForWavesPerEU: 44
; NumVGPRsForWavesPerEU: 68
; NamedBarCnt: 0
; Occupancy: 12
; WaveLimiterHint : 0
; COMPUTE_PGM_RSRC2:SCRATCH_EN: 0
; COMPUTE_PGM_RSRC2:USER_SGPR: 2
; COMPUTE_PGM_RSRC2:TRAP_HANDLER: 0
; COMPUTE_PGM_RSRC2:TGID_X_EN: 1
; COMPUTE_PGM_RSRC2:TGID_Y_EN: 1
; COMPUTE_PGM_RSRC2:TGID_Z_EN: 1
; COMPUTE_PGM_RSRC2:TIDIG_COMP_CNT: 1
	.section	.text._ZL29rocblas_internal_gemmt_kernelIlLi16ELi32ELi8ELc78ELc84ELc85ELb0ELb0E19rocblas_complex_numIdEPKS1_S3_PS1_EviT_T9_T10_S5_lS7_S5_lS6_T11_S5_li,"axG",@progbits,_ZL29rocblas_internal_gemmt_kernelIlLi16ELi32ELi8ELc78ELc84ELc85ELb0ELb0E19rocblas_complex_numIdEPKS1_S3_PS1_EviT_T9_T10_S5_lS7_S5_lS6_T11_S5_li,comdat
	.globl	_ZL29rocblas_internal_gemmt_kernelIlLi16ELi32ELi8ELc78ELc84ELc85ELb0ELb0E19rocblas_complex_numIdEPKS1_S3_PS1_EviT_T9_T10_S5_lS7_S5_lS6_T11_S5_li ; -- Begin function _ZL29rocblas_internal_gemmt_kernelIlLi16ELi32ELi8ELc78ELc84ELc85ELb0ELb0E19rocblas_complex_numIdEPKS1_S3_PS1_EviT_T9_T10_S5_lS7_S5_lS6_T11_S5_li
	.p2align	8
	.type	_ZL29rocblas_internal_gemmt_kernelIlLi16ELi32ELi8ELc78ELc84ELc85ELb0ELb0E19rocblas_complex_numIdEPKS1_S3_PS1_EviT_T9_T10_S5_lS7_S5_lS6_T11_S5_li,@function
_ZL29rocblas_internal_gemmt_kernelIlLi16ELi32ELi8ELc78ELc84ELc85ELb0ELb0E19rocblas_complex_numIdEPKS1_S3_PS1_EviT_T9_T10_S5_lS7_S5_lS6_T11_S5_li: ; @_ZL29rocblas_internal_gemmt_kernelIlLi16ELi32ELi8ELc78ELc84ELc85ELb0ELb0E19rocblas_complex_numIdEPKS1_S3_PS1_EviT_T9_T10_S5_lS7_S5_lS6_T11_S5_li
; %bb.0:
	s_clause 0x1
	s_load_b256 s[20:27], s[0:1], 0x48
	s_load_b512 s[4:19], s[0:1], 0x8
	s_wait_kmcnt 0x0
	s_load_b128 s[28:31], s[20:21], 0x0
	s_load_b128 s[36:39], s[6:7], 0x0
	s_wait_kmcnt 0x0
	v_cmp_eq_f64_e64 s2, s[28:29], 1.0
	v_cmp_eq_f64_e64 s3, s[30:31], 0
	s_and_b32 s2, s2, s3
	s_delay_alu instid0(SALU_CYCLE_1)
	s_and_not1_b32 vcc_lo, exec_lo, s2
	s_mov_b32 s2, -1
	s_cbranch_vccnz .LBB253_3
; %bb.1:
	s_cmp_lg_u64 s[4:5], 0
	s_cbranch_scc0 .LBB253_41
; %bb.2:
	v_cmp_neq_f64_e64 s2, s[36:37], 0
	v_cmp_neq_f64_e64 s6, s[38:39], 0
	s_or_b32 s2, s2, s6
.LBB253_3:
	s_delay_alu instid0(SALU_CYCLE_1)
	s_and_b32 vcc_lo, exec_lo, s2
	s_cbranch_vccz .LBB253_42
; %bb.4:
	s_load_b32 s20, s[0:1], 0x68
	s_bfe_u32 s2, ttmp6, 0x40014
	s_lshr_b32 s6, ttmp7, 16
	s_add_co_i32 s2, s2, 1
	s_bfe_u32 s21, ttmp6, 0x40008
	s_mul_i32 s7, s6, s2
	s_getreg_b32 s2, hwreg(HW_REG_IB_STS2, 6, 4)
	s_add_co_i32 s21, s21, s7
	s_cmp_eq_u32 s2, 0
	s_mov_b32 s7, 0
	s_cselect_b32 s6, s6, s21
	s_wait_kmcnt 0x0
	s_cmp_ge_u32 s6, s20
	s_cbranch_scc1 .LBB253_42
; %bb.5:
	s_load_b32 s34, s[0:1], 0x0
	s_wait_xcnt 0x0
	s_bfe_u32 s1, ttmp6, 0x4000c
	s_bfe_u32 s40, ttmp6, 0x40010
	s_and_b32 s35, ttmp7, 0xffff
	s_add_co_i32 s1, s1, 1
	s_add_co_i32 s40, s40, 1
	v_and_b32_e32 v15, 0x3ff, v0
	v_bfe_u32 v21, v0, 10, 10
	s_and_b32 s0, ttmp6, 15
	s_bfe_u32 s41, ttmp6, 0x40004
	s_mul_i32 s1, ttmp9, s1
	s_mul_i32 s40, s35, s40
	s_add_co_i32 s0, s0, s1
	s_add_co_i32 s41, s41, s40
	s_cmp_eq_u32 s2, 0
	v_lshl_add_u32 v1, v21, 4, v15
	s_cselect_b32 s1, s35, s41
	s_cselect_b32 s0, ttmp9, s0
	s_lshl_b32 s1, s1, 5
	s_delay_alu instid0(VALU_DEP_1) | instskip(SKIP_4) | instid1(VALU_DEP_3)
	v_dual_lshrrev_b32 v9, 3, v1 :: v_dual_bitop2_b32 v6, 7, v0 bitop3:0x40
	v_dual_lshrrev_b32 v8, 5, v1 :: v_dual_bitop2_b32 v3, 31, v1 bitop3:0x40
	s_lshl_b32 s2, s0, 5
	v_add_nc_u32_e32 v0, s1, v21
	v_cmp_neq_f64_e64 s21, s[36:37], 0
	v_or_b32_e32 v2, s2, v3
	v_cmp_neq_f64_e64 s33, s[38:39], 0
	s_delay_alu instid0(VALU_DEP_4) | instskip(SKIP_2) | instid1(VALU_DEP_3)
	v_dual_add_nc_u32 v18, s1, v9 :: v_dual_add_nc_u32 v4, 16, v0
	v_dual_ashrrev_i32 v1, 31, v0 :: v_dual_lshlrev_b32 v7, 4, v3
	v_cmp_neq_f64_e64 s40, s[28:29], 0
	v_dual_lshlrev_b32 v14, 4, v6 :: v_dual_ashrrev_i32 v5, 31, v4
	s_delay_alu instid0(VALU_DEP_3) | instskip(SKIP_2) | instid1(VALU_DEP_4)
	v_mul_u64_e32 v[10:11], s[24:25], v[0:1]
	v_ashrrev_i32_e32 v3, 31, v2
	v_dual_ashrrev_i32 v19, 31, v18 :: v_dual_lshlrev_b32 v42, 4, v15
	v_mul_u64_e32 v[12:13], s[24:25], v[4:5]
	v_lshl_or_b32 v1, v9, 7, v14
	v_add_nc_u32_e32 v14, s2, v15
	v_lshl_add_u64 v[16:17], v[2:3], 4, s[8:9]
	s_wait_kmcnt 0x0
	v_cmp_gt_i32_e64 s1, s34, v0
	s_xor_b32 s8, s3, -1
	v_cmp_gt_i64_e64 s35, s[4:5], 0
	v_dual_add_nc_u32 v20, 16, v14 :: v_dual_ashrrev_i32 v15, 31, v14
	v_cmp_le_i32_e64 s2, v14, v0
	v_cmp_gt_i32_e32 vcc_lo, s34, v18
	v_lshl_add_u64 v[18:19], v[18:19], 4, s[14:15]
	s_delay_alu instid0(VALU_DEP_4)
	v_cmp_le_i32_e64 s3, v20, v0
	v_cmp_gt_i32_e64 s0, s34, v2
	s_and_b32 s9, s1, s2
	v_cmp_le_i32_e64 s2, v14, v4
	v_lshl_or_b32 v7, v8, 9, v7
	s_and_b32 s14, s1, s3
	v_cmp_gt_i32_e64 s1, s34, v4
	v_cmp_le_i32_e64 s3, v20, v4
	s_or_b32 s33, s21, s33
	v_cmp_le_i32_e64 s21, s34, v2
	v_add_nc_u32_e32 v9, 0x1000, v1
	v_lshl_add_u32 v43, v21, 7, 0x1000
	v_dual_ashrrev_i32 v21, 31, v20 :: v_dual_mov_b32 v1, 0
	s_or_b32 s8, s40, s8
	s_and_b32 s15, s33, s35
	s_and_b32 s24, s1, s2
	;; [unrolled: 1-line block ×3, first 2 shown]
	s_xor_b32 s25, vcc_lo, -1
                                        ; implicit-def: $vgpr22_vgpr23
	s_branch .LBB253_7
.LBB253_6:                              ;   in Loop: Header=BB253_7 Depth=1
	s_wait_xcnt 0x0
	s_or_b32 exec_lo, exec_lo, s2
	s_add_co_i32 s6, s6, 0x10000
	s_delay_alu instid0(SALU_CYCLE_1)
	s_cmp_lt_u32 s6, s20
	s_cbranch_scc0 .LBB253_42
.LBB253_7:                              ; =>This Loop Header: Depth=1
                                        ;     Child Loop BB253_10 Depth 2
	v_mov_b64_e32 v[34:35], 0
	s_and_not1_b32 vcc_lo, exec_lo, s15
	s_cbranch_vccnz .LBB253_20
; %bb.8:                                ;   in Loop: Header=BB253_7 Depth=1
	s_mul_u64 s[2:3], s[18:19], s[6:7]
	s_mul_u64 s[34:35], s[12:13], s[6:7]
	v_mov_b64_e32 v[38:39], 0
	v_mov_b64_e32 v[40:41], 0
	;; [unrolled: 1-line block ×8, first 2 shown]
	v_lshl_add_u64 v[4:5], s[34:35], 4, v[16:17]
	v_lshl_add_u64 v[24:25], s[2:3], 4, v[18:19]
	s_mov_b64 s[2:3], 0
	s_branch .LBB253_10
.LBB253_9:                              ;   in Loop: Header=BB253_10 Depth=2
	s_wait_xcnt 0x0
	s_or_b32 exec_lo, exec_lo, s33
	s_wait_dscnt 0x0
	s_barrier_signal -1
	s_barrier_wait -1
	ds_load_b128 v[44:47], v43
	ds_load_b128 v[48:51], v43 offset:16
	ds_load_b128 v[52:55], v43 offset:32
	;; [unrolled: 1-line block ×3, first 2 shown]
	ds_load_b128 v[60:63], v42
	s_add_nc_u64 s[2:3], s[2:3], 8
	s_delay_alu instid0(SALU_CYCLE_1) | instskip(SKIP_4) | instid1(VALU_DEP_2)
	v_cmp_gt_i64_e64 s33, s[4:5], s[2:3]
	s_and_b32 vcc_lo, exec_lo, s33
	s_wait_dscnt 0x0
	v_mul_f64_e32 v[2:3], v[46:47], v[62:63]
	v_mul_f64_e32 v[64:65], v[44:45], v[62:63]
	v_fma_f64 v[2:3], v[44:45], v[60:61], -v[2:3]
	s_delay_alu instid0(VALU_DEP_2) | instskip(NEXT) | instid1(VALU_DEP_2)
	v_fmac_f64_e32 v[64:65], v[46:47], v[60:61]
	v_add_f64_e32 v[2:3], v[34:35], v[2:3]
	s_delay_alu instid0(VALU_DEP_2) | instskip(SKIP_3) | instid1(VALU_DEP_1)
	v_add_f64_e32 v[64:65], v[64:65], v[36:37]
	ds_load_b128 v[34:37], v42 offset:256
	s_wait_dscnt 0x0
	v_mul_f64_e32 v[66:67], v[46:47], v[36:37]
	v_fma_f64 v[66:67], v[44:45], v[34:35], -v[66:67]
	v_mul_f64_e32 v[44:45], v[44:45], v[36:37]
	s_delay_alu instid0(VALU_DEP_1) | instskip(NEXT) | instid1(VALU_DEP_3)
	v_fmac_f64_e32 v[44:45], v[46:47], v[34:35]
	v_add_f64_e32 v[46:47], v[26:27], v[66:67]
	s_delay_alu instid0(VALU_DEP_2) | instskip(SKIP_4) | instid1(VALU_DEP_2)
	v_add_f64_e32 v[44:45], v[44:45], v[28:29]
	ds_load_b128 v[26:29], v43 offset:2048
	s_wait_dscnt 0x0
	v_mul_f64_e32 v[66:67], v[28:29], v[62:63]
	v_mul_f64_e32 v[62:63], v[26:27], v[62:63]
	v_fma_f64 v[66:67], v[26:27], v[60:61], -v[66:67]
	s_delay_alu instid0(VALU_DEP_2) | instskip(NEXT) | instid1(VALU_DEP_2)
	v_fmac_f64_e32 v[62:63], v[28:29], v[60:61]
	v_add_f64_e32 v[60:61], v[30:31], v[66:67]
	v_mul_f64_e32 v[30:31], v[28:29], v[36:37]
	s_delay_alu instid0(VALU_DEP_3) | instskip(NEXT) | instid1(VALU_DEP_2)
	v_add_f64_e32 v[62:63], v[62:63], v[32:33]
	v_fma_f64 v[30:31], v[26:27], v[34:35], -v[30:31]
	v_mul_f64_e32 v[26:27], v[26:27], v[36:37]
	s_delay_alu instid0(VALU_DEP_2) | instskip(NEXT) | instid1(VALU_DEP_2)
	v_add_f64_e32 v[40:41], v[40:41], v[30:31]
	v_fmac_f64_e32 v[26:27], v[28:29], v[34:35]
	s_delay_alu instid0(VALU_DEP_1) | instskip(SKIP_4) | instid1(VALU_DEP_2)
	v_add_f64_e32 v[38:39], v[26:27], v[38:39]
	ds_load_b128 v[26:29], v42 offset:512
	s_wait_dscnt 0x0
	v_mul_f64_e32 v[30:31], v[50:51], v[28:29]
	v_mul_f64_e32 v[32:33], v[48:49], v[28:29]
	v_fma_f64 v[30:31], v[48:49], v[26:27], -v[30:31]
	s_delay_alu instid0(VALU_DEP_2) | instskip(NEXT) | instid1(VALU_DEP_2)
	v_fmac_f64_e32 v[32:33], v[50:51], v[26:27]
	v_add_f64_e32 v[2:3], v[2:3], v[30:31]
	s_delay_alu instid0(VALU_DEP_2) | instskip(SKIP_4) | instid1(VALU_DEP_2)
	v_add_f64_e32 v[64:65], v[32:33], v[64:65]
	ds_load_b128 v[30:33], v42 offset:768
	s_wait_dscnt 0x0
	v_mul_f64_e32 v[34:35], v[50:51], v[32:33]
	v_mul_f64_e32 v[36:37], v[48:49], v[32:33]
	v_fma_f64 v[34:35], v[48:49], v[30:31], -v[34:35]
	s_delay_alu instid0(VALU_DEP_2) | instskip(NEXT) | instid1(VALU_DEP_2)
	v_fmac_f64_e32 v[36:37], v[50:51], v[30:31]
	v_add_f64_e32 v[46:47], v[46:47], v[34:35]
	s_delay_alu instid0(VALU_DEP_2) | instskip(SKIP_4) | instid1(VALU_DEP_2)
	v_add_f64_e32 v[44:45], v[36:37], v[44:45]
	ds_load_b128 v[34:37], v43 offset:2064
	s_wait_dscnt 0x0
	v_mul_f64_e32 v[48:49], v[36:37], v[28:29]
	v_mul_f64_e32 v[28:29], v[34:35], v[28:29]
	v_fma_f64 v[48:49], v[34:35], v[26:27], -v[48:49]
	s_delay_alu instid0(VALU_DEP_2) | instskip(SKIP_1) | instid1(VALU_DEP_3)
	v_fmac_f64_e32 v[28:29], v[36:37], v[26:27]
	v_mul_f64_e32 v[26:27], v[36:37], v[32:33]
	v_add_f64_e32 v[48:49], v[60:61], v[48:49]
	s_delay_alu instid0(VALU_DEP_3) | instskip(SKIP_1) | instid1(VALU_DEP_4)
	v_add_f64_e32 v[50:51], v[28:29], v[62:63]
	v_mul_f64_e32 v[28:29], v[34:35], v[32:33]
	v_fma_f64 v[26:27], v[34:35], v[30:31], -v[26:27]
	s_delay_alu instid0(VALU_DEP_2) | instskip(NEXT) | instid1(VALU_DEP_2)
	v_fmac_f64_e32 v[28:29], v[36:37], v[30:31]
	v_add_f64_e32 v[40:41], v[40:41], v[26:27]
	s_delay_alu instid0(VALU_DEP_2) | instskip(SKIP_4) | instid1(VALU_DEP_2)
	v_add_f64_e32 v[38:39], v[28:29], v[38:39]
	ds_load_b128 v[26:29], v42 offset:1024
	s_wait_dscnt 0x0
	v_mul_f64_e32 v[30:31], v[54:55], v[28:29]
	v_mul_f64_e32 v[32:33], v[52:53], v[28:29]
	v_fma_f64 v[30:31], v[52:53], v[26:27], -v[30:31]
	s_delay_alu instid0(VALU_DEP_2) | instskip(NEXT) | instid1(VALU_DEP_2)
	v_fmac_f64_e32 v[32:33], v[54:55], v[26:27]
	v_add_f64_e32 v[2:3], v[2:3], v[30:31]
	s_delay_alu instid0(VALU_DEP_2) | instskip(SKIP_4) | instid1(VALU_DEP_2)
	v_add_f64_e32 v[60:61], v[32:33], v[64:65]
	ds_load_b128 v[30:33], v42 offset:1280
	s_wait_dscnt 0x0
	v_mul_f64_e32 v[34:35], v[54:55], v[32:33]
	;; [unrolled: 10-line block ×3, first 2 shown]
	v_mul_f64_e32 v[28:29], v[34:35], v[28:29]
	v_fma_f64 v[52:53], v[34:35], v[26:27], -v[52:53]
	s_delay_alu instid0(VALU_DEP_2) | instskip(SKIP_1) | instid1(VALU_DEP_3)
	v_fmac_f64_e32 v[28:29], v[36:37], v[26:27]
	v_mul_f64_e32 v[26:27], v[36:37], v[32:33]
	v_add_f64_e32 v[48:49], v[48:49], v[52:53]
	s_delay_alu instid0(VALU_DEP_3) | instskip(SKIP_1) | instid1(VALU_DEP_4)
	v_add_f64_e32 v[50:51], v[28:29], v[50:51]
	v_mul_f64_e32 v[28:29], v[34:35], v[32:33]
	v_fma_f64 v[26:27], v[34:35], v[30:31], -v[26:27]
	s_delay_alu instid0(VALU_DEP_2) | instskip(NEXT) | instid1(VALU_DEP_2)
	v_fmac_f64_e32 v[28:29], v[36:37], v[30:31]
	v_add_f64_e32 v[40:41], v[40:41], v[26:27]
	s_delay_alu instid0(VALU_DEP_2) | instskip(SKIP_4) | instid1(VALU_DEP_2)
	v_add_f64_e32 v[38:39], v[28:29], v[38:39]
	ds_load_b128 v[26:29], v42 offset:1536
	s_wait_dscnt 0x0
	v_mul_f64_e32 v[30:31], v[58:59], v[28:29]
	v_mul_f64_e32 v[32:33], v[56:57], v[28:29]
	v_fma_f64 v[30:31], v[56:57], v[26:27], -v[30:31]
	s_delay_alu instid0(VALU_DEP_2) | instskip(NEXT) | instid1(VALU_DEP_2)
	v_fmac_f64_e32 v[32:33], v[58:59], v[26:27]
	v_add_f64_e32 v[2:3], v[2:3], v[30:31]
	s_delay_alu instid0(VALU_DEP_2) | instskip(SKIP_4) | instid1(VALU_DEP_2)
	v_add_f64_e32 v[52:53], v[32:33], v[60:61]
	ds_load_b128 v[30:33], v42 offset:1792
	s_wait_dscnt 0x0
	v_mul_f64_e32 v[34:35], v[58:59], v[32:33]
	;; [unrolled: 10-line block ×3, first 2 shown]
	v_mul_f64_e32 v[28:29], v[34:35], v[28:29]
	v_fma_f64 v[54:55], v[34:35], v[26:27], -v[54:55]
	s_delay_alu instid0(VALU_DEP_2) | instskip(SKIP_1) | instid1(VALU_DEP_3)
	v_fmac_f64_e32 v[28:29], v[36:37], v[26:27]
	v_mul_f64_e32 v[26:27], v[36:37], v[32:33]
	v_add_f64_e32 v[48:49], v[48:49], v[54:55]
	s_delay_alu instid0(VALU_DEP_3) | instskip(SKIP_1) | instid1(VALU_DEP_4)
	v_add_f64_e32 v[50:51], v[28:29], v[50:51]
	v_mul_f64_e32 v[28:29], v[34:35], v[32:33]
	v_fma_f64 v[26:27], v[34:35], v[30:31], -v[26:27]
	s_delay_alu instid0(VALU_DEP_2) | instskip(NEXT) | instid1(VALU_DEP_2)
	v_fmac_f64_e32 v[28:29], v[36:37], v[30:31]
	v_add_f64_e32 v[40:41], v[40:41], v[26:27]
	s_delay_alu instid0(VALU_DEP_2)
	v_add_f64_e32 v[38:39], v[28:29], v[38:39]
	ds_load_b128 v[26:29], v43 offset:64
	ds_load_b128 v[30:33], v42 offset:2048
	s_wait_dscnt 0x0
	v_mul_f64_e32 v[34:35], v[28:29], v[32:33]
	v_mul_f64_e32 v[36:37], v[26:27], v[32:33]
	s_delay_alu instid0(VALU_DEP_2) | instskip(NEXT) | instid1(VALU_DEP_2)
	v_fma_f64 v[34:35], v[26:27], v[30:31], -v[34:35]
	v_fmac_f64_e32 v[36:37], v[28:29], v[30:31]
	s_delay_alu instid0(VALU_DEP_2) | instskip(NEXT) | instid1(VALU_DEP_2)
	v_add_f64_e32 v[2:3], v[2:3], v[34:35]
	v_add_f64_e32 v[52:53], v[36:37], v[52:53]
	ds_load_b128 v[34:37], v42 offset:2304
	s_wait_dscnt 0x0
	v_mul_f64_e32 v[54:55], v[28:29], v[36:37]
	s_delay_alu instid0(VALU_DEP_1) | instskip(SKIP_1) | instid1(VALU_DEP_2)
	v_fma_f64 v[54:55], v[26:27], v[34:35], -v[54:55]
	v_mul_f64_e32 v[26:27], v[26:27], v[36:37]
	v_add_f64_e32 v[46:47], v[46:47], v[54:55]
	s_delay_alu instid0(VALU_DEP_2) | instskip(NEXT) | instid1(VALU_DEP_1)
	v_fmac_f64_e32 v[26:27], v[28:29], v[34:35]
	v_add_f64_e32 v[44:45], v[26:27], v[44:45]
	ds_load_b128 v[26:29], v43 offset:2112
	s_wait_dscnt 0x0
	v_mul_f64_e32 v[54:55], v[28:29], v[32:33]
	v_mul_f64_e32 v[32:33], v[26:27], v[32:33]
	s_delay_alu instid0(VALU_DEP_2) | instskip(NEXT) | instid1(VALU_DEP_2)
	v_fma_f64 v[54:55], v[26:27], v[30:31], -v[54:55]
	v_fmac_f64_e32 v[32:33], v[28:29], v[30:31]
	v_mul_f64_e32 v[30:31], v[28:29], v[36:37]
	s_delay_alu instid0(VALU_DEP_3) | instskip(NEXT) | instid1(VALU_DEP_3)
	v_add_f64_e32 v[48:49], v[48:49], v[54:55]
	v_add_f64_e32 v[50:51], v[32:33], v[50:51]
	s_delay_alu instid0(VALU_DEP_3) | instskip(SKIP_1) | instid1(VALU_DEP_2)
	v_fma_f64 v[30:31], v[26:27], v[34:35], -v[30:31]
	v_mul_f64_e32 v[26:27], v[26:27], v[36:37]
	v_add_f64_e32 v[40:41], v[40:41], v[30:31]
	s_delay_alu instid0(VALU_DEP_2) | instskip(NEXT) | instid1(VALU_DEP_1)
	v_fmac_f64_e32 v[26:27], v[28:29], v[34:35]
	v_add_f64_e32 v[38:39], v[26:27], v[38:39]
	ds_load_b128 v[26:29], v43 offset:80
	ds_load_b128 v[30:33], v42 offset:2560
	s_wait_dscnt 0x0
	v_mul_f64_e32 v[34:35], v[28:29], v[32:33]
	v_mul_f64_e32 v[36:37], v[26:27], v[32:33]
	s_delay_alu instid0(VALU_DEP_2) | instskip(NEXT) | instid1(VALU_DEP_2)
	v_fma_f64 v[34:35], v[26:27], v[30:31], -v[34:35]
	v_fmac_f64_e32 v[36:37], v[28:29], v[30:31]
	s_delay_alu instid0(VALU_DEP_2) | instskip(NEXT) | instid1(VALU_DEP_2)
	v_add_f64_e32 v[2:3], v[2:3], v[34:35]
	v_add_f64_e32 v[52:53], v[36:37], v[52:53]
	ds_load_b128 v[34:37], v42 offset:2816
	s_wait_dscnt 0x0
	v_mul_f64_e32 v[54:55], v[28:29], v[36:37]
	s_delay_alu instid0(VALU_DEP_1) | instskip(SKIP_1) | instid1(VALU_DEP_2)
	v_fma_f64 v[54:55], v[26:27], v[34:35], -v[54:55]
	v_mul_f64_e32 v[26:27], v[26:27], v[36:37]
	v_add_f64_e32 v[46:47], v[46:47], v[54:55]
	s_delay_alu instid0(VALU_DEP_2) | instskip(NEXT) | instid1(VALU_DEP_1)
	v_fmac_f64_e32 v[26:27], v[28:29], v[34:35]
	v_add_f64_e32 v[44:45], v[26:27], v[44:45]
	ds_load_b128 v[26:29], v43 offset:2128
	s_wait_dscnt 0x0
	v_mul_f64_e32 v[54:55], v[28:29], v[32:33]
	v_mul_f64_e32 v[32:33], v[26:27], v[32:33]
	s_delay_alu instid0(VALU_DEP_2) | instskip(NEXT) | instid1(VALU_DEP_2)
	v_fma_f64 v[54:55], v[26:27], v[30:31], -v[54:55]
	v_fmac_f64_e32 v[32:33], v[28:29], v[30:31]
	v_mul_f64_e32 v[30:31], v[28:29], v[36:37]
	s_delay_alu instid0(VALU_DEP_3) | instskip(NEXT) | instid1(VALU_DEP_3)
	v_add_f64_e32 v[48:49], v[48:49], v[54:55]
	v_add_f64_e32 v[50:51], v[32:33], v[50:51]
	s_delay_alu instid0(VALU_DEP_3) | instskip(SKIP_1) | instid1(VALU_DEP_2)
	v_fma_f64 v[30:31], v[26:27], v[34:35], -v[30:31]
	v_mul_f64_e32 v[26:27], v[26:27], v[36:37]
	v_add_f64_e32 v[40:41], v[40:41], v[30:31]
	s_delay_alu instid0(VALU_DEP_2) | instskip(NEXT) | instid1(VALU_DEP_1)
	v_fmac_f64_e32 v[26:27], v[28:29], v[34:35]
	v_add_f64_e32 v[38:39], v[26:27], v[38:39]
	ds_load_b128 v[26:29], v43 offset:96
	ds_load_b128 v[30:33], v42 offset:3072
	s_wait_dscnt 0x0
	v_mul_f64_e32 v[34:35], v[28:29], v[32:33]
	v_mul_f64_e32 v[36:37], v[26:27], v[32:33]
	s_delay_alu instid0(VALU_DEP_2) | instskip(NEXT) | instid1(VALU_DEP_2)
	v_fma_f64 v[34:35], v[26:27], v[30:31], -v[34:35]
	v_fmac_f64_e32 v[36:37], v[28:29], v[30:31]
	s_delay_alu instid0(VALU_DEP_2) | instskip(NEXT) | instid1(VALU_DEP_2)
	v_add_f64_e32 v[2:3], v[2:3], v[34:35]
	v_add_f64_e32 v[52:53], v[36:37], v[52:53]
	ds_load_b128 v[34:37], v42 offset:3328
	s_wait_dscnt 0x0
	v_mul_f64_e32 v[54:55], v[28:29], v[36:37]
	s_delay_alu instid0(VALU_DEP_1) | instskip(SKIP_1) | instid1(VALU_DEP_2)
	v_fma_f64 v[54:55], v[26:27], v[34:35], -v[54:55]
	v_mul_f64_e32 v[26:27], v[26:27], v[36:37]
	v_add_f64_e32 v[46:47], v[46:47], v[54:55]
	s_delay_alu instid0(VALU_DEP_2) | instskip(NEXT) | instid1(VALU_DEP_1)
	v_fmac_f64_e32 v[26:27], v[28:29], v[34:35]
	v_add_f64_e32 v[44:45], v[26:27], v[44:45]
	ds_load_b128 v[26:29], v43 offset:2144
	s_wait_dscnt 0x0
	v_mul_f64_e32 v[54:55], v[28:29], v[32:33]
	v_mul_f64_e32 v[32:33], v[26:27], v[32:33]
	s_delay_alu instid0(VALU_DEP_2) | instskip(NEXT) | instid1(VALU_DEP_2)
	v_fma_f64 v[54:55], v[26:27], v[30:31], -v[54:55]
	v_fmac_f64_e32 v[32:33], v[28:29], v[30:31]
	v_mul_f64_e32 v[30:31], v[28:29], v[36:37]
	s_delay_alu instid0(VALU_DEP_3) | instskip(NEXT) | instid1(VALU_DEP_3)
	v_add_f64_e32 v[48:49], v[48:49], v[54:55]
	v_add_f64_e32 v[50:51], v[32:33], v[50:51]
	s_delay_alu instid0(VALU_DEP_3) | instskip(SKIP_1) | instid1(VALU_DEP_2)
	v_fma_f64 v[30:31], v[26:27], v[34:35], -v[30:31]
	v_mul_f64_e32 v[26:27], v[26:27], v[36:37]
	v_add_f64_e32 v[54:55], v[40:41], v[30:31]
	s_delay_alu instid0(VALU_DEP_2) | instskip(NEXT) | instid1(VALU_DEP_1)
	v_fmac_f64_e32 v[26:27], v[28:29], v[34:35]
	v_add_f64_e32 v[56:57], v[26:27], v[38:39]
	ds_load_b128 v[26:29], v43 offset:112
	ds_load_b128 v[30:33], v42 offset:3584
	ds_load_b128 v[38:41], v42 offset:3840
	s_wait_dscnt 0x1
	v_mul_f64_e32 v[34:35], v[28:29], v[32:33]
	v_mul_f64_e32 v[36:37], v[26:27], v[32:33]
	s_delay_alu instid0(VALU_DEP_2) | instskip(NEXT) | instid1(VALU_DEP_2)
	v_fma_f64 v[34:35], v[26:27], v[30:31], -v[34:35]
	v_fmac_f64_e32 v[36:37], v[28:29], v[30:31]
	s_delay_alu instid0(VALU_DEP_2) | instskip(NEXT) | instid1(VALU_DEP_2)
	v_add_f64_e32 v[34:35], v[2:3], v[34:35]
	v_add_f64_e32 v[36:37], v[36:37], v[52:53]
	s_wait_dscnt 0x0
	v_mul_f64_e32 v[2:3], v[28:29], v[40:41]
	v_mul_f64_e32 v[52:53], v[26:27], v[40:41]
	s_delay_alu instid0(VALU_DEP_2) | instskip(NEXT) | instid1(VALU_DEP_2)
	v_fma_f64 v[2:3], v[26:27], v[38:39], -v[2:3]
	v_fmac_f64_e32 v[52:53], v[28:29], v[38:39]
	s_delay_alu instid0(VALU_DEP_2) | instskip(NEXT) | instid1(VALU_DEP_2)
	v_add_f64_e32 v[26:27], v[46:47], v[2:3]
	v_add_f64_e32 v[28:29], v[52:53], v[44:45]
	ds_load_b128 v[44:47], v43 offset:2160
	s_wait_dscnt 0x0
	s_barrier_signal -1
	s_barrier_wait -1
	v_mul_f64_e32 v[2:3], v[46:47], v[32:33]
	v_mul_f64_e32 v[32:33], v[44:45], v[32:33]
	s_delay_alu instid0(VALU_DEP_2) | instskip(NEXT) | instid1(VALU_DEP_2)
	v_fma_f64 v[2:3], v[44:45], v[30:31], -v[2:3]
	v_fmac_f64_e32 v[32:33], v[46:47], v[30:31]
	s_delay_alu instid0(VALU_DEP_2) | instskip(SKIP_1) | instid1(VALU_DEP_3)
	v_add_f64_e32 v[30:31], v[48:49], v[2:3]
	v_mul_f64_e32 v[2:3], v[46:47], v[40:41]
	v_add_f64_e32 v[32:33], v[32:33], v[50:51]
	s_delay_alu instid0(VALU_DEP_2) | instskip(SKIP_1) | instid1(VALU_DEP_2)
	v_fma_f64 v[2:3], v[44:45], v[38:39], -v[2:3]
	v_mul_f64_e32 v[44:45], v[44:45], v[40:41]
	v_add_f64_e32 v[40:41], v[54:55], v[2:3]
	s_delay_alu instid0(VALU_DEP_2) | instskip(NEXT) | instid1(VALU_DEP_1)
	v_fmac_f64_e32 v[44:45], v[46:47], v[38:39]
	v_add_f64_e32 v[38:39], v[44:45], v[56:57]
	s_cbranch_vccz .LBB253_21
.LBB253_10:                             ;   Parent Loop BB253_7 Depth=1
                                        ; =>  This Inner Loop Header: Depth=2
	s_mov_b32 s33, 0
	s_mov_b32 s35, s21
	s_and_saveexec_b32 s34, s0
	s_cbranch_execnz .LBB253_18
; %bb.11:                               ;   in Loop: Header=BB253_10 Depth=2
	s_or_b32 exec_lo, exec_lo, s34
	s_and_saveexec_b32 s34, s35
	s_delay_alu instid0(SALU_CYCLE_1)
	s_xor_b32 s34, exec_lo, s34
	s_cbranch_execnz .LBB253_19
.LBB253_12:                             ;   in Loop: Header=BB253_10 Depth=2
	s_or_b32 exec_lo, exec_lo, s34
	s_and_saveexec_b32 s34, s33
	s_cbranch_execz .LBB253_14
.LBB253_13:                             ;   in Loop: Header=BB253_10 Depth=2
	v_mul_u64_e32 v[2:3], s[10:11], v[22:23]
	s_delay_alu instid0(VALU_DEP_1)
	v_lshl_add_u64 v[2:3], v[2:3], 4, v[4:5]
	global_load_b128 v[44:47], v[2:3], off
	s_wait_loadcnt 0x0
	ds_store_2addr_b64 v7, v[44:45], v[46:47] offset1:1
.LBB253_14:                             ;   in Loop: Header=BB253_10 Depth=2
	s_wait_xcnt 0x0
	s_or_b32 exec_lo, exec_lo, s34
	v_add_nc_u32_e32 v0, s2, v6
	s_delay_alu instid0(VALU_DEP_1) | instskip(SKIP_1) | instid1(SALU_CYCLE_1)
	v_cmp_le_u64_e32 vcc_lo, s[4:5], v[0:1]
	s_or_b32 s33, vcc_lo, s25
	s_and_saveexec_b32 s34, s33
	s_delay_alu instid0(SALU_CYCLE_1)
	s_xor_b32 s33, exec_lo, s34
; %bb.15:                               ;   in Loop: Header=BB253_10 Depth=2
	v_dual_mov_b32 v0, v1 :: v_dual_mov_b32 v2, v1
	v_mov_b32_e32 v3, v1
	ds_store_b128 v9, v[0:3]
; %bb.16:                               ;   in Loop: Header=BB253_10 Depth=2
	s_and_not1_saveexec_b32 s33, s33
	s_cbranch_execz .LBB253_9
; %bb.17:                               ;   in Loop: Header=BB253_10 Depth=2
	v_mul_u64_e32 v[2:3], s[16:17], v[0:1]
	s_delay_alu instid0(VALU_DEP_1)
	v_lshl_add_u64 v[2:3], v[2:3], 4, v[24:25]
	global_load_b128 v[44:47], v[2:3], off
	s_wait_loadcnt 0x0
	ds_store_2addr_b64 v9, v[44:45], v[46:47] offset1:1
	s_branch .LBB253_9
.LBB253_18:                             ;   in Loop: Header=BB253_10 Depth=2
	v_add_nc_u32_e32 v0, s2, v8
	s_and_not1_b32 s35, s21, exec_lo
	s_mov_b32 s33, exec_lo
	s_delay_alu instid0(VALU_DEP_1) | instskip(SKIP_2) | instid1(SALU_CYCLE_1)
	v_cmp_le_u64_e32 vcc_lo, s[4:5], v[0:1]
	v_mov_b64_e32 v[22:23], v[0:1]
	s_and_b32 s40, vcc_lo, exec_lo
	s_or_b32 s35, s35, s40
	s_or_b32 exec_lo, exec_lo, s34
	s_and_saveexec_b32 s34, s35
	s_delay_alu instid0(SALU_CYCLE_1)
	s_xor_b32 s34, exec_lo, s34
	s_cbranch_execz .LBB253_12
.LBB253_19:                             ;   in Loop: Header=BB253_10 Depth=2
	v_dual_mov_b32 v0, v1 :: v_dual_mov_b32 v2, v1
	v_mov_b32_e32 v3, v1
	s_and_not1_b32 s33, s33, exec_lo
	ds_store_b128 v7, v[0:3]
	s_or_b32 exec_lo, exec_lo, s34
	s_and_saveexec_b32 s34, s33
	s_cbranch_execnz .LBB253_13
	s_branch .LBB253_14
.LBB253_20:                             ;   in Loop: Header=BB253_7 Depth=1
	v_mov_b64_e32 v[36:37], 0
	v_mov_b64_e32 v[26:27], 0
	;; [unrolled: 1-line block ×7, first 2 shown]
.LBB253_21:                             ;   in Loop: Header=BB253_7 Depth=1
	s_mul_u64 s[2:3], s[26:27], s[6:7]
	s_delay_alu instid0(SALU_CYCLE_1) | instskip(NEXT) | instid1(SALU_CYCLE_1)
	s_lshl_b64 s[2:3], s[2:3], 4
	s_add_nc_u64 s[2:3], s[22:23], s[2:3]
	s_delay_alu instid0(SALU_CYCLE_1)
	v_lshl_add_u64 v[24:25], v[10:11], 4, s[2:3]
	s_and_saveexec_b32 s33, s9
	s_cbranch_execz .LBB253_26
; %bb.22:                               ;   in Loop: Header=BB253_7 Depth=1
	v_mul_f64_e32 v[2:3], s[38:39], v[36:37]
	v_mul_f64_e32 v[4:5], s[36:37], v[36:37]
	s_and_b32 vcc_lo, exec_lo, s8
	s_mov_b32 s34, -1
	s_delay_alu instid0(VALU_DEP_2) | instskip(NEXT) | instid1(VALU_DEP_2)
	v_fma_f64 v[2:3], s[36:37], v[34:35], -v[2:3]
	v_fmac_f64_e32 v[4:5], s[38:39], v[34:35]
	v_lshl_add_u64 v[34:35], v[14:15], 4, v[24:25]
	s_cbranch_vccz .LBB253_24
; %bb.23:                               ;   in Loop: Header=BB253_7 Depth=1
	global_load_b128 v[44:47], v[34:35], off
	s_mov_b32 s34, 0
	s_wait_loadcnt 0x0
	v_mul_f64_e32 v[36:37], s[30:31], v[46:47]
	v_mul_f64_e32 v[46:47], s[28:29], v[46:47]
	s_delay_alu instid0(VALU_DEP_2) | instskip(NEXT) | instid1(VALU_DEP_2)
	v_fma_f64 v[36:37], s[28:29], v[44:45], -v[36:37]
	v_fmac_f64_e32 v[46:47], s[30:31], v[44:45]
	s_delay_alu instid0(VALU_DEP_2) | instskip(NEXT) | instid1(VALU_DEP_2)
	v_add_f64_e32 v[44:45], v[2:3], v[36:37]
	v_add_f64_e32 v[46:47], v[4:5], v[46:47]
	global_store_b128 v[34:35], v[44:47], off
.LBB253_24:                             ;   in Loop: Header=BB253_7 Depth=1
	s_and_not1_b32 vcc_lo, exec_lo, s34
	s_cbranch_vccnz .LBB253_26
; %bb.25:                               ;   in Loop: Header=BB253_7 Depth=1
	global_store_b128 v[34:35], v[2:5], off
.LBB253_26:                             ;   in Loop: Header=BB253_7 Depth=1
	s_wait_xcnt 0x0
	s_or_b32 exec_lo, exec_lo, s33
	s_and_saveexec_b32 s33, s14
	s_cbranch_execz .LBB253_31
; %bb.27:                               ;   in Loop: Header=BB253_7 Depth=1
	v_mul_f64_e32 v[2:3], s[38:39], v[28:29]
	v_mul_f64_e32 v[4:5], s[36:37], v[28:29]
	v_lshl_add_u64 v[24:25], v[20:21], 4, v[24:25]
	s_and_not1_b32 vcc_lo, exec_lo, s8
	s_mov_b32 s34, -1
	s_delay_alu instid0(VALU_DEP_3) | instskip(NEXT) | instid1(VALU_DEP_3)
	v_fma_f64 v[2:3], s[36:37], v[26:27], -v[2:3]
	v_fmac_f64_e32 v[4:5], s[38:39], v[26:27]
	s_cbranch_vccnz .LBB253_29
; %bb.28:                               ;   in Loop: Header=BB253_7 Depth=1
	global_load_b128 v[26:29], v[24:25], off
	s_mov_b32 s34, 0
	s_wait_loadcnt 0x0
	v_mul_f64_e32 v[34:35], s[30:31], v[28:29]
	v_mul_f64_e32 v[28:29], s[28:29], v[28:29]
	s_delay_alu instid0(VALU_DEP_2) | instskip(NEXT) | instid1(VALU_DEP_2)
	v_fma_f64 v[34:35], s[28:29], v[26:27], -v[34:35]
	v_fmac_f64_e32 v[28:29], s[30:31], v[26:27]
	s_delay_alu instid0(VALU_DEP_2) | instskip(NEXT) | instid1(VALU_DEP_2)
	v_add_f64_e32 v[26:27], v[2:3], v[34:35]
	v_add_f64_e32 v[28:29], v[4:5], v[28:29]
	global_store_b128 v[24:25], v[26:29], off
.LBB253_29:                             ;   in Loop: Header=BB253_7 Depth=1
	s_and_not1_b32 vcc_lo, exec_lo, s34
	s_cbranch_vccnz .LBB253_31
; %bb.30:                               ;   in Loop: Header=BB253_7 Depth=1
	global_store_b128 v[24:25], v[2:5], off
.LBB253_31:                             ;   in Loop: Header=BB253_7 Depth=1
	s_wait_xcnt 0x0
	s_or_b32 exec_lo, exec_lo, s33
	v_lshl_add_u64 v[24:25], v[12:13], 4, s[2:3]
	s_and_saveexec_b32 s2, s24
	s_cbranch_execz .LBB253_36
; %bb.32:                               ;   in Loop: Header=BB253_7 Depth=1
	v_mul_f64_e32 v[2:3], s[38:39], v[32:33]
	v_mul_f64_e32 v[4:5], s[36:37], v[32:33]
	v_lshl_add_u64 v[26:27], v[14:15], 4, v[24:25]
	s_and_not1_b32 vcc_lo, exec_lo, s8
	s_mov_b32 s3, -1
	s_delay_alu instid0(VALU_DEP_3) | instskip(NEXT) | instid1(VALU_DEP_3)
	v_fma_f64 v[2:3], s[36:37], v[30:31], -v[2:3]
	v_fmac_f64_e32 v[4:5], s[38:39], v[30:31]
	s_cbranch_vccnz .LBB253_34
; %bb.33:                               ;   in Loop: Header=BB253_7 Depth=1
	global_load_b128 v[28:31], v[26:27], off
	s_mov_b32 s3, 0
	s_wait_loadcnt 0x0
	v_mul_f64_e32 v[32:33], s[30:31], v[30:31]
	v_mul_f64_e32 v[30:31], s[28:29], v[30:31]
	s_delay_alu instid0(VALU_DEP_2) | instskip(NEXT) | instid1(VALU_DEP_2)
	v_fma_f64 v[32:33], s[28:29], v[28:29], -v[32:33]
	v_fmac_f64_e32 v[30:31], s[30:31], v[28:29]
	s_delay_alu instid0(VALU_DEP_2) | instskip(NEXT) | instid1(VALU_DEP_2)
	v_add_f64_e32 v[28:29], v[2:3], v[32:33]
	v_add_f64_e32 v[30:31], v[4:5], v[30:31]
	global_store_b128 v[26:27], v[28:31], off
.LBB253_34:                             ;   in Loop: Header=BB253_7 Depth=1
	s_and_not1_b32 vcc_lo, exec_lo, s3
	s_cbranch_vccnz .LBB253_36
; %bb.35:                               ;   in Loop: Header=BB253_7 Depth=1
	global_store_b128 v[26:27], v[2:5], off
.LBB253_36:                             ;   in Loop: Header=BB253_7 Depth=1
	s_wait_xcnt 0x0
	s_or_b32 exec_lo, exec_lo, s2
	s_and_saveexec_b32 s2, s1
	s_cbranch_execz .LBB253_6
; %bb.37:                               ;   in Loop: Header=BB253_7 Depth=1
	s_delay_alu instid0(VALU_DEP_3) | instskip(SKIP_4) | instid1(VALU_DEP_3)
	v_mul_f64_e32 v[2:3], s[38:39], v[38:39]
	v_mul_f64_e32 v[4:5], s[36:37], v[38:39]
	v_lshl_add_u64 v[24:25], v[20:21], 4, v[24:25]
	s_and_not1_b32 vcc_lo, exec_lo, s8
	s_mov_b32 s3, -1
	v_fma_f64 v[2:3], s[36:37], v[40:41], -v[2:3]
	s_delay_alu instid0(VALU_DEP_3)
	v_fmac_f64_e32 v[4:5], s[38:39], v[40:41]
	s_cbranch_vccnz .LBB253_39
; %bb.38:                               ;   in Loop: Header=BB253_7 Depth=1
	global_load_b128 v[26:29], v[24:25], off
	s_mov_b32 s3, 0
	s_wait_loadcnt 0x0
	v_mul_f64_e32 v[30:31], s[30:31], v[28:29]
	v_mul_f64_e32 v[28:29], s[28:29], v[28:29]
	s_delay_alu instid0(VALU_DEP_2) | instskip(NEXT) | instid1(VALU_DEP_2)
	v_fma_f64 v[30:31], s[28:29], v[26:27], -v[30:31]
	v_fmac_f64_e32 v[28:29], s[30:31], v[26:27]
	s_delay_alu instid0(VALU_DEP_2) | instskip(NEXT) | instid1(VALU_DEP_2)
	v_add_f64_e32 v[26:27], v[2:3], v[30:31]
	v_add_f64_e32 v[28:29], v[4:5], v[28:29]
	global_store_b128 v[24:25], v[26:29], off
.LBB253_39:                             ;   in Loop: Header=BB253_7 Depth=1
	s_and_not1_b32 vcc_lo, exec_lo, s3
	s_cbranch_vccnz .LBB253_6
; %bb.40:                               ;   in Loop: Header=BB253_7 Depth=1
	global_store_b128 v[24:25], v[2:5], off
	s_branch .LBB253_6
.LBB253_41:
.LBB253_42:
	s_sendmsg sendmsg(MSG_DEALLOC_VGPRS)
	s_endpgm
	.section	.rodata,"a",@progbits
	.p2align	6, 0x0
	.amdhsa_kernel _ZL29rocblas_internal_gemmt_kernelIlLi16ELi32ELi8ELc78ELc84ELc85ELb0ELb0E19rocblas_complex_numIdEPKS1_S3_PS1_EviT_T9_T10_S5_lS7_S5_lS6_T11_S5_li
		.amdhsa_group_segment_fixed_size 8192
		.amdhsa_private_segment_fixed_size 0
		.amdhsa_kernarg_size 108
		.amdhsa_user_sgpr_count 2
		.amdhsa_user_sgpr_dispatch_ptr 0
		.amdhsa_user_sgpr_queue_ptr 0
		.amdhsa_user_sgpr_kernarg_segment_ptr 1
		.amdhsa_user_sgpr_dispatch_id 0
		.amdhsa_user_sgpr_kernarg_preload_length 0
		.amdhsa_user_sgpr_kernarg_preload_offset 0
		.amdhsa_user_sgpr_private_segment_size 0
		.amdhsa_wavefront_size32 1
		.amdhsa_uses_dynamic_stack 0
		.amdhsa_enable_private_segment 0
		.amdhsa_system_sgpr_workgroup_id_x 1
		.amdhsa_system_sgpr_workgroup_id_y 1
		.amdhsa_system_sgpr_workgroup_id_z 1
		.amdhsa_system_sgpr_workgroup_info 0
		.amdhsa_system_vgpr_workitem_id 1
		.amdhsa_next_free_vgpr 68
		.amdhsa_next_free_sgpr 42
		.amdhsa_named_barrier_count 0
		.amdhsa_reserve_vcc 1
		.amdhsa_float_round_mode_32 0
		.amdhsa_float_round_mode_16_64 0
		.amdhsa_float_denorm_mode_32 3
		.amdhsa_float_denorm_mode_16_64 3
		.amdhsa_fp16_overflow 0
		.amdhsa_memory_ordered 1
		.amdhsa_forward_progress 1
		.amdhsa_inst_pref_size 26
		.amdhsa_round_robin_scheduling 0
		.amdhsa_exception_fp_ieee_invalid_op 0
		.amdhsa_exception_fp_denorm_src 0
		.amdhsa_exception_fp_ieee_div_zero 0
		.amdhsa_exception_fp_ieee_overflow 0
		.amdhsa_exception_fp_ieee_underflow 0
		.amdhsa_exception_fp_ieee_inexact 0
		.amdhsa_exception_int_div_zero 0
	.end_amdhsa_kernel
	.section	.text._ZL29rocblas_internal_gemmt_kernelIlLi16ELi32ELi8ELc78ELc84ELc85ELb0ELb0E19rocblas_complex_numIdEPKS1_S3_PS1_EviT_T9_T10_S5_lS7_S5_lS6_T11_S5_li,"axG",@progbits,_ZL29rocblas_internal_gemmt_kernelIlLi16ELi32ELi8ELc78ELc84ELc85ELb0ELb0E19rocblas_complex_numIdEPKS1_S3_PS1_EviT_T9_T10_S5_lS7_S5_lS6_T11_S5_li,comdat
.Lfunc_end253:
	.size	_ZL29rocblas_internal_gemmt_kernelIlLi16ELi32ELi8ELc78ELc84ELc85ELb0ELb0E19rocblas_complex_numIdEPKS1_S3_PS1_EviT_T9_T10_S5_lS7_S5_lS6_T11_S5_li, .Lfunc_end253-_ZL29rocblas_internal_gemmt_kernelIlLi16ELi32ELi8ELc78ELc84ELc85ELb0ELb0E19rocblas_complex_numIdEPKS1_S3_PS1_EviT_T9_T10_S5_lS7_S5_lS6_T11_S5_li
                                        ; -- End function
	.set _ZL29rocblas_internal_gemmt_kernelIlLi16ELi32ELi8ELc78ELc84ELc85ELb0ELb0E19rocblas_complex_numIdEPKS1_S3_PS1_EviT_T9_T10_S5_lS7_S5_lS6_T11_S5_li.num_vgpr, 68
	.set _ZL29rocblas_internal_gemmt_kernelIlLi16ELi32ELi8ELc78ELc84ELc85ELb0ELb0E19rocblas_complex_numIdEPKS1_S3_PS1_EviT_T9_T10_S5_lS7_S5_lS6_T11_S5_li.num_agpr, 0
	.set _ZL29rocblas_internal_gemmt_kernelIlLi16ELi32ELi8ELc78ELc84ELc85ELb0ELb0E19rocblas_complex_numIdEPKS1_S3_PS1_EviT_T9_T10_S5_lS7_S5_lS6_T11_S5_li.numbered_sgpr, 42
	.set _ZL29rocblas_internal_gemmt_kernelIlLi16ELi32ELi8ELc78ELc84ELc85ELb0ELb0E19rocblas_complex_numIdEPKS1_S3_PS1_EviT_T9_T10_S5_lS7_S5_lS6_T11_S5_li.num_named_barrier, 0
	.set _ZL29rocblas_internal_gemmt_kernelIlLi16ELi32ELi8ELc78ELc84ELc85ELb0ELb0E19rocblas_complex_numIdEPKS1_S3_PS1_EviT_T9_T10_S5_lS7_S5_lS6_T11_S5_li.private_seg_size, 0
	.set _ZL29rocblas_internal_gemmt_kernelIlLi16ELi32ELi8ELc78ELc84ELc85ELb0ELb0E19rocblas_complex_numIdEPKS1_S3_PS1_EviT_T9_T10_S5_lS7_S5_lS6_T11_S5_li.uses_vcc, 1
	.set _ZL29rocblas_internal_gemmt_kernelIlLi16ELi32ELi8ELc78ELc84ELc85ELb0ELb0E19rocblas_complex_numIdEPKS1_S3_PS1_EviT_T9_T10_S5_lS7_S5_lS6_T11_S5_li.uses_flat_scratch, 0
	.set _ZL29rocblas_internal_gemmt_kernelIlLi16ELi32ELi8ELc78ELc84ELc85ELb0ELb0E19rocblas_complex_numIdEPKS1_S3_PS1_EviT_T9_T10_S5_lS7_S5_lS6_T11_S5_li.has_dyn_sized_stack, 0
	.set _ZL29rocblas_internal_gemmt_kernelIlLi16ELi32ELi8ELc78ELc84ELc85ELb0ELb0E19rocblas_complex_numIdEPKS1_S3_PS1_EviT_T9_T10_S5_lS7_S5_lS6_T11_S5_li.has_recursion, 0
	.set _ZL29rocblas_internal_gemmt_kernelIlLi16ELi32ELi8ELc78ELc84ELc85ELb0ELb0E19rocblas_complex_numIdEPKS1_S3_PS1_EviT_T9_T10_S5_lS7_S5_lS6_T11_S5_li.has_indirect_call, 0
	.section	.AMDGPU.csdata,"",@progbits
; Kernel info:
; codeLenInByte = 3256
; TotalNumSgprs: 44
; NumVgprs: 68
; ScratchSize: 0
; MemoryBound: 0
; FloatMode: 240
; IeeeMode: 1
; LDSByteSize: 8192 bytes/workgroup (compile time only)
; SGPRBlocks: 0
; VGPRBlocks: 4
; NumSGPRsForWavesPerEU: 44
; NumVGPRsForWavesPerEU: 68
; NamedBarCnt: 0
; Occupancy: 12
; WaveLimiterHint : 0
; COMPUTE_PGM_RSRC2:SCRATCH_EN: 0
; COMPUTE_PGM_RSRC2:USER_SGPR: 2
; COMPUTE_PGM_RSRC2:TRAP_HANDLER: 0
; COMPUTE_PGM_RSRC2:TGID_X_EN: 1
; COMPUTE_PGM_RSRC2:TGID_Y_EN: 1
; COMPUTE_PGM_RSRC2:TGID_Z_EN: 1
; COMPUTE_PGM_RSRC2:TIDIG_COMP_CNT: 1
	.section	.text._ZL29rocblas_internal_gemmt_kernelIlLi16ELi32ELi8ELc78ELc67ELc85ELb0ELb1E19rocblas_complex_numIdEPKS1_S3_PS1_EviT_T9_T10_S5_lS7_S5_lS6_T11_S5_li,"axG",@progbits,_ZL29rocblas_internal_gemmt_kernelIlLi16ELi32ELi8ELc78ELc67ELc85ELb0ELb1E19rocblas_complex_numIdEPKS1_S3_PS1_EviT_T9_T10_S5_lS7_S5_lS6_T11_S5_li,comdat
	.globl	_ZL29rocblas_internal_gemmt_kernelIlLi16ELi32ELi8ELc78ELc67ELc85ELb0ELb1E19rocblas_complex_numIdEPKS1_S3_PS1_EviT_T9_T10_S5_lS7_S5_lS6_T11_S5_li ; -- Begin function _ZL29rocblas_internal_gemmt_kernelIlLi16ELi32ELi8ELc78ELc67ELc85ELb0ELb1E19rocblas_complex_numIdEPKS1_S3_PS1_EviT_T9_T10_S5_lS7_S5_lS6_T11_S5_li
	.p2align	8
	.type	_ZL29rocblas_internal_gemmt_kernelIlLi16ELi32ELi8ELc78ELc67ELc85ELb0ELb1E19rocblas_complex_numIdEPKS1_S3_PS1_EviT_T9_T10_S5_lS7_S5_lS6_T11_S5_li,@function
_ZL29rocblas_internal_gemmt_kernelIlLi16ELi32ELi8ELc78ELc67ELc85ELb0ELb1E19rocblas_complex_numIdEPKS1_S3_PS1_EviT_T9_T10_S5_lS7_S5_lS6_T11_S5_li: ; @_ZL29rocblas_internal_gemmt_kernelIlLi16ELi32ELi8ELc78ELc67ELc85ELb0ELb1E19rocblas_complex_numIdEPKS1_S3_PS1_EviT_T9_T10_S5_lS7_S5_lS6_T11_S5_li
; %bb.0:
	s_clause 0x1
	s_load_b256 s[24:31], s[0:1], 0x48
	s_load_b512 s[8:23], s[0:1], 0x8
	s_wait_kmcnt 0x0
	s_load_b128 s[36:39], s[24:25], 0x0
	s_load_b128 s[40:43], s[10:11], 0x0
	s_wait_kmcnt 0x0
	v_cmp_eq_f64_e64 s2, s[36:37], 1.0
	v_cmp_eq_f64_e64 s3, s[38:39], 0
	s_and_b32 s2, s2, s3
	s_delay_alu instid0(SALU_CYCLE_1)
	s_and_not1_b32 vcc_lo, exec_lo, s2
	s_mov_b32 s2, -1
	s_cbranch_vccnz .LBB254_3
; %bb.1:
	s_cmp_lg_u64 s[8:9], 0
	s_cbranch_scc0 .LBB254_39
; %bb.2:
	v_cmp_neq_f64_e64 s2, s[40:41], 0
	v_cmp_neq_f64_e64 s4, s[42:43], 0
	s_or_b32 s2, s2, s4
.LBB254_3:
	s_delay_alu instid0(SALU_CYCLE_1)
	s_and_b32 vcc_lo, exec_lo, s2
	s_cbranch_vccz .LBB254_40
; %bb.4:
	s_load_b32 s10, s[0:1], 0x68
	s_bfe_u32 s2, ttmp6, 0x40014
	s_lshr_b32 s4, ttmp7, 16
	s_add_co_i32 s2, s2, 1
	s_bfe_u32 s6, ttmp6, 0x40008
	s_mul_i32 s5, s4, s2
	s_getreg_b32 s2, hwreg(HW_REG_IB_STS2, 6, 4)
	s_add_co_i32 s6, s6, s5
	s_cmp_eq_u32 s2, 0
	s_mov_b32 s7, 0
	s_cselect_b32 s6, s4, s6
	s_wait_kmcnt 0x0
	s_cmp_ge_u32 s6, s10
	s_cbranch_scc1 .LBB254_40
; %bb.5:
	s_load_b32 s24, s[0:1], 0x0
	s_wait_xcnt 0x0
	s_bfe_u32 s1, ttmp6, 0x4000c
	s_bfe_u32 s25, ttmp6, 0x40010
	s_and_b32 s11, ttmp7, 0xffff
	s_add_co_i32 s1, s1, 1
	s_add_co_i32 s25, s25, 1
	s_and_b32 s0, ttmp6, 15
	s_bfe_u32 s33, ttmp6, 0x40004
	s_mul_i32 s1, ttmp9, s1
	s_mul_i32 s25, s11, s25
	s_add_co_i32 s0, s0, s1
	s_add_co_i32 s33, s33, s25
	s_cmp_eq_u32 s2, 0
	v_and_b32_e32 v17, 0x3ff, v0
	v_bfe_u32 v21, v0, 10, 10
	s_cselect_b32 s1, s11, s33
	s_cselect_b32 s0, ttmp9, s0
	s_lshl_b32 s1, s1, 5
	s_delay_alu instid0(VALU_DEP_1) | instid1(SALU_CYCLE_1)
	v_dual_add_nc_u32 v0, s1, v21 :: v_dual_bitop2_b32 v6, 7, v0 bitop3:0x40
	v_lshl_add_u32 v1, v21, 4, v17
	v_cmp_neq_f64_e64 s4, s[40:41], 0
	v_cmp_neq_f64_e64 s5, s[42:43], 0
	v_cmp_neq_f64_e64 s25, s[36:37], 0
	s_delay_alu instid0(VALU_DEP_4) | instskip(SKIP_2) | instid1(VALU_DEP_2)
	v_dual_add_nc_u32 v2, 16, v0 :: v_dual_lshrrev_b32 v8, 5, v1
	v_dual_lshrrev_b32 v9, 3, v1 :: v_dual_bitop2_b32 v5, 31, v1 bitop3:0x40
	s_lshl_b32 s2, s0, 5
	v_dual_ashrrev_i32 v1, 31, v0 :: v_dual_ashrrev_i32 v3, 31, v2
	s_delay_alu instid0(VALU_DEP_2) | instskip(NEXT) | instid1(VALU_DEP_3)
	v_or_b32_e32 v4, s2, v5
	v_add_nc_u32_e32 v18, s1, v9
	v_dual_add_nc_u32 v16, s2, v17 :: v_dual_lshlrev_b32 v44, 4, v17
	s_delay_alu instid0(VALU_DEP_4)
	v_mul_u64_e32 v[10:11], s[28:29], v[0:1]
	v_mul_u64_e32 v[12:13], s[28:29], v[2:3]
	v_dual_lshlrev_b32 v7, 4, v5 :: v_dual_lshlrev_b32 v14, 4, v6
	v_dual_ashrrev_i32 v5, 31, v4 :: v_dual_ashrrev_i32 v19, 31, v18
	s_wait_kmcnt 0x0
	v_cmp_gt_i32_e32 vcc_lo, s24, v0
	v_cmp_le_i32_e64 s2, v16, v0
	v_dual_add_nc_u32 v20, 16, v16 :: v_dual_ashrrev_i32 v17, 31, v16
	v_lshl_or_b32 v1, v9, 7, v14
	v_cmp_gt_i64_e64 s34, s[8:9], 0
	s_xor_b32 s3, s3, -1
	v_lshl_add_u64 v[14:15], v[4:5], 4, s[12:13]
	s_and_b32 s13, vcc_lo, s2
	v_cmp_le_i32_e64 s2, v20, v0
	v_cmp_gt_i32_e64 s0, s24, v4
	v_cmp_le_i32_e64 s11, s24, v4
	v_lshl_or_b32 v7, v8, 9, v7
	s_or_b32 s33, s4, s5
	s_or_b32 s12, s25, s3
	v_cmp_gt_i32_e64 s3, s24, v2
	v_cmp_le_i32_e64 s4, v16, v2
	v_cmp_le_i32_e64 s5, v20, v2
	v_cmp_gt_i32_e64 s1, s24, v18
	v_add_nc_u32_e32 v9, 0x1000, v1
	v_lshl_add_u64 v[18:19], v[18:19], 4, s[18:19]
	v_lshl_add_u32 v45, v21, 7, 0x1000
	v_dual_ashrrev_i32 v21, 31, v20 :: v_dual_mov_b32 v1, 0
	s_and_b32 s18, s33, s34
	s_and_b32 s19, vcc_lo, s2
	s_and_b32 s4, s3, s4
	s_and_b32 s5, s3, s5
                                        ; implicit-def: $vgpr22_vgpr23
	s_branch .LBB254_7
.LBB254_6:                              ;   in Loop: Header=BB254_7 Depth=1
	s_wait_xcnt 0x0
	s_or_b32 exec_lo, exec_lo, s2
	s_add_co_i32 s6, s6, 0x10000
	s_delay_alu instid0(SALU_CYCLE_1)
	s_cmp_lt_u32 s6, s10
	s_cbranch_scc0 .LBB254_40
.LBB254_7:                              ; =>This Loop Header: Depth=1
                                        ;     Child Loop BB254_10 Depth 2
	v_mov_b64_e32 v[40:41], 0
	s_and_not1_b32 vcc_lo, exec_lo, s18
	s_cbranch_vccnz .LBB254_18
; %bb.8:                                ;   in Loop: Header=BB254_7 Depth=1
	s_mul_u64 s[2:3], s[22:23], s[6:7]
	s_mul_u64 s[24:25], s[16:17], s[6:7]
	v_mov_b64_e32 v[24:25], 0
	v_mov_b64_e32 v[26:27], 0
	;; [unrolled: 1-line block ×8, first 2 shown]
	v_lshl_add_u64 v[28:29], s[24:25], 4, v[14:15]
	v_lshl_add_u64 v[30:31], s[2:3], 4, v[18:19]
	s_mov_b64 s[2:3], 0
	s_branch .LBB254_10
.LBB254_9:                              ;   in Loop: Header=BB254_10 Depth=2
	s_wait_xcnt 0x0
	s_or_b32 exec_lo, exec_lo, s24
	ds_store_b128 v9, v[2:5]
	s_wait_dscnt 0x0
	s_barrier_signal -1
	s_barrier_wait -1
	ds_load_b128 v[2:5], v45
	ds_load_b128 v[46:49], v44
	ds_load_b128 v[50:53], v44 offset:256
	ds_load_b128 v[54:57], v45 offset:2048
	;; [unrolled: 1-line block ×10, first 2 shown]
	s_add_nc_u64 s[2:3], s[2:3], 8
	s_delay_alu instid0(SALU_CYCLE_1)
	v_cmp_gt_i64_e64 s24, s[8:9], s[2:3]
	s_and_b32 vcc_lo, exec_lo, s24
	s_wait_dscnt 0xa
	v_mul_f64_e32 v[90:91], v[4:5], v[48:49]
	v_mul_f64_e32 v[92:93], v[2:3], v[48:49]
	s_wait_dscnt 0x9
	v_mul_f64_e32 v[94:95], v[4:5], v[52:53]
	v_mul_f64_e32 v[96:97], v[2:3], v[52:53]
	s_wait_dscnt 0x8
	v_mul_f64_e32 v[98:99], v[56:57], v[48:49]
	v_mul_f64_e32 v[100:101], v[54:55], v[48:49]
	v_mul_f64_e32 v[48:49], v[56:57], v[52:53]
	v_mul_f64_e32 v[102:103], v[54:55], v[52:53]
	s_wait_dscnt 0x6
	v_mul_f64_e32 v[104:105], v[60:61], v[64:65]
	v_mul_f64_e32 v[106:107], v[58:59], v[64:65]
	s_wait_dscnt 0x5
	v_mul_f64_e32 v[108:109], v[60:61], v[68:69]
	v_mul_f64_e32 v[110:111], v[58:59], v[68:69]
	s_wait_dscnt 0x4
	v_mul_f64_e32 v[112:113], v[72:73], v[64:65]
	v_mul_f64_e32 v[64:65], v[70:71], v[64:65]
	v_mul_f64_e32 v[114:115], v[72:73], v[68:69]
	v_mul_f64_e32 v[68:69], v[70:71], v[68:69]
	;; [unrolled: 11-line block ×3, first 2 shown]
	v_fma_f64 v[90:91], v[2:3], v[46:47], -v[90:91]
	v_fmac_f64_e32 v[92:93], v[4:5], v[46:47]
	v_fma_f64 v[94:95], v[2:3], v[50:51], -v[94:95]
	v_fmac_f64_e32 v[96:97], v[4:5], v[50:51]
	;; [unrolled: 2-line block ×8, first 2 shown]
	ds_load_b128 v[2:5], v45 offset:48
	ds_load_b128 v[46:49], v45 offset:2096
	;; [unrolled: 1-line block ×4, first 2 shown]
	v_fma_f64 v[118:119], v[74:75], v[78:79], -v[118:119]
	v_fmac_f64_e32 v[120:121], v[76:77], v[78:79]
	v_fma_f64 v[74:75], v[74:75], v[82:83], -v[122:123]
	v_fmac_f64_e32 v[124:125], v[76:77], v[82:83]
	;; [unrolled: 2-line block ×4, first 2 shown]
	v_add_f64_e32 v[66:67], v[40:41], v[90:91]
	v_add_f64_e32 v[70:71], v[92:93], v[42:43]
	v_add_f64_e32 v[72:73], v[36:37], v[94:95]
	v_add_f64_e32 v[90:91], v[96:97], v[38:39]
	v_add_f64_e32 v[92:93], v[32:33], v[98:99]
	v_add_f64_e32 v[94:95], v[100:101], v[34:35]
	v_add_f64_e32 v[96:97], v[26:27], v[116:117]
	v_add_f64_e32 v[98:99], v[102:103], v[24:25]
	s_wait_dscnt 0x1
	v_mul_f64_e32 v[100:101], v[4:5], v[52:53]
	v_mul_f64_e32 v[102:103], v[2:3], v[52:53]
	s_wait_dscnt 0x0
	v_mul_f64_e32 v[108:109], v[4:5], v[56:57]
	v_mul_f64_e32 v[112:113], v[2:3], v[56:57]
	;; [unrolled: 1-line block ×6, first 2 shown]
	ds_load_b128 v[24:27], v45 offset:64
	ds_load_b128 v[32:35], v44 offset:2048
	;; [unrolled: 1-line block ×4, first 2 shown]
	v_add_f64_e32 v[82:83], v[66:67], v[104:105]
	v_add_f64_e32 v[86:87], v[106:107], v[70:71]
	;; [unrolled: 1-line block ×8, first 2 shown]
	s_wait_dscnt 0x2
	v_mul_f64_e32 v[98:99], v[26:27], v[34:35]
	v_mul_f64_e32 v[104:105], v[24:25], v[34:35]
	s_wait_dscnt 0x1
	v_mul_f64_e32 v[106:107], v[26:27], v[38:39]
	v_mul_f64_e32 v[110:111], v[24:25], v[38:39]
	;; [unrolled: 3-line block ×3, first 2 shown]
	v_mul_f64_e32 v[34:35], v[42:43], v[38:39]
	v_mul_f64_e32 v[128:129], v[40:41], v[38:39]
	v_fma_f64 v[38:39], v[2:3], v[50:51], -v[100:101]
	v_fmac_f64_e32 v[102:103], v[4:5], v[50:51]
	v_fma_f64 v[100:101], v[2:3], v[54:55], -v[108:109]
	v_fmac_f64_e32 v[112:113], v[4:5], v[54:55]
	;; [unrolled: 2-line block ×4, first 2 shown]
	ds_load_b128 v[56:59], v45 offset:80
	ds_load_b128 v[60:63], v45 offset:2128
	ds_load_b128 v[64:67], v44 offset:2560
	ds_load_b128 v[68:71], v44 offset:2816
	v_add_f64_e32 v[54:55], v[82:83], v[118:119]
	v_add_f64_e32 v[82:83], v[120:121], v[86:87]
	;; [unrolled: 1-line block ×8, first 2 shown]
	v_fma_f64 v[98:99], v[24:25], v[32:33], -v[98:99]
	v_fmac_f64_e32 v[104:105], v[26:27], v[32:33]
	v_fma_f64 v[106:107], v[24:25], v[36:37], -v[106:107]
	s_wait_dscnt 0x1
	v_mul_f64_e32 v[90:91], v[58:59], v[66:67]
	v_mul_f64_e32 v[92:93], v[56:57], v[66:67]
	s_wait_dscnt 0x0
	v_mul_f64_e32 v[94:95], v[58:59], v[70:71]
	v_mul_f64_e32 v[96:97], v[56:57], v[70:71]
	;; [unrolled: 1-line block ×6, first 2 shown]
	v_fmac_f64_e32 v[110:111], v[26:27], v[36:37]
	v_fma_f64 v[122:123], v[40:41], v[32:33], -v[122:123]
	v_fmac_f64_e32 v[126:127], v[42:43], v[32:33]
	v_fma_f64 v[124:125], v[40:41], v[36:37], -v[34:35]
	v_fmac_f64_e32 v[128:129], v[42:43], v[36:37]
	ds_load_b128 v[2:5], v45 offset:96
	ds_load_b128 v[46:49], v44 offset:3072
	;; [unrolled: 1-line block ×4, first 2 shown]
	v_add_f64_e32 v[54:55], v[54:55], v[38:39]
	v_add_f64_e32 v[82:83], v[102:103], v[82:83]
	;; [unrolled: 1-line block ×8, first 2 shown]
	ds_load_b128 v[24:27], v45 offset:112
	ds_load_b128 v[32:35], v45 offset:2160
	;; [unrolled: 1-line block ×4, first 2 shown]
	s_wait_dscnt 0x0
	v_mul_f64_e32 v[100:101], v[4:5], v[48:49]
	v_mul_f64_e32 v[102:103], v[2:3], v[48:49]
	;; [unrolled: 1-line block ×8, first 2 shown]
	v_fma_f64 v[90:91], v[56:57], v[64:65], -v[90:91]
	v_fmac_f64_e32 v[92:93], v[58:59], v[64:65]
	v_fma_f64 v[56:57], v[56:57], v[68:69], -v[94:95]
	v_fmac_f64_e32 v[96:97], v[58:59], v[68:69]
	;; [unrolled: 2-line block ×4, first 2 shown]
	s_barrier_signal -1
	s_barrier_wait -1
	v_mul_f64_e32 v[94:95], v[24:25], v[42:43]
	v_add_f64_e32 v[54:55], v[54:55], v[98:99]
	v_add_f64_e32 v[62:63], v[104:105], v[82:83]
	;; [unrolled: 1-line block ×8, first 2 shown]
	v_mul_f64_e32 v[84:85], v[26:27], v[38:39]
	v_mul_f64_e32 v[86:87], v[24:25], v[38:39]
	;; [unrolled: 1-line block ×7, first 2 shown]
	v_fma_f64 v[42:43], v[2:3], v[46:47], -v[100:101]
	v_fmac_f64_e32 v[102:103], v[4:5], v[46:47]
	v_fma_f64 v[2:3], v[2:3], v[50:51], -v[108:109]
	v_fmac_f64_e32 v[112:113], v[4:5], v[50:51]
	v_fma_f64 v[4:5], v[72:73], v[46:47], -v[114:115]
	v_fmac_f64_e32 v[48:49], v[74:75], v[46:47]
	v_fma_f64 v[46:47], v[72:73], v[50:51], -v[116:117]
	v_fmac_f64_e32 v[52:53], v[74:75], v[50:51]
	v_fmac_f64_e32 v[94:95], v[26:27], v[40:41]
	v_add_f64_e32 v[50:51], v[54:55], v[90:91]
	v_add_f64_e32 v[54:55], v[92:93], v[62:63]
	;; [unrolled: 1-line block ×8, first 2 shown]
	v_fma_f64 v[68:69], v[24:25], v[36:37], -v[84:85]
	v_fmac_f64_e32 v[86:87], v[26:27], v[36:37]
	v_fma_f64 v[24:25], v[24:25], v[40:41], -v[88:89]
	v_fma_f64 v[26:27], v[32:33], v[36:37], -v[98:99]
	v_fmac_f64_e32 v[104:105], v[34:35], v[36:37]
	v_fma_f64 v[70:71], v[32:33], v[40:41], -v[38:39]
	v_fmac_f64_e32 v[106:107], v[34:35], v[40:41]
	v_add_f64_e32 v[32:33], v[50:51], v[42:43]
	v_add_f64_e32 v[34:35], v[102:103], v[54:55]
	;; [unrolled: 1-line block ×16, first 2 shown]
	s_cbranch_vccz .LBB254_19
.LBB254_10:                             ;   Parent Loop BB254_7 Depth=1
                                        ; =>  This Inner Loop Header: Depth=2
	s_mov_b32 s24, 0
	s_mov_b32 s28, s11
	s_and_saveexec_b32 s25, s0
	s_cbranch_execnz .LBB254_16
; %bb.11:                               ;   in Loop: Header=BB254_10 Depth=2
	s_or_b32 exec_lo, exec_lo, s25
	s_and_saveexec_b32 s25, s28
	s_delay_alu instid0(SALU_CYCLE_1)
	s_xor_b32 s25, exec_lo, s25
	s_cbranch_execnz .LBB254_17
.LBB254_12:                             ;   in Loop: Header=BB254_10 Depth=2
	s_or_b32 exec_lo, exec_lo, s25
	s_and_saveexec_b32 s25, s24
	s_cbranch_execz .LBB254_14
.LBB254_13:                             ;   in Loop: Header=BB254_10 Depth=2
	v_mul_u64_e32 v[2:3], s[14:15], v[22:23]
	s_delay_alu instid0(VALU_DEP_1)
	v_lshl_add_u64 v[2:3], v[2:3], 4, v[28:29]
	global_load_b128 v[2:5], v[2:3], off
	s_wait_loadcnt 0x0
	ds_store_2addr_b64 v7, v[2:3], v[4:5] offset1:1
.LBB254_14:                             ;   in Loop: Header=BB254_10 Depth=2
	s_wait_xcnt 0x0
	s_or_b32 exec_lo, exec_lo, s25
	v_add_nc_u32_e32 v0, s2, v6
	v_mov_b64_e32 v[2:3], 0
	v_mov_b64_e32 v[4:5], 0
	s_delay_alu instid0(VALU_DEP_3) | instskip(SKIP_1) | instid1(SALU_CYCLE_1)
	v_cmp_gt_u64_e32 vcc_lo, s[8:9], v[0:1]
	s_and_b32 s25, vcc_lo, s1
	s_and_saveexec_b32 s24, s25
	s_cbranch_execz .LBB254_9
; %bb.15:                               ;   in Loop: Header=BB254_10 Depth=2
	v_mul_u64_e32 v[2:3], s[20:21], v[0:1]
	s_delay_alu instid0(VALU_DEP_1)
	v_lshl_add_u64 v[2:3], v[2:3], 4, v[30:31]
	global_load_b128 v[2:5], v[2:3], off
	s_wait_loadcnt 0x0
	v_xor_b32_e32 v5, 0x80000000, v5
	s_branch .LBB254_9
.LBB254_16:                             ;   in Loop: Header=BB254_10 Depth=2
	v_add_nc_u32_e32 v0, s2, v8
	s_and_not1_b32 s28, s11, exec_lo
	s_mov_b32 s24, exec_lo
	s_delay_alu instid0(VALU_DEP_1) | instskip(SKIP_2) | instid1(SALU_CYCLE_1)
	v_cmp_le_u64_e32 vcc_lo, s[8:9], v[0:1]
	v_mov_b64_e32 v[22:23], v[0:1]
	s_and_b32 s29, vcc_lo, exec_lo
	s_or_b32 s28, s28, s29
	s_or_b32 exec_lo, exec_lo, s25
	s_and_saveexec_b32 s25, s28
	s_delay_alu instid0(SALU_CYCLE_1)
	s_xor_b32 s25, exec_lo, s25
	s_cbranch_execz .LBB254_12
.LBB254_17:                             ;   in Loop: Header=BB254_10 Depth=2
	v_dual_mov_b32 v0, v1 :: v_dual_mov_b32 v2, v1
	v_mov_b32_e32 v3, v1
	s_and_not1_b32 s24, s24, exec_lo
	ds_store_b128 v7, v[0:3]
	s_or_b32 exec_lo, exec_lo, s25
	s_and_saveexec_b32 s25, s24
	s_cbranch_execnz .LBB254_13
	s_branch .LBB254_14
.LBB254_18:                             ;   in Loop: Header=BB254_7 Depth=1
	v_mov_b64_e32 v[42:43], 0
	v_mov_b64_e32 v[36:37], 0
	v_mov_b64_e32 v[38:39], 0
	v_mov_b64_e32 v[32:33], 0
	v_mov_b64_e32 v[34:35], 0
	v_mov_b64_e32 v[26:27], 0
	v_mov_b64_e32 v[24:25], 0
.LBB254_19:                             ;   in Loop: Header=BB254_7 Depth=1
	s_mul_u64 s[2:3], s[30:31], s[6:7]
	s_delay_alu instid0(SALU_CYCLE_1) | instskip(NEXT) | instid1(SALU_CYCLE_1)
	s_lshl_b64 s[2:3], s[2:3], 4
	s_add_nc_u64 s[2:3], s[26:27], s[2:3]
	s_delay_alu instid0(SALU_CYCLE_1)
	v_lshl_add_u64 v[28:29], v[10:11], 4, s[2:3]
	s_and_saveexec_b32 s24, s13
	s_cbranch_execz .LBB254_24
; %bb.20:                               ;   in Loop: Header=BB254_7 Depth=1
	v_mul_f64_e32 v[2:3], s[42:43], v[42:43]
	v_mul_f64_e32 v[4:5], s[40:41], v[42:43]
	v_lshl_add_u64 v[30:31], v[16:17], 4, v[28:29]
	s_and_b32 vcc_lo, exec_lo, s12
	s_mov_b32 s25, -1
	s_delay_alu instid0(VALU_DEP_3) | instskip(NEXT) | instid1(VALU_DEP_3)
	v_fma_f64 v[2:3], s[40:41], v[40:41], -v[2:3]
	v_fmac_f64_e32 v[4:5], s[42:43], v[40:41]
	s_cbranch_vccz .LBB254_22
; %bb.21:                               ;   in Loop: Header=BB254_7 Depth=1
	global_load_b128 v[40:43], v[30:31], off
	s_mov_b32 s25, 0
	s_wait_loadcnt 0x0
	v_mul_f64_e32 v[46:47], s[38:39], v[42:43]
	v_mul_f64_e32 v[42:43], s[36:37], v[42:43]
	s_delay_alu instid0(VALU_DEP_2) | instskip(NEXT) | instid1(VALU_DEP_2)
	v_fma_f64 v[46:47], s[36:37], v[40:41], -v[46:47]
	v_fmac_f64_e32 v[42:43], s[38:39], v[40:41]
	s_delay_alu instid0(VALU_DEP_2) | instskip(NEXT) | instid1(VALU_DEP_2)
	v_add_f64_e32 v[40:41], v[2:3], v[46:47]
	v_add_f64_e32 v[42:43], v[4:5], v[42:43]
	global_store_b128 v[30:31], v[40:43], off
.LBB254_22:                             ;   in Loop: Header=BB254_7 Depth=1
	s_and_not1_b32 vcc_lo, exec_lo, s25
	s_cbranch_vccnz .LBB254_24
; %bb.23:                               ;   in Loop: Header=BB254_7 Depth=1
	global_store_b128 v[30:31], v[2:5], off
.LBB254_24:                             ;   in Loop: Header=BB254_7 Depth=1
	s_wait_xcnt 0x0
	s_or_b32 exec_lo, exec_lo, s24
	s_and_saveexec_b32 s24, s19
	s_cbranch_execz .LBB254_29
; %bb.25:                               ;   in Loop: Header=BB254_7 Depth=1
	v_mul_f64_e32 v[2:3], s[42:43], v[38:39]
	v_mul_f64_e32 v[4:5], s[40:41], v[38:39]
	v_lshl_add_u64 v[28:29], v[20:21], 4, v[28:29]
	s_and_not1_b32 vcc_lo, exec_lo, s12
	s_mov_b32 s25, -1
	s_delay_alu instid0(VALU_DEP_3) | instskip(NEXT) | instid1(VALU_DEP_3)
	v_fma_f64 v[2:3], s[40:41], v[36:37], -v[2:3]
	v_fmac_f64_e32 v[4:5], s[42:43], v[36:37]
	s_cbranch_vccnz .LBB254_27
; %bb.26:                               ;   in Loop: Header=BB254_7 Depth=1
	global_load_b128 v[36:39], v[28:29], off
	s_mov_b32 s25, 0
	s_wait_loadcnt 0x0
	v_mul_f64_e32 v[30:31], s[38:39], v[38:39]
	v_mul_f64_e32 v[38:39], s[36:37], v[38:39]
	s_delay_alu instid0(VALU_DEP_2) | instskip(NEXT) | instid1(VALU_DEP_2)
	v_fma_f64 v[30:31], s[36:37], v[36:37], -v[30:31]
	v_fmac_f64_e32 v[38:39], s[38:39], v[36:37]
	s_delay_alu instid0(VALU_DEP_2) | instskip(NEXT) | instid1(VALU_DEP_2)
	v_add_f64_e32 v[36:37], v[2:3], v[30:31]
	v_add_f64_e32 v[38:39], v[4:5], v[38:39]
	global_store_b128 v[28:29], v[36:39], off
.LBB254_27:                             ;   in Loop: Header=BB254_7 Depth=1
	s_and_not1_b32 vcc_lo, exec_lo, s25
	s_cbranch_vccnz .LBB254_29
; %bb.28:                               ;   in Loop: Header=BB254_7 Depth=1
	global_store_b128 v[28:29], v[2:5], off
.LBB254_29:                             ;   in Loop: Header=BB254_7 Depth=1
	s_wait_xcnt 0x0
	s_or_b32 exec_lo, exec_lo, s24
	v_lshl_add_u64 v[28:29], v[12:13], 4, s[2:3]
	s_and_saveexec_b32 s2, s4
	s_cbranch_execz .LBB254_34
; %bb.30:                               ;   in Loop: Header=BB254_7 Depth=1
	v_mul_f64_e32 v[2:3], s[42:43], v[34:35]
	v_mul_f64_e32 v[4:5], s[40:41], v[34:35]
	v_lshl_add_u64 v[30:31], v[16:17], 4, v[28:29]
	s_and_not1_b32 vcc_lo, exec_lo, s12
	s_mov_b32 s3, -1
	s_delay_alu instid0(VALU_DEP_3) | instskip(NEXT) | instid1(VALU_DEP_3)
	v_fma_f64 v[2:3], s[40:41], v[32:33], -v[2:3]
	v_fmac_f64_e32 v[4:5], s[42:43], v[32:33]
	s_cbranch_vccnz .LBB254_32
; %bb.31:                               ;   in Loop: Header=BB254_7 Depth=1
	global_load_b128 v[32:35], v[30:31], off
	s_mov_b32 s3, 0
	s_wait_loadcnt 0x0
	v_mul_f64_e32 v[36:37], s[38:39], v[34:35]
	v_mul_f64_e32 v[34:35], s[36:37], v[34:35]
	s_delay_alu instid0(VALU_DEP_2) | instskip(NEXT) | instid1(VALU_DEP_2)
	v_fma_f64 v[36:37], s[36:37], v[32:33], -v[36:37]
	v_fmac_f64_e32 v[34:35], s[38:39], v[32:33]
	s_delay_alu instid0(VALU_DEP_2) | instskip(NEXT) | instid1(VALU_DEP_2)
	v_add_f64_e32 v[32:33], v[2:3], v[36:37]
	v_add_f64_e32 v[34:35], v[4:5], v[34:35]
	global_store_b128 v[30:31], v[32:35], off
.LBB254_32:                             ;   in Loop: Header=BB254_7 Depth=1
	s_and_not1_b32 vcc_lo, exec_lo, s3
	s_cbranch_vccnz .LBB254_34
; %bb.33:                               ;   in Loop: Header=BB254_7 Depth=1
	global_store_b128 v[30:31], v[2:5], off
.LBB254_34:                             ;   in Loop: Header=BB254_7 Depth=1
	s_wait_xcnt 0x0
	s_or_b32 exec_lo, exec_lo, s2
	s_and_saveexec_b32 s2, s5
	s_cbranch_execz .LBB254_6
; %bb.35:                               ;   in Loop: Header=BB254_7 Depth=1
	s_delay_alu instid0(VALU_DEP_3) | instskip(SKIP_4) | instid1(VALU_DEP_3)
	v_mul_f64_e32 v[2:3], s[42:43], v[24:25]
	v_mul_f64_e32 v[4:5], s[40:41], v[24:25]
	v_lshl_add_u64 v[24:25], v[20:21], 4, v[28:29]
	s_and_not1_b32 vcc_lo, exec_lo, s12
	s_mov_b32 s3, -1
	v_fma_f64 v[2:3], s[40:41], v[26:27], -v[2:3]
	s_delay_alu instid0(VALU_DEP_3)
	v_fmac_f64_e32 v[4:5], s[42:43], v[26:27]
	s_cbranch_vccnz .LBB254_37
; %bb.36:                               ;   in Loop: Header=BB254_7 Depth=1
	global_load_b128 v[26:29], v[24:25], off
	s_mov_b32 s3, 0
	s_wait_loadcnt 0x0
	v_mul_f64_e32 v[30:31], s[38:39], v[28:29]
	v_mul_f64_e32 v[28:29], s[36:37], v[28:29]
	s_delay_alu instid0(VALU_DEP_2) | instskip(NEXT) | instid1(VALU_DEP_2)
	v_fma_f64 v[30:31], s[36:37], v[26:27], -v[30:31]
	v_fmac_f64_e32 v[28:29], s[38:39], v[26:27]
	s_delay_alu instid0(VALU_DEP_2) | instskip(NEXT) | instid1(VALU_DEP_2)
	v_add_f64_e32 v[26:27], v[2:3], v[30:31]
	v_add_f64_e32 v[28:29], v[4:5], v[28:29]
	global_store_b128 v[24:25], v[26:29], off
.LBB254_37:                             ;   in Loop: Header=BB254_7 Depth=1
	s_and_not1_b32 vcc_lo, exec_lo, s3
	s_cbranch_vccnz .LBB254_6
; %bb.38:                               ;   in Loop: Header=BB254_7 Depth=1
	global_store_b128 v[24:25], v[2:5], off
	s_branch .LBB254_6
.LBB254_39:
.LBB254_40:
	s_sendmsg sendmsg(MSG_DEALLOC_VGPRS)
	s_endpgm
	.section	.rodata,"a",@progbits
	.p2align	6, 0x0
	.amdhsa_kernel _ZL29rocblas_internal_gemmt_kernelIlLi16ELi32ELi8ELc78ELc67ELc85ELb0ELb1E19rocblas_complex_numIdEPKS1_S3_PS1_EviT_T9_T10_S5_lS7_S5_lS6_T11_S5_li
		.amdhsa_group_segment_fixed_size 8192
		.amdhsa_private_segment_fixed_size 0
		.amdhsa_kernarg_size 108
		.amdhsa_user_sgpr_count 2
		.amdhsa_user_sgpr_dispatch_ptr 0
		.amdhsa_user_sgpr_queue_ptr 0
		.amdhsa_user_sgpr_kernarg_segment_ptr 1
		.amdhsa_user_sgpr_dispatch_id 0
		.amdhsa_user_sgpr_kernarg_preload_length 0
		.amdhsa_user_sgpr_kernarg_preload_offset 0
		.amdhsa_user_sgpr_private_segment_size 0
		.amdhsa_wavefront_size32 1
		.amdhsa_uses_dynamic_stack 0
		.amdhsa_enable_private_segment 0
		.amdhsa_system_sgpr_workgroup_id_x 1
		.amdhsa_system_sgpr_workgroup_id_y 1
		.amdhsa_system_sgpr_workgroup_id_z 1
		.amdhsa_system_sgpr_workgroup_info 0
		.amdhsa_system_vgpr_workitem_id 1
		.amdhsa_next_free_vgpr 132
		.amdhsa_next_free_sgpr 44
		.amdhsa_named_barrier_count 0
		.amdhsa_reserve_vcc 1
		.amdhsa_float_round_mode_32 0
		.amdhsa_float_round_mode_16_64 0
		.amdhsa_float_denorm_mode_32 3
		.amdhsa_float_denorm_mode_16_64 3
		.amdhsa_fp16_overflow 0
		.amdhsa_memory_ordered 1
		.amdhsa_forward_progress 1
		.amdhsa_inst_pref_size 24
		.amdhsa_round_robin_scheduling 0
		.amdhsa_exception_fp_ieee_invalid_op 0
		.amdhsa_exception_fp_denorm_src 0
		.amdhsa_exception_fp_ieee_div_zero 0
		.amdhsa_exception_fp_ieee_overflow 0
		.amdhsa_exception_fp_ieee_underflow 0
		.amdhsa_exception_fp_ieee_inexact 0
		.amdhsa_exception_int_div_zero 0
	.end_amdhsa_kernel
	.section	.text._ZL29rocblas_internal_gemmt_kernelIlLi16ELi32ELi8ELc78ELc67ELc85ELb0ELb1E19rocblas_complex_numIdEPKS1_S3_PS1_EviT_T9_T10_S5_lS7_S5_lS6_T11_S5_li,"axG",@progbits,_ZL29rocblas_internal_gemmt_kernelIlLi16ELi32ELi8ELc78ELc67ELc85ELb0ELb1E19rocblas_complex_numIdEPKS1_S3_PS1_EviT_T9_T10_S5_lS7_S5_lS6_T11_S5_li,comdat
.Lfunc_end254:
	.size	_ZL29rocblas_internal_gemmt_kernelIlLi16ELi32ELi8ELc78ELc67ELc85ELb0ELb1E19rocblas_complex_numIdEPKS1_S3_PS1_EviT_T9_T10_S5_lS7_S5_lS6_T11_S5_li, .Lfunc_end254-_ZL29rocblas_internal_gemmt_kernelIlLi16ELi32ELi8ELc78ELc67ELc85ELb0ELb1E19rocblas_complex_numIdEPKS1_S3_PS1_EviT_T9_T10_S5_lS7_S5_lS6_T11_S5_li
                                        ; -- End function
	.set _ZL29rocblas_internal_gemmt_kernelIlLi16ELi32ELi8ELc78ELc67ELc85ELb0ELb1E19rocblas_complex_numIdEPKS1_S3_PS1_EviT_T9_T10_S5_lS7_S5_lS6_T11_S5_li.num_vgpr, 132
	.set _ZL29rocblas_internal_gemmt_kernelIlLi16ELi32ELi8ELc78ELc67ELc85ELb0ELb1E19rocblas_complex_numIdEPKS1_S3_PS1_EviT_T9_T10_S5_lS7_S5_lS6_T11_S5_li.num_agpr, 0
	.set _ZL29rocblas_internal_gemmt_kernelIlLi16ELi32ELi8ELc78ELc67ELc85ELb0ELb1E19rocblas_complex_numIdEPKS1_S3_PS1_EviT_T9_T10_S5_lS7_S5_lS6_T11_S5_li.numbered_sgpr, 44
	.set _ZL29rocblas_internal_gemmt_kernelIlLi16ELi32ELi8ELc78ELc67ELc85ELb0ELb1E19rocblas_complex_numIdEPKS1_S3_PS1_EviT_T9_T10_S5_lS7_S5_lS6_T11_S5_li.num_named_barrier, 0
	.set _ZL29rocblas_internal_gemmt_kernelIlLi16ELi32ELi8ELc78ELc67ELc85ELb0ELb1E19rocblas_complex_numIdEPKS1_S3_PS1_EviT_T9_T10_S5_lS7_S5_lS6_T11_S5_li.private_seg_size, 0
	.set _ZL29rocblas_internal_gemmt_kernelIlLi16ELi32ELi8ELc78ELc67ELc85ELb0ELb1E19rocblas_complex_numIdEPKS1_S3_PS1_EviT_T9_T10_S5_lS7_S5_lS6_T11_S5_li.uses_vcc, 1
	.set _ZL29rocblas_internal_gemmt_kernelIlLi16ELi32ELi8ELc78ELc67ELc85ELb0ELb1E19rocblas_complex_numIdEPKS1_S3_PS1_EviT_T9_T10_S5_lS7_S5_lS6_T11_S5_li.uses_flat_scratch, 0
	.set _ZL29rocblas_internal_gemmt_kernelIlLi16ELi32ELi8ELc78ELc67ELc85ELb0ELb1E19rocblas_complex_numIdEPKS1_S3_PS1_EviT_T9_T10_S5_lS7_S5_lS6_T11_S5_li.has_dyn_sized_stack, 0
	.set _ZL29rocblas_internal_gemmt_kernelIlLi16ELi32ELi8ELc78ELc67ELc85ELb0ELb1E19rocblas_complex_numIdEPKS1_S3_PS1_EviT_T9_T10_S5_lS7_S5_lS6_T11_S5_li.has_recursion, 0
	.set _ZL29rocblas_internal_gemmt_kernelIlLi16ELi32ELi8ELc78ELc67ELc85ELb0ELb1E19rocblas_complex_numIdEPKS1_S3_PS1_EviT_T9_T10_S5_lS7_S5_lS6_T11_S5_li.has_indirect_call, 0
	.section	.AMDGPU.csdata,"",@progbits
; Kernel info:
; codeLenInByte = 2952
; TotalNumSgprs: 46
; NumVgprs: 132
; ScratchSize: 0
; MemoryBound: 1
; FloatMode: 240
; IeeeMode: 1
; LDSByteSize: 8192 bytes/workgroup (compile time only)
; SGPRBlocks: 0
; VGPRBlocks: 8
; NumSGPRsForWavesPerEU: 46
; NumVGPRsForWavesPerEU: 132
; NamedBarCnt: 0
; Occupancy: 7
; WaveLimiterHint : 0
; COMPUTE_PGM_RSRC2:SCRATCH_EN: 0
; COMPUTE_PGM_RSRC2:USER_SGPR: 2
; COMPUTE_PGM_RSRC2:TRAP_HANDLER: 0
; COMPUTE_PGM_RSRC2:TGID_X_EN: 1
; COMPUTE_PGM_RSRC2:TGID_Y_EN: 1
; COMPUTE_PGM_RSRC2:TGID_Z_EN: 1
; COMPUTE_PGM_RSRC2:TIDIG_COMP_CNT: 1
	.section	.text._ZL29rocblas_internal_gemmt_kernelIlLi16ELi32ELi8ELc84ELc78ELc85ELb0ELb0E19rocblas_complex_numIdEPKS1_S3_PS1_EviT_T9_T10_S5_lS7_S5_lS6_T11_S5_li,"axG",@progbits,_ZL29rocblas_internal_gemmt_kernelIlLi16ELi32ELi8ELc84ELc78ELc85ELb0ELb0E19rocblas_complex_numIdEPKS1_S3_PS1_EviT_T9_T10_S5_lS7_S5_lS6_T11_S5_li,comdat
	.globl	_ZL29rocblas_internal_gemmt_kernelIlLi16ELi32ELi8ELc84ELc78ELc85ELb0ELb0E19rocblas_complex_numIdEPKS1_S3_PS1_EviT_T9_T10_S5_lS7_S5_lS6_T11_S5_li ; -- Begin function _ZL29rocblas_internal_gemmt_kernelIlLi16ELi32ELi8ELc84ELc78ELc85ELb0ELb0E19rocblas_complex_numIdEPKS1_S3_PS1_EviT_T9_T10_S5_lS7_S5_lS6_T11_S5_li
	.p2align	8
	.type	_ZL29rocblas_internal_gemmt_kernelIlLi16ELi32ELi8ELc84ELc78ELc85ELb0ELb0E19rocblas_complex_numIdEPKS1_S3_PS1_EviT_T9_T10_S5_lS7_S5_lS6_T11_S5_li,@function
_ZL29rocblas_internal_gemmt_kernelIlLi16ELi32ELi8ELc84ELc78ELc85ELb0ELb0E19rocblas_complex_numIdEPKS1_S3_PS1_EviT_T9_T10_S5_lS7_S5_lS6_T11_S5_li: ; @_ZL29rocblas_internal_gemmt_kernelIlLi16ELi32ELi8ELc84ELc78ELc85ELb0ELb0E19rocblas_complex_numIdEPKS1_S3_PS1_EviT_T9_T10_S5_lS7_S5_lS6_T11_S5_li
; %bb.0:
	s_clause 0x1
	s_load_b256 s[20:27], s[0:1], 0x48
	s_load_b512 s[4:19], s[0:1], 0x8
	s_wait_kmcnt 0x0
	s_load_b128 s[28:31], s[20:21], 0x0
	s_load_b128 s[36:39], s[6:7], 0x0
	s_wait_kmcnt 0x0
	v_cmp_eq_f64_e64 s3, s[28:29], 1.0
	v_cmp_eq_f64_e64 s2, s[30:31], 0
	s_and_b32 s3, s3, s2
	s_delay_alu instid0(SALU_CYCLE_1)
	s_and_not1_b32 vcc_lo, exec_lo, s3
	s_mov_b32 s3, -1
	s_cbranch_vccnz .LBB255_3
; %bb.1:
	s_cmp_lg_u64 s[4:5], 0
	s_cbranch_scc0 .LBB255_41
; %bb.2:
	v_cmp_neq_f64_e64 s3, s[36:37], 0
	v_cmp_neq_f64_e64 s6, s[38:39], 0
	s_or_b32 s3, s3, s6
.LBB255_3:
	s_delay_alu instid0(SALU_CYCLE_1)
	s_and_b32 vcc_lo, exec_lo, s3
	s_cbranch_vccz .LBB255_42
; %bb.4:
	s_load_b32 s20, s[0:1], 0x68
	s_bfe_u32 s3, ttmp6, 0x40014
	s_lshr_b32 s6, ttmp7, 16
	s_add_co_i32 s3, s3, 1
	s_bfe_u32 s21, ttmp6, 0x40008
	s_mul_i32 s7, s6, s3
	s_getreg_b32 s3, hwreg(HW_REG_IB_STS2, 6, 4)
	s_add_co_i32 s21, s21, s7
	s_cmp_eq_u32 s3, 0
	s_mov_b32 s7, 0
	s_cselect_b32 s6, s6, s21
	s_wait_kmcnt 0x0
	s_cmp_ge_u32 s6, s20
	s_cbranch_scc1 .LBB255_42
; %bb.5:
	v_and_b32_e32 v8, 0x3ff, v0
	v_bfe_u32 v9, v0, 10, 10
	s_bfe_u32 s33, ttmp6, 0x4000c
	s_bfe_u32 s35, ttmp6, 0x40010
	s_and_b32 s34, ttmp7, 0xffff
	s_add_co_i32 s33, s33, 1
	s_add_co_i32 s35, s35, 1
	v_lshl_add_u32 v14, v9, 4, v8
	s_and_b32 s21, ttmp6, 15
	s_mul_i32 s33, ttmp9, s33
	s_mul_i32 s35, s34, s35
	s_bfe_u32 s40, ttmp6, 0x40004
	s_add_co_i32 s21, s21, s33
	s_add_co_i32 s40, s40, s35
	s_cmp_eq_u32 s3, 0
	v_dual_lshrrev_b32 v15, 3, v14 :: v_dual_bitop2_b32 v16, 31, v14 bitop3:0x40
	s_cselect_b32 s3, ttmp9, s21
	s_cselect_b32 s21, s34, s40
	s_lshl_b32 s3, s3, 5
	s_lshl_b32 s21, s21, 5
	s_delay_alu instid0(SALU_CYCLE_1) | instskip(SKIP_2) | instid1(VALU_DEP_3)
	v_dual_add_nc_u32 v4, s21, v15 :: v_dual_bitop2_b32 v2, s3, v16 bitop3:0x54
	v_dual_add_nc_u32 v22, s21, v9 :: v_dual_bitop2_b32 v6, 7, v0 bitop3:0x40
	v_cmp_neq_f64_e64 s33, s[36:37], 0
	v_dual_ashrrev_i32 v3, 31, v2 :: v_dual_ashrrev_i32 v5, 31, v4
	s_delay_alu instid0(VALU_DEP_3) | instskip(SKIP_1) | instid1(VALU_DEP_3)
	v_dual_add_nc_u32 v0, 16, v22 :: v_dual_ashrrev_i32 v23, 31, v22
	v_cmp_neq_f64_e64 s34, s[38:39], 0
	v_mul_u64_e32 v[18:19], s[10:11], v[2:3]
	v_cmp_neq_f64_e64 s11, s[28:29], 0
	v_mul_u64_e32 v[20:21], s[16:17], v[4:5]
	v_dual_lshlrev_b32 v3, 4, v6 :: v_dual_ashrrev_i32 v1, 31, v0
	s_load_b32 s16, s[0:1], 0x0
	v_mul_u64_e32 v[10:11], s[24:25], v[22:23]
	v_dual_lshlrev_b32 v7, 4, v8 :: v_dual_add_nc_u32 v8, s3, v8
	s_delay_alu instid0(VALU_DEP_3) | instskip(SKIP_2) | instid1(VALU_DEP_3)
	v_mul_u64_e32 v[12:13], s[24:25], v[0:1]
	v_dual_lshrrev_b32 v14, 5, v14 :: v_dual_lshlrev_b32 v1, 4, v16
	s_xor_b32 s21, s2, -1
	v_add_nc_u32_e32 v16, 16, v8
	v_cmp_le_i32_e32 vcc_lo, v8, v22
	v_lshl_add_u32 v43, v9, 7, 0x1000
	v_ashrrev_i32_e32 v9, 31, v8
	v_lshl_or_b32 v3, v15, 7, v3
	v_cmp_le_i32_e64 s3, v16, v22
	v_cmp_gt_i64_e64 s17, s[4:5], 0
	v_lshl_or_b32 v15, v14, 9, v1
	v_ashrrev_i32_e32 v17, 31, v16
	v_dual_mov_b32 v1, 0 :: v_dual_add_nc_u32 v42, 0x1000, v3
	s_wait_kmcnt 0x0
	v_cmp_gt_i32_e64 s2, s16, v22
	v_cmp_gt_i32_e64 s1, s16, v4
	;; [unrolled: 1-line block ×3, first 2 shown]
	v_cmp_le_i32_e64 s10, s16, v2
                                        ; implicit-def: $vgpr22_vgpr23
	s_or_b32 s24, s33, s34
	v_lshl_add_u64 v[18:19], v[18:19], 4, s[8:9]
	s_or_b32 s8, s11, s21
	s_and_b32 s9, s2, vcc_lo
	s_and_b32 s11, s2, s3
	v_cmp_gt_i32_e32 vcc_lo, s16, v0
	v_cmp_le_i32_e64 s2, v8, v0
	v_cmp_le_i32_e64 s3, v16, v0
	v_lshl_add_u64 v[20:21], v[20:21], 4, s[14:15]
	s_and_b32 s14, s24, s17
	s_xor_b32 s1, s1, -1
	s_and_b32 s15, vcc_lo, s2
	s_and_b32 s16, vcc_lo, s3
	s_branch .LBB255_7
.LBB255_6:                              ;   in Loop: Header=BB255_7 Depth=1
	s_wait_xcnt 0x0
	s_or_b32 exec_lo, exec_lo, s2
	s_add_co_i32 s6, s6, 0x10000
	s_delay_alu instid0(SALU_CYCLE_1)
	s_cmp_lt_u32 s6, s20
	s_cbranch_scc0 .LBB255_42
.LBB255_7:                              ; =>This Loop Header: Depth=1
                                        ;     Child Loop BB255_10 Depth 2
	v_mov_b64_e32 v[34:35], 0
	s_and_not1_b32 vcc_lo, exec_lo, s14
	s_cbranch_vccnz .LBB255_20
; %bb.8:                                ;   in Loop: Header=BB255_7 Depth=1
	s_mul_u64 s[2:3], s[18:19], s[6:7]
	s_mul_u64 s[24:25], s[12:13], s[6:7]
	v_mov_b64_e32 v[38:39], 0
	v_mov_b64_e32 v[40:41], 0
	;; [unrolled: 1-line block ×8, first 2 shown]
	v_lshl_add_u64 v[4:5], s[24:25], 4, v[18:19]
	v_lshl_add_u64 v[24:25], s[2:3], 4, v[20:21]
	s_mov_b64 s[2:3], 0
	s_branch .LBB255_10
.LBB255_9:                              ;   in Loop: Header=BB255_10 Depth=2
	s_wait_xcnt 0x0
	s_or_b32 exec_lo, exec_lo, s17
	s_wait_dscnt 0x0
	s_barrier_signal -1
	s_barrier_wait -1
	ds_load_b128 v[44:47], v43
	ds_load_b128 v[48:51], v43 offset:16
	ds_load_b128 v[52:55], v43 offset:32
	;; [unrolled: 1-line block ×3, first 2 shown]
	ds_load_b128 v[60:63], v7
	s_add_nc_u64 s[2:3], s[2:3], 8
	s_delay_alu instid0(SALU_CYCLE_1) | instskip(SKIP_4) | instid1(VALU_DEP_2)
	v_cmp_gt_i64_e64 s17, s[4:5], s[2:3]
	s_and_b32 vcc_lo, exec_lo, s17
	s_wait_dscnt 0x0
	v_mul_f64_e32 v[2:3], v[46:47], v[62:63]
	v_mul_f64_e32 v[64:65], v[44:45], v[62:63]
	v_fma_f64 v[2:3], v[44:45], v[60:61], -v[2:3]
	s_delay_alu instid0(VALU_DEP_2) | instskip(NEXT) | instid1(VALU_DEP_2)
	v_fmac_f64_e32 v[64:65], v[46:47], v[60:61]
	v_add_f64_e32 v[2:3], v[34:35], v[2:3]
	s_delay_alu instid0(VALU_DEP_2) | instskip(SKIP_3) | instid1(VALU_DEP_1)
	v_add_f64_e32 v[64:65], v[64:65], v[36:37]
	ds_load_b128 v[34:37], v7 offset:256
	s_wait_dscnt 0x0
	v_mul_f64_e32 v[66:67], v[46:47], v[36:37]
	v_fma_f64 v[66:67], v[44:45], v[34:35], -v[66:67]
	v_mul_f64_e32 v[44:45], v[44:45], v[36:37]
	s_delay_alu instid0(VALU_DEP_1) | instskip(NEXT) | instid1(VALU_DEP_3)
	v_fmac_f64_e32 v[44:45], v[46:47], v[34:35]
	v_add_f64_e32 v[46:47], v[26:27], v[66:67]
	s_delay_alu instid0(VALU_DEP_2) | instskip(SKIP_4) | instid1(VALU_DEP_2)
	v_add_f64_e32 v[44:45], v[44:45], v[28:29]
	ds_load_b128 v[26:29], v43 offset:2048
	s_wait_dscnt 0x0
	v_mul_f64_e32 v[66:67], v[28:29], v[62:63]
	v_mul_f64_e32 v[62:63], v[26:27], v[62:63]
	v_fma_f64 v[66:67], v[26:27], v[60:61], -v[66:67]
	s_delay_alu instid0(VALU_DEP_2) | instskip(NEXT) | instid1(VALU_DEP_2)
	v_fmac_f64_e32 v[62:63], v[28:29], v[60:61]
	v_add_f64_e32 v[60:61], v[30:31], v[66:67]
	v_mul_f64_e32 v[30:31], v[28:29], v[36:37]
	s_delay_alu instid0(VALU_DEP_3) | instskip(NEXT) | instid1(VALU_DEP_2)
	v_add_f64_e32 v[62:63], v[62:63], v[32:33]
	v_fma_f64 v[30:31], v[26:27], v[34:35], -v[30:31]
	v_mul_f64_e32 v[26:27], v[26:27], v[36:37]
	s_delay_alu instid0(VALU_DEP_2) | instskip(NEXT) | instid1(VALU_DEP_2)
	v_add_f64_e32 v[40:41], v[40:41], v[30:31]
	v_fmac_f64_e32 v[26:27], v[28:29], v[34:35]
	s_delay_alu instid0(VALU_DEP_1) | instskip(SKIP_4) | instid1(VALU_DEP_2)
	v_add_f64_e32 v[38:39], v[26:27], v[38:39]
	ds_load_b128 v[26:29], v7 offset:512
	s_wait_dscnt 0x0
	v_mul_f64_e32 v[30:31], v[50:51], v[28:29]
	v_mul_f64_e32 v[32:33], v[48:49], v[28:29]
	v_fma_f64 v[30:31], v[48:49], v[26:27], -v[30:31]
	s_delay_alu instid0(VALU_DEP_2) | instskip(NEXT) | instid1(VALU_DEP_2)
	v_fmac_f64_e32 v[32:33], v[50:51], v[26:27]
	v_add_f64_e32 v[2:3], v[2:3], v[30:31]
	s_delay_alu instid0(VALU_DEP_2) | instskip(SKIP_4) | instid1(VALU_DEP_2)
	v_add_f64_e32 v[64:65], v[32:33], v[64:65]
	ds_load_b128 v[30:33], v7 offset:768
	s_wait_dscnt 0x0
	v_mul_f64_e32 v[34:35], v[50:51], v[32:33]
	v_mul_f64_e32 v[36:37], v[48:49], v[32:33]
	v_fma_f64 v[34:35], v[48:49], v[30:31], -v[34:35]
	s_delay_alu instid0(VALU_DEP_2) | instskip(NEXT) | instid1(VALU_DEP_2)
	v_fmac_f64_e32 v[36:37], v[50:51], v[30:31]
	v_add_f64_e32 v[46:47], v[46:47], v[34:35]
	s_delay_alu instid0(VALU_DEP_2) | instskip(SKIP_4) | instid1(VALU_DEP_2)
	v_add_f64_e32 v[44:45], v[36:37], v[44:45]
	ds_load_b128 v[34:37], v43 offset:2064
	s_wait_dscnt 0x0
	v_mul_f64_e32 v[48:49], v[36:37], v[28:29]
	v_mul_f64_e32 v[28:29], v[34:35], v[28:29]
	v_fma_f64 v[48:49], v[34:35], v[26:27], -v[48:49]
	s_delay_alu instid0(VALU_DEP_2) | instskip(SKIP_1) | instid1(VALU_DEP_3)
	v_fmac_f64_e32 v[28:29], v[36:37], v[26:27]
	v_mul_f64_e32 v[26:27], v[36:37], v[32:33]
	v_add_f64_e32 v[48:49], v[60:61], v[48:49]
	s_delay_alu instid0(VALU_DEP_3) | instskip(SKIP_1) | instid1(VALU_DEP_4)
	v_add_f64_e32 v[50:51], v[28:29], v[62:63]
	v_mul_f64_e32 v[28:29], v[34:35], v[32:33]
	v_fma_f64 v[26:27], v[34:35], v[30:31], -v[26:27]
	s_delay_alu instid0(VALU_DEP_2) | instskip(NEXT) | instid1(VALU_DEP_2)
	v_fmac_f64_e32 v[28:29], v[36:37], v[30:31]
	v_add_f64_e32 v[40:41], v[40:41], v[26:27]
	s_delay_alu instid0(VALU_DEP_2) | instskip(SKIP_4) | instid1(VALU_DEP_2)
	v_add_f64_e32 v[38:39], v[28:29], v[38:39]
	ds_load_b128 v[26:29], v7 offset:1024
	s_wait_dscnt 0x0
	v_mul_f64_e32 v[30:31], v[54:55], v[28:29]
	v_mul_f64_e32 v[32:33], v[52:53], v[28:29]
	v_fma_f64 v[30:31], v[52:53], v[26:27], -v[30:31]
	s_delay_alu instid0(VALU_DEP_2) | instskip(NEXT) | instid1(VALU_DEP_2)
	v_fmac_f64_e32 v[32:33], v[54:55], v[26:27]
	v_add_f64_e32 v[2:3], v[2:3], v[30:31]
	s_delay_alu instid0(VALU_DEP_2) | instskip(SKIP_4) | instid1(VALU_DEP_2)
	v_add_f64_e32 v[60:61], v[32:33], v[64:65]
	ds_load_b128 v[30:33], v7 offset:1280
	s_wait_dscnt 0x0
	v_mul_f64_e32 v[34:35], v[54:55], v[32:33]
	v_mul_f64_e32 v[36:37], v[52:53], v[32:33]
	v_fma_f64 v[34:35], v[52:53], v[30:31], -v[34:35]
	s_delay_alu instid0(VALU_DEP_2) | instskip(NEXT) | instid1(VALU_DEP_2)
	v_fmac_f64_e32 v[36:37], v[54:55], v[30:31]
	v_add_f64_e32 v[46:47], v[46:47], v[34:35]
	s_delay_alu instid0(VALU_DEP_2) | instskip(SKIP_4) | instid1(VALU_DEP_2)
	v_add_f64_e32 v[44:45], v[36:37], v[44:45]
	ds_load_b128 v[34:37], v43 offset:2080
	s_wait_dscnt 0x0
	v_mul_f64_e32 v[52:53], v[36:37], v[28:29]
	v_mul_f64_e32 v[28:29], v[34:35], v[28:29]
	v_fma_f64 v[52:53], v[34:35], v[26:27], -v[52:53]
	s_delay_alu instid0(VALU_DEP_2) | instskip(SKIP_1) | instid1(VALU_DEP_3)
	v_fmac_f64_e32 v[28:29], v[36:37], v[26:27]
	v_mul_f64_e32 v[26:27], v[36:37], v[32:33]
	v_add_f64_e32 v[48:49], v[48:49], v[52:53]
	s_delay_alu instid0(VALU_DEP_3) | instskip(SKIP_1) | instid1(VALU_DEP_4)
	v_add_f64_e32 v[50:51], v[28:29], v[50:51]
	v_mul_f64_e32 v[28:29], v[34:35], v[32:33]
	v_fma_f64 v[26:27], v[34:35], v[30:31], -v[26:27]
	s_delay_alu instid0(VALU_DEP_2) | instskip(NEXT) | instid1(VALU_DEP_2)
	v_fmac_f64_e32 v[28:29], v[36:37], v[30:31]
	v_add_f64_e32 v[40:41], v[40:41], v[26:27]
	s_delay_alu instid0(VALU_DEP_2) | instskip(SKIP_4) | instid1(VALU_DEP_2)
	v_add_f64_e32 v[38:39], v[28:29], v[38:39]
	ds_load_b128 v[26:29], v7 offset:1536
	s_wait_dscnt 0x0
	v_mul_f64_e32 v[30:31], v[58:59], v[28:29]
	v_mul_f64_e32 v[32:33], v[56:57], v[28:29]
	v_fma_f64 v[30:31], v[56:57], v[26:27], -v[30:31]
	s_delay_alu instid0(VALU_DEP_2) | instskip(NEXT) | instid1(VALU_DEP_2)
	v_fmac_f64_e32 v[32:33], v[58:59], v[26:27]
	v_add_f64_e32 v[2:3], v[2:3], v[30:31]
	s_delay_alu instid0(VALU_DEP_2) | instskip(SKIP_4) | instid1(VALU_DEP_2)
	v_add_f64_e32 v[52:53], v[32:33], v[60:61]
	ds_load_b128 v[30:33], v7 offset:1792
	s_wait_dscnt 0x0
	v_mul_f64_e32 v[34:35], v[58:59], v[32:33]
	;; [unrolled: 10-line block ×3, first 2 shown]
	v_mul_f64_e32 v[28:29], v[34:35], v[28:29]
	v_fma_f64 v[54:55], v[34:35], v[26:27], -v[54:55]
	s_delay_alu instid0(VALU_DEP_2) | instskip(SKIP_1) | instid1(VALU_DEP_3)
	v_fmac_f64_e32 v[28:29], v[36:37], v[26:27]
	v_mul_f64_e32 v[26:27], v[36:37], v[32:33]
	v_add_f64_e32 v[48:49], v[48:49], v[54:55]
	s_delay_alu instid0(VALU_DEP_3) | instskip(SKIP_1) | instid1(VALU_DEP_4)
	v_add_f64_e32 v[50:51], v[28:29], v[50:51]
	v_mul_f64_e32 v[28:29], v[34:35], v[32:33]
	v_fma_f64 v[26:27], v[34:35], v[30:31], -v[26:27]
	s_delay_alu instid0(VALU_DEP_2) | instskip(NEXT) | instid1(VALU_DEP_2)
	v_fmac_f64_e32 v[28:29], v[36:37], v[30:31]
	v_add_f64_e32 v[40:41], v[40:41], v[26:27]
	s_delay_alu instid0(VALU_DEP_2)
	v_add_f64_e32 v[38:39], v[28:29], v[38:39]
	ds_load_b128 v[26:29], v43 offset:64
	ds_load_b128 v[30:33], v7 offset:2048
	s_wait_dscnt 0x0
	v_mul_f64_e32 v[34:35], v[28:29], v[32:33]
	v_mul_f64_e32 v[36:37], v[26:27], v[32:33]
	s_delay_alu instid0(VALU_DEP_2) | instskip(NEXT) | instid1(VALU_DEP_2)
	v_fma_f64 v[34:35], v[26:27], v[30:31], -v[34:35]
	v_fmac_f64_e32 v[36:37], v[28:29], v[30:31]
	s_delay_alu instid0(VALU_DEP_2) | instskip(NEXT) | instid1(VALU_DEP_2)
	v_add_f64_e32 v[2:3], v[2:3], v[34:35]
	v_add_f64_e32 v[52:53], v[36:37], v[52:53]
	ds_load_b128 v[34:37], v7 offset:2304
	s_wait_dscnt 0x0
	v_mul_f64_e32 v[54:55], v[28:29], v[36:37]
	s_delay_alu instid0(VALU_DEP_1) | instskip(SKIP_1) | instid1(VALU_DEP_2)
	v_fma_f64 v[54:55], v[26:27], v[34:35], -v[54:55]
	v_mul_f64_e32 v[26:27], v[26:27], v[36:37]
	v_add_f64_e32 v[46:47], v[46:47], v[54:55]
	s_delay_alu instid0(VALU_DEP_2) | instskip(NEXT) | instid1(VALU_DEP_1)
	v_fmac_f64_e32 v[26:27], v[28:29], v[34:35]
	v_add_f64_e32 v[44:45], v[26:27], v[44:45]
	ds_load_b128 v[26:29], v43 offset:2112
	s_wait_dscnt 0x0
	v_mul_f64_e32 v[54:55], v[28:29], v[32:33]
	v_mul_f64_e32 v[32:33], v[26:27], v[32:33]
	s_delay_alu instid0(VALU_DEP_2) | instskip(NEXT) | instid1(VALU_DEP_2)
	v_fma_f64 v[54:55], v[26:27], v[30:31], -v[54:55]
	v_fmac_f64_e32 v[32:33], v[28:29], v[30:31]
	v_mul_f64_e32 v[30:31], v[28:29], v[36:37]
	s_delay_alu instid0(VALU_DEP_3) | instskip(NEXT) | instid1(VALU_DEP_3)
	v_add_f64_e32 v[48:49], v[48:49], v[54:55]
	v_add_f64_e32 v[50:51], v[32:33], v[50:51]
	s_delay_alu instid0(VALU_DEP_3) | instskip(SKIP_1) | instid1(VALU_DEP_2)
	v_fma_f64 v[30:31], v[26:27], v[34:35], -v[30:31]
	v_mul_f64_e32 v[26:27], v[26:27], v[36:37]
	v_add_f64_e32 v[40:41], v[40:41], v[30:31]
	s_delay_alu instid0(VALU_DEP_2) | instskip(NEXT) | instid1(VALU_DEP_1)
	v_fmac_f64_e32 v[26:27], v[28:29], v[34:35]
	v_add_f64_e32 v[38:39], v[26:27], v[38:39]
	ds_load_b128 v[26:29], v43 offset:80
	ds_load_b128 v[30:33], v7 offset:2560
	s_wait_dscnt 0x0
	v_mul_f64_e32 v[34:35], v[28:29], v[32:33]
	v_mul_f64_e32 v[36:37], v[26:27], v[32:33]
	s_delay_alu instid0(VALU_DEP_2) | instskip(NEXT) | instid1(VALU_DEP_2)
	v_fma_f64 v[34:35], v[26:27], v[30:31], -v[34:35]
	v_fmac_f64_e32 v[36:37], v[28:29], v[30:31]
	s_delay_alu instid0(VALU_DEP_2) | instskip(NEXT) | instid1(VALU_DEP_2)
	v_add_f64_e32 v[2:3], v[2:3], v[34:35]
	v_add_f64_e32 v[52:53], v[36:37], v[52:53]
	ds_load_b128 v[34:37], v7 offset:2816
	s_wait_dscnt 0x0
	v_mul_f64_e32 v[54:55], v[28:29], v[36:37]
	s_delay_alu instid0(VALU_DEP_1) | instskip(SKIP_1) | instid1(VALU_DEP_2)
	v_fma_f64 v[54:55], v[26:27], v[34:35], -v[54:55]
	v_mul_f64_e32 v[26:27], v[26:27], v[36:37]
	v_add_f64_e32 v[46:47], v[46:47], v[54:55]
	s_delay_alu instid0(VALU_DEP_2) | instskip(NEXT) | instid1(VALU_DEP_1)
	v_fmac_f64_e32 v[26:27], v[28:29], v[34:35]
	v_add_f64_e32 v[44:45], v[26:27], v[44:45]
	ds_load_b128 v[26:29], v43 offset:2128
	s_wait_dscnt 0x0
	v_mul_f64_e32 v[54:55], v[28:29], v[32:33]
	v_mul_f64_e32 v[32:33], v[26:27], v[32:33]
	s_delay_alu instid0(VALU_DEP_2) | instskip(NEXT) | instid1(VALU_DEP_2)
	v_fma_f64 v[54:55], v[26:27], v[30:31], -v[54:55]
	v_fmac_f64_e32 v[32:33], v[28:29], v[30:31]
	v_mul_f64_e32 v[30:31], v[28:29], v[36:37]
	s_delay_alu instid0(VALU_DEP_3) | instskip(NEXT) | instid1(VALU_DEP_3)
	v_add_f64_e32 v[48:49], v[48:49], v[54:55]
	v_add_f64_e32 v[50:51], v[32:33], v[50:51]
	s_delay_alu instid0(VALU_DEP_3) | instskip(SKIP_1) | instid1(VALU_DEP_2)
	v_fma_f64 v[30:31], v[26:27], v[34:35], -v[30:31]
	v_mul_f64_e32 v[26:27], v[26:27], v[36:37]
	v_add_f64_e32 v[40:41], v[40:41], v[30:31]
	s_delay_alu instid0(VALU_DEP_2) | instskip(NEXT) | instid1(VALU_DEP_1)
	v_fmac_f64_e32 v[26:27], v[28:29], v[34:35]
	;; [unrolled: 39-line block ×3, first 2 shown]
	v_add_f64_e32 v[56:57], v[26:27], v[38:39]
	ds_load_b128 v[26:29], v43 offset:112
	ds_load_b128 v[30:33], v7 offset:3584
	;; [unrolled: 1-line block ×3, first 2 shown]
	s_wait_dscnt 0x1
	v_mul_f64_e32 v[34:35], v[28:29], v[32:33]
	v_mul_f64_e32 v[36:37], v[26:27], v[32:33]
	s_delay_alu instid0(VALU_DEP_2) | instskip(NEXT) | instid1(VALU_DEP_2)
	v_fma_f64 v[34:35], v[26:27], v[30:31], -v[34:35]
	v_fmac_f64_e32 v[36:37], v[28:29], v[30:31]
	s_delay_alu instid0(VALU_DEP_2) | instskip(NEXT) | instid1(VALU_DEP_2)
	v_add_f64_e32 v[34:35], v[2:3], v[34:35]
	v_add_f64_e32 v[36:37], v[36:37], v[52:53]
	s_wait_dscnt 0x0
	v_mul_f64_e32 v[2:3], v[28:29], v[40:41]
	v_mul_f64_e32 v[52:53], v[26:27], v[40:41]
	s_delay_alu instid0(VALU_DEP_2) | instskip(NEXT) | instid1(VALU_DEP_2)
	v_fma_f64 v[2:3], v[26:27], v[38:39], -v[2:3]
	v_fmac_f64_e32 v[52:53], v[28:29], v[38:39]
	s_delay_alu instid0(VALU_DEP_2) | instskip(NEXT) | instid1(VALU_DEP_2)
	v_add_f64_e32 v[26:27], v[46:47], v[2:3]
	v_add_f64_e32 v[28:29], v[52:53], v[44:45]
	ds_load_b128 v[44:47], v43 offset:2160
	s_wait_dscnt 0x0
	s_barrier_signal -1
	s_barrier_wait -1
	v_mul_f64_e32 v[2:3], v[46:47], v[32:33]
	v_mul_f64_e32 v[32:33], v[44:45], v[32:33]
	s_delay_alu instid0(VALU_DEP_2) | instskip(NEXT) | instid1(VALU_DEP_2)
	v_fma_f64 v[2:3], v[44:45], v[30:31], -v[2:3]
	v_fmac_f64_e32 v[32:33], v[46:47], v[30:31]
	s_delay_alu instid0(VALU_DEP_2) | instskip(SKIP_1) | instid1(VALU_DEP_3)
	v_add_f64_e32 v[30:31], v[48:49], v[2:3]
	v_mul_f64_e32 v[2:3], v[46:47], v[40:41]
	v_add_f64_e32 v[32:33], v[32:33], v[50:51]
	s_delay_alu instid0(VALU_DEP_2) | instskip(SKIP_1) | instid1(VALU_DEP_2)
	v_fma_f64 v[2:3], v[44:45], v[38:39], -v[2:3]
	v_mul_f64_e32 v[44:45], v[44:45], v[40:41]
	v_add_f64_e32 v[40:41], v[54:55], v[2:3]
	s_delay_alu instid0(VALU_DEP_2) | instskip(NEXT) | instid1(VALU_DEP_1)
	v_fmac_f64_e32 v[44:45], v[46:47], v[38:39]
	v_add_f64_e32 v[38:39], v[44:45], v[56:57]
	s_cbranch_vccz .LBB255_21
.LBB255_10:                             ;   Parent Loop BB255_7 Depth=1
                                        ; =>  This Inner Loop Header: Depth=2
	s_mov_b32 s17, 0
	s_mov_b32 s24, s10
	s_and_saveexec_b32 s21, s0
	s_cbranch_execnz .LBB255_18
; %bb.11:                               ;   in Loop: Header=BB255_10 Depth=2
	s_or_b32 exec_lo, exec_lo, s21
	s_and_saveexec_b32 s21, s24
	s_delay_alu instid0(SALU_CYCLE_1)
	s_xor_b32 s21, exec_lo, s21
	s_cbranch_execnz .LBB255_19
.LBB255_12:                             ;   in Loop: Header=BB255_10 Depth=2
	s_or_b32 exec_lo, exec_lo, s21
	s_and_saveexec_b32 s21, s17
	s_cbranch_execz .LBB255_14
.LBB255_13:                             ;   in Loop: Header=BB255_10 Depth=2
	v_lshl_add_u64 v[2:3], v[22:23], 4, v[4:5]
	global_load_b128 v[44:47], v[2:3], off
	s_wait_loadcnt 0x0
	ds_store_2addr_b64 v15, v[44:45], v[46:47] offset1:1
.LBB255_14:                             ;   in Loop: Header=BB255_10 Depth=2
	s_wait_xcnt 0x0
	s_or_b32 exec_lo, exec_lo, s21
	v_add_nc_u32_e32 v0, s2, v6
	s_delay_alu instid0(VALU_DEP_1) | instskip(SKIP_1) | instid1(SALU_CYCLE_1)
	v_cmp_le_u64_e32 vcc_lo, s[4:5], v[0:1]
	s_or_b32 s17, vcc_lo, s1
	s_and_saveexec_b32 s21, s17
	s_delay_alu instid0(SALU_CYCLE_1)
	s_xor_b32 s17, exec_lo, s21
; %bb.15:                               ;   in Loop: Header=BB255_10 Depth=2
	v_dual_mov_b32 v0, v1 :: v_dual_mov_b32 v2, v1
	v_mov_b32_e32 v3, v1
	ds_store_b128 v42, v[0:3]
; %bb.16:                               ;   in Loop: Header=BB255_10 Depth=2
	s_and_not1_saveexec_b32 s17, s17
	s_cbranch_execz .LBB255_9
; %bb.17:                               ;   in Loop: Header=BB255_10 Depth=2
	v_lshl_add_u64 v[2:3], v[0:1], 4, v[24:25]
	global_load_b128 v[44:47], v[2:3], off
	s_wait_loadcnt 0x0
	ds_store_2addr_b64 v42, v[44:45], v[46:47] offset1:1
	s_branch .LBB255_9
.LBB255_18:                             ;   in Loop: Header=BB255_10 Depth=2
	v_add_nc_u32_e32 v0, s2, v14
	s_and_not1_b32 s24, s10, exec_lo
	s_mov_b32 s17, exec_lo
	s_delay_alu instid0(VALU_DEP_1) | instskip(SKIP_2) | instid1(SALU_CYCLE_1)
	v_cmp_le_u64_e32 vcc_lo, s[4:5], v[0:1]
	v_mov_b64_e32 v[22:23], v[0:1]
	s_and_b32 s25, vcc_lo, exec_lo
	s_or_b32 s24, s24, s25
	s_or_b32 exec_lo, exec_lo, s21
	s_and_saveexec_b32 s21, s24
	s_delay_alu instid0(SALU_CYCLE_1)
	s_xor_b32 s21, exec_lo, s21
	s_cbranch_execz .LBB255_12
.LBB255_19:                             ;   in Loop: Header=BB255_10 Depth=2
	v_dual_mov_b32 v0, v1 :: v_dual_mov_b32 v2, v1
	v_mov_b32_e32 v3, v1
	s_and_not1_b32 s17, s17, exec_lo
	ds_store_b128 v15, v[0:3]
	s_or_b32 exec_lo, exec_lo, s21
	s_and_saveexec_b32 s21, s17
	s_cbranch_execnz .LBB255_13
	s_branch .LBB255_14
.LBB255_20:                             ;   in Loop: Header=BB255_7 Depth=1
	v_mov_b64_e32 v[36:37], 0
	v_mov_b64_e32 v[26:27], 0
	;; [unrolled: 1-line block ×7, first 2 shown]
.LBB255_21:                             ;   in Loop: Header=BB255_7 Depth=1
	s_mul_u64 s[2:3], s[26:27], s[6:7]
	s_delay_alu instid0(SALU_CYCLE_1) | instskip(NEXT) | instid1(SALU_CYCLE_1)
	s_lshl_b64 s[2:3], s[2:3], 4
	s_add_nc_u64 s[2:3], s[22:23], s[2:3]
	s_delay_alu instid0(SALU_CYCLE_1)
	v_lshl_add_u64 v[24:25], v[10:11], 4, s[2:3]
	s_and_saveexec_b32 s17, s9
	s_cbranch_execz .LBB255_26
; %bb.22:                               ;   in Loop: Header=BB255_7 Depth=1
	v_mul_f64_e32 v[2:3], s[38:39], v[36:37]
	v_mul_f64_e32 v[4:5], s[36:37], v[36:37]
	s_and_b32 vcc_lo, exec_lo, s8
	s_mov_b32 s21, -1
	s_delay_alu instid0(VALU_DEP_2) | instskip(NEXT) | instid1(VALU_DEP_2)
	v_fma_f64 v[2:3], s[36:37], v[34:35], -v[2:3]
	v_fmac_f64_e32 v[4:5], s[38:39], v[34:35]
	v_lshl_add_u64 v[34:35], v[8:9], 4, v[24:25]
	s_cbranch_vccz .LBB255_24
; %bb.23:                               ;   in Loop: Header=BB255_7 Depth=1
	global_load_b128 v[44:47], v[34:35], off
	s_mov_b32 s21, 0
	s_wait_loadcnt 0x0
	v_mul_f64_e32 v[36:37], s[30:31], v[46:47]
	v_mul_f64_e32 v[46:47], s[28:29], v[46:47]
	s_delay_alu instid0(VALU_DEP_2) | instskip(NEXT) | instid1(VALU_DEP_2)
	v_fma_f64 v[36:37], s[28:29], v[44:45], -v[36:37]
	v_fmac_f64_e32 v[46:47], s[30:31], v[44:45]
	s_delay_alu instid0(VALU_DEP_2) | instskip(NEXT) | instid1(VALU_DEP_2)
	v_add_f64_e32 v[44:45], v[2:3], v[36:37]
	v_add_f64_e32 v[46:47], v[4:5], v[46:47]
	global_store_b128 v[34:35], v[44:47], off
.LBB255_24:                             ;   in Loop: Header=BB255_7 Depth=1
	s_and_not1_b32 vcc_lo, exec_lo, s21
	s_cbranch_vccnz .LBB255_26
; %bb.25:                               ;   in Loop: Header=BB255_7 Depth=1
	global_store_b128 v[34:35], v[2:5], off
.LBB255_26:                             ;   in Loop: Header=BB255_7 Depth=1
	s_wait_xcnt 0x0
	s_or_b32 exec_lo, exec_lo, s17
	s_and_saveexec_b32 s17, s11
	s_cbranch_execz .LBB255_31
; %bb.27:                               ;   in Loop: Header=BB255_7 Depth=1
	v_mul_f64_e32 v[2:3], s[38:39], v[28:29]
	v_mul_f64_e32 v[4:5], s[36:37], v[28:29]
	v_lshl_add_u64 v[24:25], v[16:17], 4, v[24:25]
	s_and_not1_b32 vcc_lo, exec_lo, s8
	s_mov_b32 s21, -1
	s_delay_alu instid0(VALU_DEP_3) | instskip(NEXT) | instid1(VALU_DEP_3)
	v_fma_f64 v[2:3], s[36:37], v[26:27], -v[2:3]
	v_fmac_f64_e32 v[4:5], s[38:39], v[26:27]
	s_cbranch_vccnz .LBB255_29
; %bb.28:                               ;   in Loop: Header=BB255_7 Depth=1
	global_load_b128 v[26:29], v[24:25], off
	s_mov_b32 s21, 0
	s_wait_loadcnt 0x0
	v_mul_f64_e32 v[34:35], s[30:31], v[28:29]
	v_mul_f64_e32 v[28:29], s[28:29], v[28:29]
	s_delay_alu instid0(VALU_DEP_2) | instskip(NEXT) | instid1(VALU_DEP_2)
	v_fma_f64 v[34:35], s[28:29], v[26:27], -v[34:35]
	v_fmac_f64_e32 v[28:29], s[30:31], v[26:27]
	s_delay_alu instid0(VALU_DEP_2) | instskip(NEXT) | instid1(VALU_DEP_2)
	v_add_f64_e32 v[26:27], v[2:3], v[34:35]
	v_add_f64_e32 v[28:29], v[4:5], v[28:29]
	global_store_b128 v[24:25], v[26:29], off
.LBB255_29:                             ;   in Loop: Header=BB255_7 Depth=1
	s_and_not1_b32 vcc_lo, exec_lo, s21
	s_cbranch_vccnz .LBB255_31
; %bb.30:                               ;   in Loop: Header=BB255_7 Depth=1
	global_store_b128 v[24:25], v[2:5], off
.LBB255_31:                             ;   in Loop: Header=BB255_7 Depth=1
	s_wait_xcnt 0x0
	s_or_b32 exec_lo, exec_lo, s17
	v_lshl_add_u64 v[24:25], v[12:13], 4, s[2:3]
	s_and_saveexec_b32 s2, s15
	s_cbranch_execz .LBB255_36
; %bb.32:                               ;   in Loop: Header=BB255_7 Depth=1
	v_mul_f64_e32 v[2:3], s[38:39], v[32:33]
	v_mul_f64_e32 v[4:5], s[36:37], v[32:33]
	v_lshl_add_u64 v[26:27], v[8:9], 4, v[24:25]
	s_and_not1_b32 vcc_lo, exec_lo, s8
	s_mov_b32 s3, -1
	s_delay_alu instid0(VALU_DEP_3) | instskip(NEXT) | instid1(VALU_DEP_3)
	v_fma_f64 v[2:3], s[36:37], v[30:31], -v[2:3]
	v_fmac_f64_e32 v[4:5], s[38:39], v[30:31]
	s_cbranch_vccnz .LBB255_34
; %bb.33:                               ;   in Loop: Header=BB255_7 Depth=1
	global_load_b128 v[28:31], v[26:27], off
	s_mov_b32 s3, 0
	s_wait_loadcnt 0x0
	v_mul_f64_e32 v[32:33], s[30:31], v[30:31]
	v_mul_f64_e32 v[30:31], s[28:29], v[30:31]
	s_delay_alu instid0(VALU_DEP_2) | instskip(NEXT) | instid1(VALU_DEP_2)
	v_fma_f64 v[32:33], s[28:29], v[28:29], -v[32:33]
	v_fmac_f64_e32 v[30:31], s[30:31], v[28:29]
	s_delay_alu instid0(VALU_DEP_2) | instskip(NEXT) | instid1(VALU_DEP_2)
	v_add_f64_e32 v[28:29], v[2:3], v[32:33]
	v_add_f64_e32 v[30:31], v[4:5], v[30:31]
	global_store_b128 v[26:27], v[28:31], off
.LBB255_34:                             ;   in Loop: Header=BB255_7 Depth=1
	s_and_not1_b32 vcc_lo, exec_lo, s3
	s_cbranch_vccnz .LBB255_36
; %bb.35:                               ;   in Loop: Header=BB255_7 Depth=1
	global_store_b128 v[26:27], v[2:5], off
.LBB255_36:                             ;   in Loop: Header=BB255_7 Depth=1
	s_wait_xcnt 0x0
	s_or_b32 exec_lo, exec_lo, s2
	s_and_saveexec_b32 s2, s16
	s_cbranch_execz .LBB255_6
; %bb.37:                               ;   in Loop: Header=BB255_7 Depth=1
	s_delay_alu instid0(VALU_DEP_3) | instskip(SKIP_4) | instid1(VALU_DEP_3)
	v_mul_f64_e32 v[2:3], s[38:39], v[38:39]
	v_mul_f64_e32 v[4:5], s[36:37], v[38:39]
	v_lshl_add_u64 v[24:25], v[16:17], 4, v[24:25]
	s_and_not1_b32 vcc_lo, exec_lo, s8
	s_mov_b32 s3, -1
	v_fma_f64 v[2:3], s[36:37], v[40:41], -v[2:3]
	s_delay_alu instid0(VALU_DEP_3)
	v_fmac_f64_e32 v[4:5], s[38:39], v[40:41]
	s_cbranch_vccnz .LBB255_39
; %bb.38:                               ;   in Loop: Header=BB255_7 Depth=1
	global_load_b128 v[26:29], v[24:25], off
	s_mov_b32 s3, 0
	s_wait_loadcnt 0x0
	v_mul_f64_e32 v[30:31], s[30:31], v[28:29]
	v_mul_f64_e32 v[28:29], s[28:29], v[28:29]
	s_delay_alu instid0(VALU_DEP_2) | instskip(NEXT) | instid1(VALU_DEP_2)
	v_fma_f64 v[30:31], s[28:29], v[26:27], -v[30:31]
	v_fmac_f64_e32 v[28:29], s[30:31], v[26:27]
	s_delay_alu instid0(VALU_DEP_2) | instskip(NEXT) | instid1(VALU_DEP_2)
	v_add_f64_e32 v[26:27], v[2:3], v[30:31]
	v_add_f64_e32 v[28:29], v[4:5], v[28:29]
	global_store_b128 v[24:25], v[26:29], off
.LBB255_39:                             ;   in Loop: Header=BB255_7 Depth=1
	s_and_not1_b32 vcc_lo, exec_lo, s3
	s_cbranch_vccnz .LBB255_6
; %bb.40:                               ;   in Loop: Header=BB255_7 Depth=1
	global_store_b128 v[24:25], v[2:5], off
	s_branch .LBB255_6
.LBB255_41:
.LBB255_42:
	s_sendmsg sendmsg(MSG_DEALLOC_VGPRS)
	s_endpgm
	.section	.rodata,"a",@progbits
	.p2align	6, 0x0
	.amdhsa_kernel _ZL29rocblas_internal_gemmt_kernelIlLi16ELi32ELi8ELc84ELc78ELc85ELb0ELb0E19rocblas_complex_numIdEPKS1_S3_PS1_EviT_T9_T10_S5_lS7_S5_lS6_T11_S5_li
		.amdhsa_group_segment_fixed_size 8192
		.amdhsa_private_segment_fixed_size 0
		.amdhsa_kernarg_size 108
		.amdhsa_user_sgpr_count 2
		.amdhsa_user_sgpr_dispatch_ptr 0
		.amdhsa_user_sgpr_queue_ptr 0
		.amdhsa_user_sgpr_kernarg_segment_ptr 1
		.amdhsa_user_sgpr_dispatch_id 0
		.amdhsa_user_sgpr_kernarg_preload_length 0
		.amdhsa_user_sgpr_kernarg_preload_offset 0
		.amdhsa_user_sgpr_private_segment_size 0
		.amdhsa_wavefront_size32 1
		.amdhsa_uses_dynamic_stack 0
		.amdhsa_enable_private_segment 0
		.amdhsa_system_sgpr_workgroup_id_x 1
		.amdhsa_system_sgpr_workgroup_id_y 1
		.amdhsa_system_sgpr_workgroup_id_z 1
		.amdhsa_system_sgpr_workgroup_info 0
		.amdhsa_system_vgpr_workitem_id 1
		.amdhsa_next_free_vgpr 68
		.amdhsa_next_free_sgpr 41
		.amdhsa_named_barrier_count 0
		.amdhsa_reserve_vcc 1
		.amdhsa_float_round_mode_32 0
		.amdhsa_float_round_mode_16_64 0
		.amdhsa_float_denorm_mode_32 3
		.amdhsa_float_denorm_mode_16_64 3
		.amdhsa_fp16_overflow 0
		.amdhsa_memory_ordered 1
		.amdhsa_forward_progress 1
		.amdhsa_inst_pref_size 26
		.amdhsa_round_robin_scheduling 0
		.amdhsa_exception_fp_ieee_invalid_op 0
		.amdhsa_exception_fp_denorm_src 0
		.amdhsa_exception_fp_ieee_div_zero 0
		.amdhsa_exception_fp_ieee_overflow 0
		.amdhsa_exception_fp_ieee_underflow 0
		.amdhsa_exception_fp_ieee_inexact 0
		.amdhsa_exception_int_div_zero 0
	.end_amdhsa_kernel
	.section	.text._ZL29rocblas_internal_gemmt_kernelIlLi16ELi32ELi8ELc84ELc78ELc85ELb0ELb0E19rocblas_complex_numIdEPKS1_S3_PS1_EviT_T9_T10_S5_lS7_S5_lS6_T11_S5_li,"axG",@progbits,_ZL29rocblas_internal_gemmt_kernelIlLi16ELi32ELi8ELc84ELc78ELc85ELb0ELb0E19rocblas_complex_numIdEPKS1_S3_PS1_EviT_T9_T10_S5_lS7_S5_lS6_T11_S5_li,comdat
.Lfunc_end255:
	.size	_ZL29rocblas_internal_gemmt_kernelIlLi16ELi32ELi8ELc84ELc78ELc85ELb0ELb0E19rocblas_complex_numIdEPKS1_S3_PS1_EviT_T9_T10_S5_lS7_S5_lS6_T11_S5_li, .Lfunc_end255-_ZL29rocblas_internal_gemmt_kernelIlLi16ELi32ELi8ELc84ELc78ELc85ELb0ELb0E19rocblas_complex_numIdEPKS1_S3_PS1_EviT_T9_T10_S5_lS7_S5_lS6_T11_S5_li
                                        ; -- End function
	.set _ZL29rocblas_internal_gemmt_kernelIlLi16ELi32ELi8ELc84ELc78ELc85ELb0ELb0E19rocblas_complex_numIdEPKS1_S3_PS1_EviT_T9_T10_S5_lS7_S5_lS6_T11_S5_li.num_vgpr, 68
	.set _ZL29rocblas_internal_gemmt_kernelIlLi16ELi32ELi8ELc84ELc78ELc85ELb0ELb0E19rocblas_complex_numIdEPKS1_S3_PS1_EviT_T9_T10_S5_lS7_S5_lS6_T11_S5_li.num_agpr, 0
	.set _ZL29rocblas_internal_gemmt_kernelIlLi16ELi32ELi8ELc84ELc78ELc85ELb0ELb0E19rocblas_complex_numIdEPKS1_S3_PS1_EviT_T9_T10_S5_lS7_S5_lS6_T11_S5_li.numbered_sgpr, 41
	.set _ZL29rocblas_internal_gemmt_kernelIlLi16ELi32ELi8ELc84ELc78ELc85ELb0ELb0E19rocblas_complex_numIdEPKS1_S3_PS1_EviT_T9_T10_S5_lS7_S5_lS6_T11_S5_li.num_named_barrier, 0
	.set _ZL29rocblas_internal_gemmt_kernelIlLi16ELi32ELi8ELc84ELc78ELc85ELb0ELb0E19rocblas_complex_numIdEPKS1_S3_PS1_EviT_T9_T10_S5_lS7_S5_lS6_T11_S5_li.private_seg_size, 0
	.set _ZL29rocblas_internal_gemmt_kernelIlLi16ELi32ELi8ELc84ELc78ELc85ELb0ELb0E19rocblas_complex_numIdEPKS1_S3_PS1_EviT_T9_T10_S5_lS7_S5_lS6_T11_S5_li.uses_vcc, 1
	.set _ZL29rocblas_internal_gemmt_kernelIlLi16ELi32ELi8ELc84ELc78ELc85ELb0ELb0E19rocblas_complex_numIdEPKS1_S3_PS1_EviT_T9_T10_S5_lS7_S5_lS6_T11_S5_li.uses_flat_scratch, 0
	.set _ZL29rocblas_internal_gemmt_kernelIlLi16ELi32ELi8ELc84ELc78ELc85ELb0ELb0E19rocblas_complex_numIdEPKS1_S3_PS1_EviT_T9_T10_S5_lS7_S5_lS6_T11_S5_li.has_dyn_sized_stack, 0
	.set _ZL29rocblas_internal_gemmt_kernelIlLi16ELi32ELi8ELc84ELc78ELc85ELb0ELb0E19rocblas_complex_numIdEPKS1_S3_PS1_EviT_T9_T10_S5_lS7_S5_lS6_T11_S5_li.has_recursion, 0
	.set _ZL29rocblas_internal_gemmt_kernelIlLi16ELi32ELi8ELc84ELc78ELc85ELb0ELb0E19rocblas_complex_numIdEPKS1_S3_PS1_EviT_T9_T10_S5_lS7_S5_lS6_T11_S5_li.has_indirect_call, 0
	.section	.AMDGPU.csdata,"",@progbits
; Kernel info:
; codeLenInByte = 3236
; TotalNumSgprs: 43
; NumVgprs: 68
; ScratchSize: 0
; MemoryBound: 0
; FloatMode: 240
; IeeeMode: 1
; LDSByteSize: 8192 bytes/workgroup (compile time only)
; SGPRBlocks: 0
; VGPRBlocks: 4
; NumSGPRsForWavesPerEU: 43
; NumVGPRsForWavesPerEU: 68
; NamedBarCnt: 0
; Occupancy: 12
; WaveLimiterHint : 0
; COMPUTE_PGM_RSRC2:SCRATCH_EN: 0
; COMPUTE_PGM_RSRC2:USER_SGPR: 2
; COMPUTE_PGM_RSRC2:TRAP_HANDLER: 0
; COMPUTE_PGM_RSRC2:TGID_X_EN: 1
; COMPUTE_PGM_RSRC2:TGID_Y_EN: 1
; COMPUTE_PGM_RSRC2:TGID_Z_EN: 1
; COMPUTE_PGM_RSRC2:TIDIG_COMP_CNT: 1
	.section	.text._ZL29rocblas_internal_gemmt_kernelIlLi16ELi32ELi8ELc84ELc84ELc85ELb0ELb0E19rocblas_complex_numIdEPKS1_S3_PS1_EviT_T9_T10_S5_lS7_S5_lS6_T11_S5_li,"axG",@progbits,_ZL29rocblas_internal_gemmt_kernelIlLi16ELi32ELi8ELc84ELc84ELc85ELb0ELb0E19rocblas_complex_numIdEPKS1_S3_PS1_EviT_T9_T10_S5_lS7_S5_lS6_T11_S5_li,comdat
	.globl	_ZL29rocblas_internal_gemmt_kernelIlLi16ELi32ELi8ELc84ELc84ELc85ELb0ELb0E19rocblas_complex_numIdEPKS1_S3_PS1_EviT_T9_T10_S5_lS7_S5_lS6_T11_S5_li ; -- Begin function _ZL29rocblas_internal_gemmt_kernelIlLi16ELi32ELi8ELc84ELc84ELc85ELb0ELb0E19rocblas_complex_numIdEPKS1_S3_PS1_EviT_T9_T10_S5_lS7_S5_lS6_T11_S5_li
	.p2align	8
	.type	_ZL29rocblas_internal_gemmt_kernelIlLi16ELi32ELi8ELc84ELc84ELc85ELb0ELb0E19rocblas_complex_numIdEPKS1_S3_PS1_EviT_T9_T10_S5_lS7_S5_lS6_T11_S5_li,@function
_ZL29rocblas_internal_gemmt_kernelIlLi16ELi32ELi8ELc84ELc84ELc85ELb0ELb0E19rocblas_complex_numIdEPKS1_S3_PS1_EviT_T9_T10_S5_lS7_S5_lS6_T11_S5_li: ; @_ZL29rocblas_internal_gemmt_kernelIlLi16ELi32ELi8ELc84ELc84ELc85ELb0ELb0E19rocblas_complex_numIdEPKS1_S3_PS1_EviT_T9_T10_S5_lS7_S5_lS6_T11_S5_li
; %bb.0:
	s_clause 0x1
	s_load_b256 s[20:27], s[0:1], 0x48
	s_load_b512 s[4:19], s[0:1], 0x8
	s_wait_kmcnt 0x0
	s_load_b128 s[28:31], s[20:21], 0x0
	s_load_b128 s[36:39], s[6:7], 0x0
	s_wait_kmcnt 0x0
	v_cmp_eq_f64_e64 s3, s[28:29], 1.0
	v_cmp_eq_f64_e64 s2, s[30:31], 0
	s_and_b32 s3, s3, s2
	s_delay_alu instid0(SALU_CYCLE_1)
	s_and_not1_b32 vcc_lo, exec_lo, s3
	s_mov_b32 s3, -1
	s_cbranch_vccnz .LBB256_3
; %bb.1:
	s_cmp_lg_u64 s[4:5], 0
	s_cbranch_scc0 .LBB256_41
; %bb.2:
	v_cmp_neq_f64_e64 s3, s[36:37], 0
	v_cmp_neq_f64_e64 s6, s[38:39], 0
	s_or_b32 s3, s3, s6
.LBB256_3:
	s_delay_alu instid0(SALU_CYCLE_1)
	s_and_b32 vcc_lo, exec_lo, s3
	s_cbranch_vccz .LBB256_42
; %bb.4:
	s_load_b32 s20, s[0:1], 0x68
	s_bfe_u32 s3, ttmp6, 0x40014
	s_lshr_b32 s6, ttmp7, 16
	s_add_co_i32 s3, s3, 1
	s_bfe_u32 s21, ttmp6, 0x40008
	s_mul_i32 s7, s6, s3
	s_getreg_b32 s3, hwreg(HW_REG_IB_STS2, 6, 4)
	s_add_co_i32 s21, s21, s7
	s_cmp_eq_u32 s3, 0
	s_mov_b32 s7, 0
	s_cselect_b32 s6, s6, s21
	s_wait_kmcnt 0x0
	s_cmp_ge_u32 s6, s20
	s_cbranch_scc1 .LBB256_42
; %bb.5:
	v_and_b32_e32 v10, 0x3ff, v0
	v_bfe_u32 v5, v0, 10, 10
	s_bfe_u32 s21, ttmp6, 0x4000c
	s_bfe_u32 s34, ttmp6, 0x40010
	s_add_co_i32 s21, s21, 1
	s_and_b32 s35, ttmp7, 0xffff
	s_add_co_i32 s34, s34, 1
	v_lshl_add_u32 v8, v5, 4, v10
	s_and_b32 s33, ttmp6, 15
	s_mul_i32 s21, ttmp9, s21
	s_mul_i32 s34, s35, s34
	s_bfe_u32 s40, ttmp6, 0x40004
	s_add_co_i32 s33, s33, s21
	s_add_co_i32 s40, s40, s34
	s_cmp_eq_u32 s3, 0
	v_and_b32_e32 v11, 31, v8
	s_cselect_b32 s3, ttmp9, s33
	s_cselect_b32 s21, s35, s40
	s_lshl_b32 s3, s3, 5
	s_lshl_b32 s21, s21, 5
	s_delay_alu instid0(SALU_CYCLE_1) | instskip(SKIP_2) | instid1(VALU_DEP_3)
	v_dual_add_nc_u32 v4, s21, v5 :: v_dual_bitop2_b32 v2, s3, v11 bitop3:0x54
	v_dual_lshlrev_b32 v7, 4, v10 :: v_dual_bitop2_b32 v6, 7, v0 bitop3:0x40
	v_lshl_add_u32 v9, v5, 7, 0x1000
	v_dual_ashrrev_i32 v3, 31, v2 :: v_dual_add_nc_u32 v22, 16, v4
	v_ashrrev_i32_e32 v5, 31, v4
	v_cmp_neq_f64_e64 s33, s[36:37], 0
	v_cmp_neq_f64_e64 s34, s[38:39], 0
	s_delay_alu instid0(VALU_DEP_4)
	v_mul_u64_e32 v[0:1], s[10:11], v[2:3]
	v_lshlrev_b32_e32 v3, 4, v6
	v_cmp_neq_f64_e64 s11, s[28:29], 0
	v_ashrrev_i32_e32 v23, 31, v22
	s_load_b32 s35, s[0:1], 0x0
	v_mul_u64_e32 v[12:13], s[24:25], v[4:5]
	v_dual_lshrrev_b32 v16, 3, v8 :: v_dual_lshrrev_b32 v8, 5, v8
	s_delay_alu instid0(VALU_DEP_3) | instskip(SKIP_1) | instid1(VALU_DEP_3)
	v_mul_u64_e32 v[14:15], s[24:25], v[22:23]
	v_dual_add_nc_u32 v10, s3, v10 :: v_dual_lshlrev_b32 v5, 4, v11
	v_add_nc_u32_e32 v18, s21, v16
	v_lshl_or_b32 v3, v16, 7, v3
	s_xor_b32 s41, s2, -1
	s_delay_alu instid0(VALU_DEP_3)
	v_add_nc_u32_e32 v16, 16, v10
	v_cmp_le_i32_e32 vcc_lo, v10, v4
	v_ashrrev_i32_e32 v19, 31, v18
	v_cmp_gt_i64_e64 s40, s[4:5], 0
	v_lshl_or_b32 v42, v8, 9, v5
	v_cmp_le_i32_e64 s3, v16, v4
	v_add_nc_u32_e32 v43, 0x1000, v3
	v_dual_ashrrev_i32 v11, 31, v10 :: v_dual_ashrrev_i32 v17, 31, v16
	s_wait_kmcnt 0x0
	v_cmp_gt_i32_e64 s2, s35, v4
	v_cmp_gt_i32_e64 s1, s35, v18
	;; [unrolled: 1-line block ×3, first 2 shown]
	v_cmp_le_i32_e64 s10, s35, v2
	v_lshl_add_u64 v[18:19], v[18:19], 4, s[14:15]
	s_xor_b32 s1, s1, -1
	s_or_b32 s14, s33, s34
	v_lshl_add_u64 v[20:21], v[0:1], 4, s[8:9]
	s_and_b32 s9, s2, vcc_lo
	s_or_b32 s8, s11, s41
	s_and_b32 s11, s2, s3
	v_cmp_gt_i32_e32 vcc_lo, s35, v22
	v_cmp_le_i32_e64 s2, v10, v22
	v_cmp_le_i32_e64 s3, v16, v22
	v_mov_b32_e32 v1, 0
	s_and_b32 s14, s14, s40
                                        ; implicit-def: $vgpr22_vgpr23
	s_and_b32 s15, vcc_lo, s2
	s_and_b32 s21, vcc_lo, s3
	s_branch .LBB256_7
.LBB256_6:                              ;   in Loop: Header=BB256_7 Depth=1
	s_wait_xcnt 0x0
	s_or_b32 exec_lo, exec_lo, s2
	s_add_co_i32 s6, s6, 0x10000
	s_delay_alu instid0(SALU_CYCLE_1)
	s_cmp_lt_u32 s6, s20
	s_cbranch_scc0 .LBB256_42
.LBB256_7:                              ; =>This Loop Header: Depth=1
                                        ;     Child Loop BB256_10 Depth 2
	v_mov_b64_e32 v[34:35], 0
	s_and_not1_b32 vcc_lo, exec_lo, s14
	s_cbranch_vccnz .LBB256_20
; %bb.8:                                ;   in Loop: Header=BB256_7 Depth=1
	s_mul_u64 s[2:3], s[18:19], s[6:7]
	s_mul_u64 s[24:25], s[12:13], s[6:7]
	v_mov_b64_e32 v[38:39], 0
	v_mov_b64_e32 v[40:41], 0
	;; [unrolled: 1-line block ×8, first 2 shown]
	v_lshl_add_u64 v[4:5], s[24:25], 4, v[20:21]
	v_lshl_add_u64 v[24:25], s[2:3], 4, v[18:19]
	s_mov_b64 s[2:3], 0
	s_branch .LBB256_10
.LBB256_9:                              ;   in Loop: Header=BB256_10 Depth=2
	s_wait_xcnt 0x0
	s_or_b32 exec_lo, exec_lo, s24
	s_wait_dscnt 0x0
	s_barrier_signal -1
	s_barrier_wait -1
	ds_load_b128 v[44:47], v9
	ds_load_b128 v[48:51], v9 offset:16
	ds_load_b128 v[52:55], v9 offset:32
	;; [unrolled: 1-line block ×3, first 2 shown]
	ds_load_b128 v[60:63], v7
	s_add_nc_u64 s[2:3], s[2:3], 8
	s_delay_alu instid0(SALU_CYCLE_1) | instskip(SKIP_4) | instid1(VALU_DEP_2)
	v_cmp_gt_i64_e64 s24, s[4:5], s[2:3]
	s_and_b32 vcc_lo, exec_lo, s24
	s_wait_dscnt 0x0
	v_mul_f64_e32 v[2:3], v[46:47], v[62:63]
	v_mul_f64_e32 v[64:65], v[44:45], v[62:63]
	v_fma_f64 v[2:3], v[44:45], v[60:61], -v[2:3]
	s_delay_alu instid0(VALU_DEP_2) | instskip(NEXT) | instid1(VALU_DEP_2)
	v_fmac_f64_e32 v[64:65], v[46:47], v[60:61]
	v_add_f64_e32 v[2:3], v[34:35], v[2:3]
	s_delay_alu instid0(VALU_DEP_2) | instskip(SKIP_3) | instid1(VALU_DEP_1)
	v_add_f64_e32 v[64:65], v[64:65], v[36:37]
	ds_load_b128 v[34:37], v7 offset:256
	s_wait_dscnt 0x0
	v_mul_f64_e32 v[66:67], v[46:47], v[36:37]
	v_fma_f64 v[66:67], v[44:45], v[34:35], -v[66:67]
	v_mul_f64_e32 v[44:45], v[44:45], v[36:37]
	s_delay_alu instid0(VALU_DEP_1) | instskip(NEXT) | instid1(VALU_DEP_3)
	v_fmac_f64_e32 v[44:45], v[46:47], v[34:35]
	v_add_f64_e32 v[46:47], v[26:27], v[66:67]
	s_delay_alu instid0(VALU_DEP_2) | instskip(SKIP_4) | instid1(VALU_DEP_2)
	v_add_f64_e32 v[44:45], v[44:45], v[28:29]
	ds_load_b128 v[26:29], v9 offset:2048
	s_wait_dscnt 0x0
	v_mul_f64_e32 v[66:67], v[28:29], v[62:63]
	v_mul_f64_e32 v[62:63], v[26:27], v[62:63]
	v_fma_f64 v[66:67], v[26:27], v[60:61], -v[66:67]
	s_delay_alu instid0(VALU_DEP_2) | instskip(NEXT) | instid1(VALU_DEP_2)
	v_fmac_f64_e32 v[62:63], v[28:29], v[60:61]
	v_add_f64_e32 v[60:61], v[30:31], v[66:67]
	v_mul_f64_e32 v[30:31], v[28:29], v[36:37]
	s_delay_alu instid0(VALU_DEP_3) | instskip(NEXT) | instid1(VALU_DEP_2)
	v_add_f64_e32 v[62:63], v[62:63], v[32:33]
	v_fma_f64 v[30:31], v[26:27], v[34:35], -v[30:31]
	v_mul_f64_e32 v[26:27], v[26:27], v[36:37]
	s_delay_alu instid0(VALU_DEP_2) | instskip(NEXT) | instid1(VALU_DEP_2)
	v_add_f64_e32 v[40:41], v[40:41], v[30:31]
	v_fmac_f64_e32 v[26:27], v[28:29], v[34:35]
	s_delay_alu instid0(VALU_DEP_1) | instskip(SKIP_4) | instid1(VALU_DEP_2)
	v_add_f64_e32 v[38:39], v[26:27], v[38:39]
	ds_load_b128 v[26:29], v7 offset:512
	s_wait_dscnt 0x0
	v_mul_f64_e32 v[30:31], v[50:51], v[28:29]
	v_mul_f64_e32 v[32:33], v[48:49], v[28:29]
	v_fma_f64 v[30:31], v[48:49], v[26:27], -v[30:31]
	s_delay_alu instid0(VALU_DEP_2) | instskip(NEXT) | instid1(VALU_DEP_2)
	v_fmac_f64_e32 v[32:33], v[50:51], v[26:27]
	v_add_f64_e32 v[2:3], v[2:3], v[30:31]
	s_delay_alu instid0(VALU_DEP_2) | instskip(SKIP_4) | instid1(VALU_DEP_2)
	v_add_f64_e32 v[64:65], v[32:33], v[64:65]
	ds_load_b128 v[30:33], v7 offset:768
	s_wait_dscnt 0x0
	v_mul_f64_e32 v[34:35], v[50:51], v[32:33]
	v_mul_f64_e32 v[36:37], v[48:49], v[32:33]
	v_fma_f64 v[34:35], v[48:49], v[30:31], -v[34:35]
	s_delay_alu instid0(VALU_DEP_2) | instskip(NEXT) | instid1(VALU_DEP_2)
	v_fmac_f64_e32 v[36:37], v[50:51], v[30:31]
	v_add_f64_e32 v[46:47], v[46:47], v[34:35]
	s_delay_alu instid0(VALU_DEP_2) | instskip(SKIP_4) | instid1(VALU_DEP_2)
	v_add_f64_e32 v[44:45], v[36:37], v[44:45]
	ds_load_b128 v[34:37], v9 offset:2064
	s_wait_dscnt 0x0
	v_mul_f64_e32 v[48:49], v[36:37], v[28:29]
	v_mul_f64_e32 v[28:29], v[34:35], v[28:29]
	v_fma_f64 v[48:49], v[34:35], v[26:27], -v[48:49]
	s_delay_alu instid0(VALU_DEP_2) | instskip(SKIP_1) | instid1(VALU_DEP_3)
	v_fmac_f64_e32 v[28:29], v[36:37], v[26:27]
	v_mul_f64_e32 v[26:27], v[36:37], v[32:33]
	v_add_f64_e32 v[48:49], v[60:61], v[48:49]
	s_delay_alu instid0(VALU_DEP_3) | instskip(SKIP_1) | instid1(VALU_DEP_4)
	v_add_f64_e32 v[50:51], v[28:29], v[62:63]
	v_mul_f64_e32 v[28:29], v[34:35], v[32:33]
	v_fma_f64 v[26:27], v[34:35], v[30:31], -v[26:27]
	s_delay_alu instid0(VALU_DEP_2) | instskip(NEXT) | instid1(VALU_DEP_2)
	v_fmac_f64_e32 v[28:29], v[36:37], v[30:31]
	v_add_f64_e32 v[40:41], v[40:41], v[26:27]
	s_delay_alu instid0(VALU_DEP_2) | instskip(SKIP_4) | instid1(VALU_DEP_2)
	v_add_f64_e32 v[38:39], v[28:29], v[38:39]
	ds_load_b128 v[26:29], v7 offset:1024
	s_wait_dscnt 0x0
	v_mul_f64_e32 v[30:31], v[54:55], v[28:29]
	v_mul_f64_e32 v[32:33], v[52:53], v[28:29]
	v_fma_f64 v[30:31], v[52:53], v[26:27], -v[30:31]
	s_delay_alu instid0(VALU_DEP_2) | instskip(NEXT) | instid1(VALU_DEP_2)
	v_fmac_f64_e32 v[32:33], v[54:55], v[26:27]
	v_add_f64_e32 v[2:3], v[2:3], v[30:31]
	s_delay_alu instid0(VALU_DEP_2) | instskip(SKIP_4) | instid1(VALU_DEP_2)
	v_add_f64_e32 v[60:61], v[32:33], v[64:65]
	ds_load_b128 v[30:33], v7 offset:1280
	s_wait_dscnt 0x0
	v_mul_f64_e32 v[34:35], v[54:55], v[32:33]
	;; [unrolled: 10-line block ×3, first 2 shown]
	v_mul_f64_e32 v[28:29], v[34:35], v[28:29]
	v_fma_f64 v[52:53], v[34:35], v[26:27], -v[52:53]
	s_delay_alu instid0(VALU_DEP_2) | instskip(SKIP_1) | instid1(VALU_DEP_3)
	v_fmac_f64_e32 v[28:29], v[36:37], v[26:27]
	v_mul_f64_e32 v[26:27], v[36:37], v[32:33]
	v_add_f64_e32 v[48:49], v[48:49], v[52:53]
	s_delay_alu instid0(VALU_DEP_3) | instskip(SKIP_1) | instid1(VALU_DEP_4)
	v_add_f64_e32 v[50:51], v[28:29], v[50:51]
	v_mul_f64_e32 v[28:29], v[34:35], v[32:33]
	v_fma_f64 v[26:27], v[34:35], v[30:31], -v[26:27]
	s_delay_alu instid0(VALU_DEP_2) | instskip(NEXT) | instid1(VALU_DEP_2)
	v_fmac_f64_e32 v[28:29], v[36:37], v[30:31]
	v_add_f64_e32 v[40:41], v[40:41], v[26:27]
	s_delay_alu instid0(VALU_DEP_2) | instskip(SKIP_4) | instid1(VALU_DEP_2)
	v_add_f64_e32 v[38:39], v[28:29], v[38:39]
	ds_load_b128 v[26:29], v7 offset:1536
	s_wait_dscnt 0x0
	v_mul_f64_e32 v[30:31], v[58:59], v[28:29]
	v_mul_f64_e32 v[32:33], v[56:57], v[28:29]
	v_fma_f64 v[30:31], v[56:57], v[26:27], -v[30:31]
	s_delay_alu instid0(VALU_DEP_2) | instskip(NEXT) | instid1(VALU_DEP_2)
	v_fmac_f64_e32 v[32:33], v[58:59], v[26:27]
	v_add_f64_e32 v[2:3], v[2:3], v[30:31]
	s_delay_alu instid0(VALU_DEP_2) | instskip(SKIP_4) | instid1(VALU_DEP_2)
	v_add_f64_e32 v[52:53], v[32:33], v[60:61]
	ds_load_b128 v[30:33], v7 offset:1792
	s_wait_dscnt 0x0
	v_mul_f64_e32 v[34:35], v[58:59], v[32:33]
	;; [unrolled: 10-line block ×3, first 2 shown]
	v_mul_f64_e32 v[28:29], v[34:35], v[28:29]
	v_fma_f64 v[54:55], v[34:35], v[26:27], -v[54:55]
	s_delay_alu instid0(VALU_DEP_2) | instskip(SKIP_1) | instid1(VALU_DEP_3)
	v_fmac_f64_e32 v[28:29], v[36:37], v[26:27]
	v_mul_f64_e32 v[26:27], v[36:37], v[32:33]
	v_add_f64_e32 v[48:49], v[48:49], v[54:55]
	s_delay_alu instid0(VALU_DEP_3) | instskip(SKIP_1) | instid1(VALU_DEP_4)
	v_add_f64_e32 v[50:51], v[28:29], v[50:51]
	v_mul_f64_e32 v[28:29], v[34:35], v[32:33]
	v_fma_f64 v[26:27], v[34:35], v[30:31], -v[26:27]
	s_delay_alu instid0(VALU_DEP_2) | instskip(NEXT) | instid1(VALU_DEP_2)
	v_fmac_f64_e32 v[28:29], v[36:37], v[30:31]
	v_add_f64_e32 v[40:41], v[40:41], v[26:27]
	s_delay_alu instid0(VALU_DEP_2)
	v_add_f64_e32 v[38:39], v[28:29], v[38:39]
	ds_load_b128 v[26:29], v9 offset:64
	ds_load_b128 v[30:33], v7 offset:2048
	s_wait_dscnt 0x0
	v_mul_f64_e32 v[34:35], v[28:29], v[32:33]
	v_mul_f64_e32 v[36:37], v[26:27], v[32:33]
	s_delay_alu instid0(VALU_DEP_2) | instskip(NEXT) | instid1(VALU_DEP_2)
	v_fma_f64 v[34:35], v[26:27], v[30:31], -v[34:35]
	v_fmac_f64_e32 v[36:37], v[28:29], v[30:31]
	s_delay_alu instid0(VALU_DEP_2) | instskip(NEXT) | instid1(VALU_DEP_2)
	v_add_f64_e32 v[2:3], v[2:3], v[34:35]
	v_add_f64_e32 v[52:53], v[36:37], v[52:53]
	ds_load_b128 v[34:37], v7 offset:2304
	s_wait_dscnt 0x0
	v_mul_f64_e32 v[54:55], v[28:29], v[36:37]
	s_delay_alu instid0(VALU_DEP_1) | instskip(SKIP_1) | instid1(VALU_DEP_2)
	v_fma_f64 v[54:55], v[26:27], v[34:35], -v[54:55]
	v_mul_f64_e32 v[26:27], v[26:27], v[36:37]
	v_add_f64_e32 v[46:47], v[46:47], v[54:55]
	s_delay_alu instid0(VALU_DEP_2) | instskip(NEXT) | instid1(VALU_DEP_1)
	v_fmac_f64_e32 v[26:27], v[28:29], v[34:35]
	v_add_f64_e32 v[44:45], v[26:27], v[44:45]
	ds_load_b128 v[26:29], v9 offset:2112
	s_wait_dscnt 0x0
	v_mul_f64_e32 v[54:55], v[28:29], v[32:33]
	v_mul_f64_e32 v[32:33], v[26:27], v[32:33]
	s_delay_alu instid0(VALU_DEP_2) | instskip(NEXT) | instid1(VALU_DEP_2)
	v_fma_f64 v[54:55], v[26:27], v[30:31], -v[54:55]
	v_fmac_f64_e32 v[32:33], v[28:29], v[30:31]
	v_mul_f64_e32 v[30:31], v[28:29], v[36:37]
	s_delay_alu instid0(VALU_DEP_3) | instskip(NEXT) | instid1(VALU_DEP_3)
	v_add_f64_e32 v[48:49], v[48:49], v[54:55]
	v_add_f64_e32 v[50:51], v[32:33], v[50:51]
	s_delay_alu instid0(VALU_DEP_3) | instskip(SKIP_1) | instid1(VALU_DEP_2)
	v_fma_f64 v[30:31], v[26:27], v[34:35], -v[30:31]
	v_mul_f64_e32 v[26:27], v[26:27], v[36:37]
	v_add_f64_e32 v[40:41], v[40:41], v[30:31]
	s_delay_alu instid0(VALU_DEP_2) | instskip(NEXT) | instid1(VALU_DEP_1)
	v_fmac_f64_e32 v[26:27], v[28:29], v[34:35]
	v_add_f64_e32 v[38:39], v[26:27], v[38:39]
	ds_load_b128 v[26:29], v9 offset:80
	ds_load_b128 v[30:33], v7 offset:2560
	s_wait_dscnt 0x0
	v_mul_f64_e32 v[34:35], v[28:29], v[32:33]
	v_mul_f64_e32 v[36:37], v[26:27], v[32:33]
	s_delay_alu instid0(VALU_DEP_2) | instskip(NEXT) | instid1(VALU_DEP_2)
	v_fma_f64 v[34:35], v[26:27], v[30:31], -v[34:35]
	v_fmac_f64_e32 v[36:37], v[28:29], v[30:31]
	s_delay_alu instid0(VALU_DEP_2) | instskip(NEXT) | instid1(VALU_DEP_2)
	v_add_f64_e32 v[2:3], v[2:3], v[34:35]
	v_add_f64_e32 v[52:53], v[36:37], v[52:53]
	ds_load_b128 v[34:37], v7 offset:2816
	s_wait_dscnt 0x0
	v_mul_f64_e32 v[54:55], v[28:29], v[36:37]
	s_delay_alu instid0(VALU_DEP_1) | instskip(SKIP_1) | instid1(VALU_DEP_2)
	v_fma_f64 v[54:55], v[26:27], v[34:35], -v[54:55]
	v_mul_f64_e32 v[26:27], v[26:27], v[36:37]
	v_add_f64_e32 v[46:47], v[46:47], v[54:55]
	s_delay_alu instid0(VALU_DEP_2) | instskip(NEXT) | instid1(VALU_DEP_1)
	v_fmac_f64_e32 v[26:27], v[28:29], v[34:35]
	v_add_f64_e32 v[44:45], v[26:27], v[44:45]
	ds_load_b128 v[26:29], v9 offset:2128
	s_wait_dscnt 0x0
	v_mul_f64_e32 v[54:55], v[28:29], v[32:33]
	v_mul_f64_e32 v[32:33], v[26:27], v[32:33]
	s_delay_alu instid0(VALU_DEP_2) | instskip(NEXT) | instid1(VALU_DEP_2)
	v_fma_f64 v[54:55], v[26:27], v[30:31], -v[54:55]
	v_fmac_f64_e32 v[32:33], v[28:29], v[30:31]
	v_mul_f64_e32 v[30:31], v[28:29], v[36:37]
	s_delay_alu instid0(VALU_DEP_3) | instskip(NEXT) | instid1(VALU_DEP_3)
	v_add_f64_e32 v[48:49], v[48:49], v[54:55]
	v_add_f64_e32 v[50:51], v[32:33], v[50:51]
	s_delay_alu instid0(VALU_DEP_3) | instskip(SKIP_1) | instid1(VALU_DEP_2)
	v_fma_f64 v[30:31], v[26:27], v[34:35], -v[30:31]
	v_mul_f64_e32 v[26:27], v[26:27], v[36:37]
	v_add_f64_e32 v[40:41], v[40:41], v[30:31]
	s_delay_alu instid0(VALU_DEP_2) | instskip(NEXT) | instid1(VALU_DEP_1)
	v_fmac_f64_e32 v[26:27], v[28:29], v[34:35]
	;; [unrolled: 39-line block ×3, first 2 shown]
	v_add_f64_e32 v[56:57], v[26:27], v[38:39]
	ds_load_b128 v[26:29], v9 offset:112
	ds_load_b128 v[30:33], v7 offset:3584
	;; [unrolled: 1-line block ×3, first 2 shown]
	s_wait_dscnt 0x1
	v_mul_f64_e32 v[34:35], v[28:29], v[32:33]
	v_mul_f64_e32 v[36:37], v[26:27], v[32:33]
	s_delay_alu instid0(VALU_DEP_2) | instskip(NEXT) | instid1(VALU_DEP_2)
	v_fma_f64 v[34:35], v[26:27], v[30:31], -v[34:35]
	v_fmac_f64_e32 v[36:37], v[28:29], v[30:31]
	s_delay_alu instid0(VALU_DEP_2) | instskip(NEXT) | instid1(VALU_DEP_2)
	v_add_f64_e32 v[34:35], v[2:3], v[34:35]
	v_add_f64_e32 v[36:37], v[36:37], v[52:53]
	s_wait_dscnt 0x0
	v_mul_f64_e32 v[2:3], v[28:29], v[40:41]
	v_mul_f64_e32 v[52:53], v[26:27], v[40:41]
	s_delay_alu instid0(VALU_DEP_2) | instskip(NEXT) | instid1(VALU_DEP_2)
	v_fma_f64 v[2:3], v[26:27], v[38:39], -v[2:3]
	v_fmac_f64_e32 v[52:53], v[28:29], v[38:39]
	s_delay_alu instid0(VALU_DEP_2) | instskip(NEXT) | instid1(VALU_DEP_2)
	v_add_f64_e32 v[26:27], v[46:47], v[2:3]
	v_add_f64_e32 v[28:29], v[52:53], v[44:45]
	ds_load_b128 v[44:47], v9 offset:2160
	s_wait_dscnt 0x0
	s_barrier_signal -1
	s_barrier_wait -1
	v_mul_f64_e32 v[2:3], v[46:47], v[32:33]
	v_mul_f64_e32 v[32:33], v[44:45], v[32:33]
	s_delay_alu instid0(VALU_DEP_2) | instskip(NEXT) | instid1(VALU_DEP_2)
	v_fma_f64 v[2:3], v[44:45], v[30:31], -v[2:3]
	v_fmac_f64_e32 v[32:33], v[46:47], v[30:31]
	s_delay_alu instid0(VALU_DEP_2) | instskip(SKIP_1) | instid1(VALU_DEP_3)
	v_add_f64_e32 v[30:31], v[48:49], v[2:3]
	v_mul_f64_e32 v[2:3], v[46:47], v[40:41]
	v_add_f64_e32 v[32:33], v[32:33], v[50:51]
	s_delay_alu instid0(VALU_DEP_2) | instskip(SKIP_1) | instid1(VALU_DEP_2)
	v_fma_f64 v[2:3], v[44:45], v[38:39], -v[2:3]
	v_mul_f64_e32 v[44:45], v[44:45], v[40:41]
	v_add_f64_e32 v[40:41], v[54:55], v[2:3]
	s_delay_alu instid0(VALU_DEP_2) | instskip(NEXT) | instid1(VALU_DEP_1)
	v_fmac_f64_e32 v[44:45], v[46:47], v[38:39]
	v_add_f64_e32 v[38:39], v[44:45], v[56:57]
	s_cbranch_vccz .LBB256_21
.LBB256_10:                             ;   Parent Loop BB256_7 Depth=1
                                        ; =>  This Inner Loop Header: Depth=2
	s_mov_b32 s24, 0
	s_mov_b32 s33, s10
	s_and_saveexec_b32 s25, s0
	s_cbranch_execnz .LBB256_18
; %bb.11:                               ;   in Loop: Header=BB256_10 Depth=2
	s_or_b32 exec_lo, exec_lo, s25
	s_and_saveexec_b32 s25, s33
	s_delay_alu instid0(SALU_CYCLE_1)
	s_xor_b32 s25, exec_lo, s25
	s_cbranch_execnz .LBB256_19
.LBB256_12:                             ;   in Loop: Header=BB256_10 Depth=2
	s_or_b32 exec_lo, exec_lo, s25
	s_and_saveexec_b32 s25, s24
	s_cbranch_execz .LBB256_14
.LBB256_13:                             ;   in Loop: Header=BB256_10 Depth=2
	v_lshl_add_u64 v[2:3], v[22:23], 4, v[4:5]
	global_load_b128 v[44:47], v[2:3], off
	s_wait_loadcnt 0x0
	ds_store_2addr_b64 v42, v[44:45], v[46:47] offset1:1
.LBB256_14:                             ;   in Loop: Header=BB256_10 Depth=2
	s_wait_xcnt 0x0
	s_or_b32 exec_lo, exec_lo, s25
	v_add_nc_u32_e32 v0, s2, v6
	s_delay_alu instid0(VALU_DEP_1) | instskip(SKIP_1) | instid1(SALU_CYCLE_1)
	v_cmp_le_u64_e32 vcc_lo, s[4:5], v[0:1]
	s_or_b32 s24, vcc_lo, s1
	s_and_saveexec_b32 s25, s24
	s_delay_alu instid0(SALU_CYCLE_1)
	s_xor_b32 s24, exec_lo, s25
; %bb.15:                               ;   in Loop: Header=BB256_10 Depth=2
	v_dual_mov_b32 v0, v1 :: v_dual_mov_b32 v2, v1
	v_mov_b32_e32 v3, v1
	ds_store_b128 v43, v[0:3]
; %bb.16:                               ;   in Loop: Header=BB256_10 Depth=2
	s_and_not1_saveexec_b32 s24, s24
	s_cbranch_execz .LBB256_9
; %bb.17:                               ;   in Loop: Header=BB256_10 Depth=2
	v_mul_u64_e32 v[2:3], s[16:17], v[0:1]
	s_delay_alu instid0(VALU_DEP_1)
	v_lshl_add_u64 v[2:3], v[2:3], 4, v[24:25]
	global_load_b128 v[44:47], v[2:3], off
	s_wait_loadcnt 0x0
	ds_store_2addr_b64 v43, v[44:45], v[46:47] offset1:1
	s_branch .LBB256_9
.LBB256_18:                             ;   in Loop: Header=BB256_10 Depth=2
	v_add_nc_u32_e32 v0, s2, v8
	s_and_not1_b32 s33, s10, exec_lo
	s_mov_b32 s24, exec_lo
	s_delay_alu instid0(VALU_DEP_1) | instskip(SKIP_2) | instid1(SALU_CYCLE_1)
	v_cmp_le_u64_e32 vcc_lo, s[4:5], v[0:1]
	v_mov_b64_e32 v[22:23], v[0:1]
	s_and_b32 s34, vcc_lo, exec_lo
	s_or_b32 s33, s33, s34
	s_or_b32 exec_lo, exec_lo, s25
	s_and_saveexec_b32 s25, s33
	s_delay_alu instid0(SALU_CYCLE_1)
	s_xor_b32 s25, exec_lo, s25
	s_cbranch_execz .LBB256_12
.LBB256_19:                             ;   in Loop: Header=BB256_10 Depth=2
	v_dual_mov_b32 v0, v1 :: v_dual_mov_b32 v2, v1
	v_mov_b32_e32 v3, v1
	s_and_not1_b32 s24, s24, exec_lo
	ds_store_b128 v42, v[0:3]
	s_or_b32 exec_lo, exec_lo, s25
	s_and_saveexec_b32 s25, s24
	s_cbranch_execnz .LBB256_13
	s_branch .LBB256_14
.LBB256_20:                             ;   in Loop: Header=BB256_7 Depth=1
	v_mov_b64_e32 v[36:37], 0
	v_mov_b64_e32 v[26:27], 0
	;; [unrolled: 1-line block ×7, first 2 shown]
.LBB256_21:                             ;   in Loop: Header=BB256_7 Depth=1
	s_mul_u64 s[2:3], s[26:27], s[6:7]
	s_delay_alu instid0(SALU_CYCLE_1) | instskip(NEXT) | instid1(SALU_CYCLE_1)
	s_lshl_b64 s[2:3], s[2:3], 4
	s_add_nc_u64 s[2:3], s[22:23], s[2:3]
	s_delay_alu instid0(SALU_CYCLE_1)
	v_lshl_add_u64 v[24:25], v[12:13], 4, s[2:3]
	s_and_saveexec_b32 s24, s9
	s_cbranch_execz .LBB256_26
; %bb.22:                               ;   in Loop: Header=BB256_7 Depth=1
	v_mul_f64_e32 v[2:3], s[38:39], v[36:37]
	v_mul_f64_e32 v[4:5], s[36:37], v[36:37]
	s_and_b32 vcc_lo, exec_lo, s8
	s_mov_b32 s25, -1
	s_delay_alu instid0(VALU_DEP_2) | instskip(NEXT) | instid1(VALU_DEP_2)
	v_fma_f64 v[2:3], s[36:37], v[34:35], -v[2:3]
	v_fmac_f64_e32 v[4:5], s[38:39], v[34:35]
	v_lshl_add_u64 v[34:35], v[10:11], 4, v[24:25]
	s_cbranch_vccz .LBB256_24
; %bb.23:                               ;   in Loop: Header=BB256_7 Depth=1
	global_load_b128 v[44:47], v[34:35], off
	s_mov_b32 s25, 0
	s_wait_loadcnt 0x0
	v_mul_f64_e32 v[36:37], s[30:31], v[46:47]
	v_mul_f64_e32 v[46:47], s[28:29], v[46:47]
	s_delay_alu instid0(VALU_DEP_2) | instskip(NEXT) | instid1(VALU_DEP_2)
	v_fma_f64 v[36:37], s[28:29], v[44:45], -v[36:37]
	v_fmac_f64_e32 v[46:47], s[30:31], v[44:45]
	s_delay_alu instid0(VALU_DEP_2) | instskip(NEXT) | instid1(VALU_DEP_2)
	v_add_f64_e32 v[44:45], v[2:3], v[36:37]
	v_add_f64_e32 v[46:47], v[4:5], v[46:47]
	global_store_b128 v[34:35], v[44:47], off
.LBB256_24:                             ;   in Loop: Header=BB256_7 Depth=1
	s_and_not1_b32 vcc_lo, exec_lo, s25
	s_cbranch_vccnz .LBB256_26
; %bb.25:                               ;   in Loop: Header=BB256_7 Depth=1
	global_store_b128 v[34:35], v[2:5], off
.LBB256_26:                             ;   in Loop: Header=BB256_7 Depth=1
	s_wait_xcnt 0x0
	s_or_b32 exec_lo, exec_lo, s24
	s_and_saveexec_b32 s24, s11
	s_cbranch_execz .LBB256_31
; %bb.27:                               ;   in Loop: Header=BB256_7 Depth=1
	v_mul_f64_e32 v[2:3], s[38:39], v[28:29]
	v_mul_f64_e32 v[4:5], s[36:37], v[28:29]
	v_lshl_add_u64 v[24:25], v[16:17], 4, v[24:25]
	s_and_not1_b32 vcc_lo, exec_lo, s8
	s_mov_b32 s25, -1
	s_delay_alu instid0(VALU_DEP_3) | instskip(NEXT) | instid1(VALU_DEP_3)
	v_fma_f64 v[2:3], s[36:37], v[26:27], -v[2:3]
	v_fmac_f64_e32 v[4:5], s[38:39], v[26:27]
	s_cbranch_vccnz .LBB256_29
; %bb.28:                               ;   in Loop: Header=BB256_7 Depth=1
	global_load_b128 v[26:29], v[24:25], off
	s_mov_b32 s25, 0
	s_wait_loadcnt 0x0
	v_mul_f64_e32 v[34:35], s[30:31], v[28:29]
	v_mul_f64_e32 v[28:29], s[28:29], v[28:29]
	s_delay_alu instid0(VALU_DEP_2) | instskip(NEXT) | instid1(VALU_DEP_2)
	v_fma_f64 v[34:35], s[28:29], v[26:27], -v[34:35]
	v_fmac_f64_e32 v[28:29], s[30:31], v[26:27]
	s_delay_alu instid0(VALU_DEP_2) | instskip(NEXT) | instid1(VALU_DEP_2)
	v_add_f64_e32 v[26:27], v[2:3], v[34:35]
	v_add_f64_e32 v[28:29], v[4:5], v[28:29]
	global_store_b128 v[24:25], v[26:29], off
.LBB256_29:                             ;   in Loop: Header=BB256_7 Depth=1
	s_and_not1_b32 vcc_lo, exec_lo, s25
	s_cbranch_vccnz .LBB256_31
; %bb.30:                               ;   in Loop: Header=BB256_7 Depth=1
	global_store_b128 v[24:25], v[2:5], off
.LBB256_31:                             ;   in Loop: Header=BB256_7 Depth=1
	s_wait_xcnt 0x0
	s_or_b32 exec_lo, exec_lo, s24
	v_lshl_add_u64 v[24:25], v[14:15], 4, s[2:3]
	s_and_saveexec_b32 s2, s15
	s_cbranch_execz .LBB256_36
; %bb.32:                               ;   in Loop: Header=BB256_7 Depth=1
	v_mul_f64_e32 v[2:3], s[38:39], v[32:33]
	v_mul_f64_e32 v[4:5], s[36:37], v[32:33]
	v_lshl_add_u64 v[26:27], v[10:11], 4, v[24:25]
	s_and_not1_b32 vcc_lo, exec_lo, s8
	s_mov_b32 s3, -1
	s_delay_alu instid0(VALU_DEP_3) | instskip(NEXT) | instid1(VALU_DEP_3)
	v_fma_f64 v[2:3], s[36:37], v[30:31], -v[2:3]
	v_fmac_f64_e32 v[4:5], s[38:39], v[30:31]
	s_cbranch_vccnz .LBB256_34
; %bb.33:                               ;   in Loop: Header=BB256_7 Depth=1
	global_load_b128 v[28:31], v[26:27], off
	s_mov_b32 s3, 0
	s_wait_loadcnt 0x0
	v_mul_f64_e32 v[32:33], s[30:31], v[30:31]
	v_mul_f64_e32 v[30:31], s[28:29], v[30:31]
	s_delay_alu instid0(VALU_DEP_2) | instskip(NEXT) | instid1(VALU_DEP_2)
	v_fma_f64 v[32:33], s[28:29], v[28:29], -v[32:33]
	v_fmac_f64_e32 v[30:31], s[30:31], v[28:29]
	s_delay_alu instid0(VALU_DEP_2) | instskip(NEXT) | instid1(VALU_DEP_2)
	v_add_f64_e32 v[28:29], v[2:3], v[32:33]
	v_add_f64_e32 v[30:31], v[4:5], v[30:31]
	global_store_b128 v[26:27], v[28:31], off
.LBB256_34:                             ;   in Loop: Header=BB256_7 Depth=1
	s_and_not1_b32 vcc_lo, exec_lo, s3
	s_cbranch_vccnz .LBB256_36
; %bb.35:                               ;   in Loop: Header=BB256_7 Depth=1
	global_store_b128 v[26:27], v[2:5], off
.LBB256_36:                             ;   in Loop: Header=BB256_7 Depth=1
	s_wait_xcnt 0x0
	s_or_b32 exec_lo, exec_lo, s2
	s_and_saveexec_b32 s2, s21
	s_cbranch_execz .LBB256_6
; %bb.37:                               ;   in Loop: Header=BB256_7 Depth=1
	s_delay_alu instid0(VALU_DEP_3) | instskip(SKIP_4) | instid1(VALU_DEP_3)
	v_mul_f64_e32 v[2:3], s[38:39], v[38:39]
	v_mul_f64_e32 v[4:5], s[36:37], v[38:39]
	v_lshl_add_u64 v[24:25], v[16:17], 4, v[24:25]
	s_and_not1_b32 vcc_lo, exec_lo, s8
	s_mov_b32 s3, -1
	v_fma_f64 v[2:3], s[36:37], v[40:41], -v[2:3]
	s_delay_alu instid0(VALU_DEP_3)
	v_fmac_f64_e32 v[4:5], s[38:39], v[40:41]
	s_cbranch_vccnz .LBB256_39
; %bb.38:                               ;   in Loop: Header=BB256_7 Depth=1
	global_load_b128 v[26:29], v[24:25], off
	s_mov_b32 s3, 0
	s_wait_loadcnt 0x0
	v_mul_f64_e32 v[30:31], s[30:31], v[28:29]
	v_mul_f64_e32 v[28:29], s[28:29], v[28:29]
	s_delay_alu instid0(VALU_DEP_2) | instskip(NEXT) | instid1(VALU_DEP_2)
	v_fma_f64 v[30:31], s[28:29], v[26:27], -v[30:31]
	v_fmac_f64_e32 v[28:29], s[30:31], v[26:27]
	s_delay_alu instid0(VALU_DEP_2) | instskip(NEXT) | instid1(VALU_DEP_2)
	v_add_f64_e32 v[26:27], v[2:3], v[30:31]
	v_add_f64_e32 v[28:29], v[4:5], v[28:29]
	global_store_b128 v[24:25], v[26:29], off
.LBB256_39:                             ;   in Loop: Header=BB256_7 Depth=1
	s_and_not1_b32 vcc_lo, exec_lo, s3
	s_cbranch_vccnz .LBB256_6
; %bb.40:                               ;   in Loop: Header=BB256_7 Depth=1
	global_store_b128 v[24:25], v[2:5], off
	s_branch .LBB256_6
.LBB256_41:
.LBB256_42:
	s_sendmsg sendmsg(MSG_DEALLOC_VGPRS)
	s_endpgm
	.section	.rodata,"a",@progbits
	.p2align	6, 0x0
	.amdhsa_kernel _ZL29rocblas_internal_gemmt_kernelIlLi16ELi32ELi8ELc84ELc84ELc85ELb0ELb0E19rocblas_complex_numIdEPKS1_S3_PS1_EviT_T9_T10_S5_lS7_S5_lS6_T11_S5_li
		.amdhsa_group_segment_fixed_size 8192
		.amdhsa_private_segment_fixed_size 0
		.amdhsa_kernarg_size 108
		.amdhsa_user_sgpr_count 2
		.amdhsa_user_sgpr_dispatch_ptr 0
		.amdhsa_user_sgpr_queue_ptr 0
		.amdhsa_user_sgpr_kernarg_segment_ptr 1
		.amdhsa_user_sgpr_dispatch_id 0
		.amdhsa_user_sgpr_kernarg_preload_length 0
		.amdhsa_user_sgpr_kernarg_preload_offset 0
		.amdhsa_user_sgpr_private_segment_size 0
		.amdhsa_wavefront_size32 1
		.amdhsa_uses_dynamic_stack 0
		.amdhsa_enable_private_segment 0
		.amdhsa_system_sgpr_workgroup_id_x 1
		.amdhsa_system_sgpr_workgroup_id_y 1
		.amdhsa_system_sgpr_workgroup_id_z 1
		.amdhsa_system_sgpr_workgroup_info 0
		.amdhsa_system_vgpr_workitem_id 1
		.amdhsa_next_free_vgpr 68
		.amdhsa_next_free_sgpr 42
		.amdhsa_named_barrier_count 0
		.amdhsa_reserve_vcc 1
		.amdhsa_float_round_mode_32 0
		.amdhsa_float_round_mode_16_64 0
		.amdhsa_float_denorm_mode_32 3
		.amdhsa_float_denorm_mode_16_64 3
		.amdhsa_fp16_overflow 0
		.amdhsa_memory_ordered 1
		.amdhsa_forward_progress 1
		.amdhsa_inst_pref_size 26
		.amdhsa_round_robin_scheduling 0
		.amdhsa_exception_fp_ieee_invalid_op 0
		.amdhsa_exception_fp_denorm_src 0
		.amdhsa_exception_fp_ieee_div_zero 0
		.amdhsa_exception_fp_ieee_overflow 0
		.amdhsa_exception_fp_ieee_underflow 0
		.amdhsa_exception_fp_ieee_inexact 0
		.amdhsa_exception_int_div_zero 0
	.end_amdhsa_kernel
	.section	.text._ZL29rocblas_internal_gemmt_kernelIlLi16ELi32ELi8ELc84ELc84ELc85ELb0ELb0E19rocblas_complex_numIdEPKS1_S3_PS1_EviT_T9_T10_S5_lS7_S5_lS6_T11_S5_li,"axG",@progbits,_ZL29rocblas_internal_gemmt_kernelIlLi16ELi32ELi8ELc84ELc84ELc85ELb0ELb0E19rocblas_complex_numIdEPKS1_S3_PS1_EviT_T9_T10_S5_lS7_S5_lS6_T11_S5_li,comdat
.Lfunc_end256:
	.size	_ZL29rocblas_internal_gemmt_kernelIlLi16ELi32ELi8ELc84ELc84ELc85ELb0ELb0E19rocblas_complex_numIdEPKS1_S3_PS1_EviT_T9_T10_S5_lS7_S5_lS6_T11_S5_li, .Lfunc_end256-_ZL29rocblas_internal_gemmt_kernelIlLi16ELi32ELi8ELc84ELc84ELc85ELb0ELb0E19rocblas_complex_numIdEPKS1_S3_PS1_EviT_T9_T10_S5_lS7_S5_lS6_T11_S5_li
                                        ; -- End function
	.set _ZL29rocblas_internal_gemmt_kernelIlLi16ELi32ELi8ELc84ELc84ELc85ELb0ELb0E19rocblas_complex_numIdEPKS1_S3_PS1_EviT_T9_T10_S5_lS7_S5_lS6_T11_S5_li.num_vgpr, 68
	.set _ZL29rocblas_internal_gemmt_kernelIlLi16ELi32ELi8ELc84ELc84ELc85ELb0ELb0E19rocblas_complex_numIdEPKS1_S3_PS1_EviT_T9_T10_S5_lS7_S5_lS6_T11_S5_li.num_agpr, 0
	.set _ZL29rocblas_internal_gemmt_kernelIlLi16ELi32ELi8ELc84ELc84ELc85ELb0ELb0E19rocblas_complex_numIdEPKS1_S3_PS1_EviT_T9_T10_S5_lS7_S5_lS6_T11_S5_li.numbered_sgpr, 42
	.set _ZL29rocblas_internal_gemmt_kernelIlLi16ELi32ELi8ELc84ELc84ELc85ELb0ELb0E19rocblas_complex_numIdEPKS1_S3_PS1_EviT_T9_T10_S5_lS7_S5_lS6_T11_S5_li.num_named_barrier, 0
	.set _ZL29rocblas_internal_gemmt_kernelIlLi16ELi32ELi8ELc84ELc84ELc85ELb0ELb0E19rocblas_complex_numIdEPKS1_S3_PS1_EviT_T9_T10_S5_lS7_S5_lS6_T11_S5_li.private_seg_size, 0
	.set _ZL29rocblas_internal_gemmt_kernelIlLi16ELi32ELi8ELc84ELc84ELc85ELb0ELb0E19rocblas_complex_numIdEPKS1_S3_PS1_EviT_T9_T10_S5_lS7_S5_lS6_T11_S5_li.uses_vcc, 1
	.set _ZL29rocblas_internal_gemmt_kernelIlLi16ELi32ELi8ELc84ELc84ELc85ELb0ELb0E19rocblas_complex_numIdEPKS1_S3_PS1_EviT_T9_T10_S5_lS7_S5_lS6_T11_S5_li.uses_flat_scratch, 0
	.set _ZL29rocblas_internal_gemmt_kernelIlLi16ELi32ELi8ELc84ELc84ELc85ELb0ELb0E19rocblas_complex_numIdEPKS1_S3_PS1_EviT_T9_T10_S5_lS7_S5_lS6_T11_S5_li.has_dyn_sized_stack, 0
	.set _ZL29rocblas_internal_gemmt_kernelIlLi16ELi32ELi8ELc84ELc84ELc85ELb0ELb0E19rocblas_complex_numIdEPKS1_S3_PS1_EviT_T9_T10_S5_lS7_S5_lS6_T11_S5_li.has_recursion, 0
	.set _ZL29rocblas_internal_gemmt_kernelIlLi16ELi32ELi8ELc84ELc84ELc85ELb0ELb0E19rocblas_complex_numIdEPKS1_S3_PS1_EviT_T9_T10_S5_lS7_S5_lS6_T11_S5_li.has_indirect_call, 0
	.section	.AMDGPU.csdata,"",@progbits
; Kernel info:
; codeLenInByte = 3236
; TotalNumSgprs: 44
; NumVgprs: 68
; ScratchSize: 0
; MemoryBound: 0
; FloatMode: 240
; IeeeMode: 1
; LDSByteSize: 8192 bytes/workgroup (compile time only)
; SGPRBlocks: 0
; VGPRBlocks: 4
; NumSGPRsForWavesPerEU: 44
; NumVGPRsForWavesPerEU: 68
; NamedBarCnt: 0
; Occupancy: 12
; WaveLimiterHint : 0
; COMPUTE_PGM_RSRC2:SCRATCH_EN: 0
; COMPUTE_PGM_RSRC2:USER_SGPR: 2
; COMPUTE_PGM_RSRC2:TRAP_HANDLER: 0
; COMPUTE_PGM_RSRC2:TGID_X_EN: 1
; COMPUTE_PGM_RSRC2:TGID_Y_EN: 1
; COMPUTE_PGM_RSRC2:TGID_Z_EN: 1
; COMPUTE_PGM_RSRC2:TIDIG_COMP_CNT: 1
	.section	.text._ZL29rocblas_internal_gemmt_kernelIlLi16ELi32ELi8ELc84ELc67ELc85ELb0ELb1E19rocblas_complex_numIdEPKS1_S3_PS1_EviT_T9_T10_S5_lS7_S5_lS6_T11_S5_li,"axG",@progbits,_ZL29rocblas_internal_gemmt_kernelIlLi16ELi32ELi8ELc84ELc67ELc85ELb0ELb1E19rocblas_complex_numIdEPKS1_S3_PS1_EviT_T9_T10_S5_lS7_S5_lS6_T11_S5_li,comdat
	.globl	_ZL29rocblas_internal_gemmt_kernelIlLi16ELi32ELi8ELc84ELc67ELc85ELb0ELb1E19rocblas_complex_numIdEPKS1_S3_PS1_EviT_T9_T10_S5_lS7_S5_lS6_T11_S5_li ; -- Begin function _ZL29rocblas_internal_gemmt_kernelIlLi16ELi32ELi8ELc84ELc67ELc85ELb0ELb1E19rocblas_complex_numIdEPKS1_S3_PS1_EviT_T9_T10_S5_lS7_S5_lS6_T11_S5_li
	.p2align	8
	.type	_ZL29rocblas_internal_gemmt_kernelIlLi16ELi32ELi8ELc84ELc67ELc85ELb0ELb1E19rocblas_complex_numIdEPKS1_S3_PS1_EviT_T9_T10_S5_lS7_S5_lS6_T11_S5_li,@function
_ZL29rocblas_internal_gemmt_kernelIlLi16ELi32ELi8ELc84ELc67ELc85ELb0ELb1E19rocblas_complex_numIdEPKS1_S3_PS1_EviT_T9_T10_S5_lS7_S5_lS6_T11_S5_li: ; @_ZL29rocblas_internal_gemmt_kernelIlLi16ELi32ELi8ELc84ELc67ELc85ELb0ELb1E19rocblas_complex_numIdEPKS1_S3_PS1_EviT_T9_T10_S5_lS7_S5_lS6_T11_S5_li
; %bb.0:
	s_clause 0x1
	s_load_b256 s[24:31], s[0:1], 0x48
	s_load_b512 s[8:23], s[0:1], 0x8
	s_wait_kmcnt 0x0
	s_load_b128 s[36:39], s[24:25], 0x0
	s_load_b128 s[40:43], s[10:11], 0x0
	s_wait_kmcnt 0x0
	v_cmp_eq_f64_e64 s3, s[36:37], 1.0
	v_cmp_eq_f64_e64 s2, s[38:39], 0
	s_and_b32 s3, s3, s2
	s_delay_alu instid0(SALU_CYCLE_1)
	s_and_not1_b32 vcc_lo, exec_lo, s3
	s_mov_b32 s3, -1
	s_cbranch_vccnz .LBB257_3
; %bb.1:
	s_cmp_lg_u64 s[8:9], 0
	s_cbranch_scc0 .LBB257_39
; %bb.2:
	v_cmp_neq_f64_e64 s3, s[40:41], 0
	v_cmp_neq_f64_e64 s4, s[42:43], 0
	s_or_b32 s3, s3, s4
.LBB257_3:
	s_delay_alu instid0(SALU_CYCLE_1)
	s_and_b32 vcc_lo, exec_lo, s3
	s_cbranch_vccz .LBB257_40
; %bb.4:
	s_load_b32 s10, s[0:1], 0x68
	s_bfe_u32 s3, ttmp6, 0x40014
	s_lshr_b32 s4, ttmp7, 16
	s_add_co_i32 s3, s3, 1
	s_bfe_u32 s6, ttmp6, 0x40008
	s_mul_i32 s5, s4, s3
	s_getreg_b32 s3, hwreg(HW_REG_IB_STS2, 6, 4)
	s_add_co_i32 s6, s6, s5
	s_cmp_eq_u32 s3, 0
	s_mov_b32 s7, 0
	s_cselect_b32 s6, s4, s6
	s_wait_kmcnt 0x0
	s_cmp_ge_u32 s6, s10
	s_cbranch_scc1 .LBB257_40
; %bb.5:
	v_and_b32_e32 v8, 0x3ff, v0
	v_bfe_u32 v1, v0, 10, 10
	s_bfe_u32 s4, ttmp6, 0x4000c
	s_bfe_u32 s11, ttmp6, 0x40010
	s_add_co_i32 s4, s4, 1
	s_and_b32 s24, ttmp7, 0xffff
	s_add_co_i32 s11, s11, 1
	v_lshl_add_u32 v9, v1, 4, v8
	s_and_b32 s5, ttmp6, 15
	s_mul_i32 s4, ttmp9, s4
	s_mul_i32 s11, s24, s11
	s_bfe_u32 s25, ttmp6, 0x40004
	s_add_co_i32 s5, s5, s4
	s_add_co_i32 s25, s25, s11
	s_cmp_eq_u32 s3, 0
	v_and_b32_e32 v16, 31, v9
	s_cselect_b32 s3, ttmp9, s5
	s_cselect_b32 s4, s24, s25
	s_lshl_b32 s3, s3, 5
	s_lshl_b32 s4, s4, 5
	s_delay_alu instid0(SALU_CYCLE_1) | instskip(SKIP_3) | instid1(VALU_DEP_4)
	v_dual_add_nc_u32 v22, s4, v1 :: v_dual_bitop2_b32 v2, s3, v16 bitop3:0x54
	v_and_b32_e32 v6, 7, v0
	v_cmp_neq_f64_e64 s5, s[40:41], 0
	v_cmp_neq_f64_e64 s24, s[42:43], 0
	v_ashrrev_i32_e32 v3, 31, v2
	v_add_nc_u32_e32 v0, 16, v22
	v_lshl_add_u32 v15, v1, 7, 0x1000
	v_ashrrev_i32_e32 v23, 31, v22
	v_cmp_neq_f64_e64 s25, s[36:37], 0
	v_mul_u64_e32 v[4:5], s[14:15], v[2:3]
	v_ashrrev_i32_e32 v1, 31, v0
	s_load_b32 s15, s[0:1], 0x0
	v_mul_u64_e32 v[10:11], s[28:29], v[22:23]
	v_dual_lshrrev_b32 v17, 3, v9 :: v_dual_lshlrev_b32 v3, 4, v6
	v_lshlrev_b32_e32 v7, 4, v8
	v_mul_u64_e32 v[12:13], s[28:29], v[0:1]
	s_delay_alu instid0(VALU_DEP_3) | instskip(SKIP_2) | instid1(VALU_DEP_2)
	v_dual_add_nc_u32 v8, s3, v8 :: v_dual_add_nc_u32 v18, s4, v17
	s_xor_b32 s14, s2, -1
	v_dual_lshrrev_b32 v14, 5, v9 :: v_dual_lshlrev_b32 v1, 4, v16
	v_cmp_le_i32_e32 vcc_lo, v8, v22
	s_delay_alu instid0(VALU_DEP_3)
	v_dual_add_nc_u32 v16, 16, v8 :: v_dual_ashrrev_i32 v19, 31, v18
	v_ashrrev_i32_e32 v9, 31, v8
	v_lshl_or_b32 v3, v17, 7, v3
	v_cmp_gt_i64_e64 s33, s[8:9], 0
	v_cmp_le_i32_e64 s4, v8, v0
	v_lshl_or_b32 v44, v14, 9, v1
	v_dual_ashrrev_i32 v17, 31, v16 :: v_dual_mov_b32 v1, 0
	s_wait_kmcnt 0x0
	v_cmp_gt_i32_e64 s2, s15, v22
	v_cmp_gt_i32_e64 s1, s15, v18
	v_lshl_add_u64 v[18:19], v[18:19], 4, s[18:19]
	s_or_b32 s18, s5, s24
	v_cmp_gt_i32_e64 s3, s15, v0
	v_cmp_le_i32_e64 s5, v16, v0
	v_cmp_gt_i32_e64 s0, s15, v2
	v_cmp_le_i32_e64 s11, s15, v2
	v_add_nc_u32_e32 v45, 0x1000, v3
	v_lshl_add_u64 v[20:21], v[4:5], 4, s[12:13]
	s_and_b32 s12, s2, vcc_lo
	v_cmp_le_i32_e32 vcc_lo, v16, v22
	s_or_b32 s14, s25, s14
	s_and_b32 s13, s18, s33
	s_and_b32 s4, s3, s4
	;; [unrolled: 1-line block ×3, first 2 shown]
	s_and_b32 s15, s2, vcc_lo
                                        ; implicit-def: $vgpr22_vgpr23
	s_branch .LBB257_7
.LBB257_6:                              ;   in Loop: Header=BB257_7 Depth=1
	s_wait_xcnt 0x0
	s_or_b32 exec_lo, exec_lo, s2
	s_add_co_i32 s6, s6, 0x10000
	s_delay_alu instid0(SALU_CYCLE_1)
	s_cmp_lt_u32 s6, s10
	s_cbranch_scc0 .LBB257_40
.LBB257_7:                              ; =>This Loop Header: Depth=1
                                        ;     Child Loop BB257_10 Depth 2
	v_mov_b64_e32 v[40:41], 0
	s_and_not1_b32 vcc_lo, exec_lo, s13
	s_cbranch_vccnz .LBB257_18
; %bb.8:                                ;   in Loop: Header=BB257_7 Depth=1
	s_mul_u64 s[2:3], s[22:23], s[6:7]
	s_mul_u64 s[18:19], s[16:17], s[6:7]
	v_mov_b64_e32 v[24:25], 0
	v_mov_b64_e32 v[26:27], 0
	v_mov_b64_e32 v[34:35], 0
	v_mov_b64_e32 v[32:33], 0
	v_mov_b64_e32 v[38:39], 0
	v_mov_b64_e32 v[36:37], 0
	v_mov_b64_e32 v[42:43], 0
	v_mov_b64_e32 v[40:41], 0
	v_lshl_add_u64 v[28:29], s[18:19], 4, v[20:21]
	v_lshl_add_u64 v[30:31], s[2:3], 4, v[18:19]
	s_mov_b64 s[2:3], 0
	s_branch .LBB257_10
.LBB257_9:                              ;   in Loop: Header=BB257_10 Depth=2
	s_wait_xcnt 0x0
	s_or_b32 exec_lo, exec_lo, s18
	ds_store_b128 v45, v[2:5]
	s_wait_dscnt 0x0
	s_barrier_signal -1
	s_barrier_wait -1
	ds_load_b128 v[2:5], v15
	ds_load_b128 v[46:49], v7
	ds_load_b128 v[50:53], v7 offset:256
	ds_load_b128 v[54:57], v15 offset:2048
	;; [unrolled: 1-line block ×10, first 2 shown]
	s_add_nc_u64 s[2:3], s[2:3], 8
	s_delay_alu instid0(SALU_CYCLE_1)
	v_cmp_gt_i64_e64 s18, s[8:9], s[2:3]
	s_and_b32 vcc_lo, exec_lo, s18
	s_wait_dscnt 0xa
	v_mul_f64_e32 v[90:91], v[4:5], v[48:49]
	v_mul_f64_e32 v[92:93], v[2:3], v[48:49]
	s_wait_dscnt 0x9
	v_mul_f64_e32 v[94:95], v[4:5], v[52:53]
	v_mul_f64_e32 v[96:97], v[2:3], v[52:53]
	s_wait_dscnt 0x8
	v_mul_f64_e32 v[98:99], v[56:57], v[48:49]
	v_mul_f64_e32 v[100:101], v[54:55], v[48:49]
	v_mul_f64_e32 v[48:49], v[56:57], v[52:53]
	v_mul_f64_e32 v[102:103], v[54:55], v[52:53]
	s_wait_dscnt 0x6
	v_mul_f64_e32 v[104:105], v[60:61], v[64:65]
	v_mul_f64_e32 v[106:107], v[58:59], v[64:65]
	s_wait_dscnt 0x5
	v_mul_f64_e32 v[108:109], v[60:61], v[68:69]
	v_mul_f64_e32 v[110:111], v[58:59], v[68:69]
	s_wait_dscnt 0x4
	v_mul_f64_e32 v[112:113], v[72:73], v[64:65]
	v_mul_f64_e32 v[64:65], v[70:71], v[64:65]
	v_mul_f64_e32 v[114:115], v[72:73], v[68:69]
	v_mul_f64_e32 v[68:69], v[70:71], v[68:69]
	;; [unrolled: 11-line block ×3, first 2 shown]
	v_fma_f64 v[90:91], v[2:3], v[46:47], -v[90:91]
	v_fmac_f64_e32 v[92:93], v[4:5], v[46:47]
	v_fma_f64 v[94:95], v[2:3], v[50:51], -v[94:95]
	v_fmac_f64_e32 v[96:97], v[4:5], v[50:51]
	;; [unrolled: 2-line block ×8, first 2 shown]
	ds_load_b128 v[2:5], v15 offset:48
	ds_load_b128 v[46:49], v15 offset:2096
	;; [unrolled: 1-line block ×4, first 2 shown]
	v_fma_f64 v[118:119], v[74:75], v[78:79], -v[118:119]
	v_fmac_f64_e32 v[120:121], v[76:77], v[78:79]
	v_fma_f64 v[74:75], v[74:75], v[82:83], -v[122:123]
	v_fmac_f64_e32 v[124:125], v[76:77], v[82:83]
	;; [unrolled: 2-line block ×4, first 2 shown]
	v_add_f64_e32 v[66:67], v[40:41], v[90:91]
	v_add_f64_e32 v[70:71], v[92:93], v[42:43]
	;; [unrolled: 1-line block ×8, first 2 shown]
	s_wait_dscnt 0x1
	v_mul_f64_e32 v[100:101], v[4:5], v[52:53]
	v_mul_f64_e32 v[102:103], v[2:3], v[52:53]
	s_wait_dscnt 0x0
	v_mul_f64_e32 v[108:109], v[4:5], v[56:57]
	v_mul_f64_e32 v[112:113], v[2:3], v[56:57]
	;; [unrolled: 1-line block ×6, first 2 shown]
	ds_load_b128 v[24:27], v15 offset:64
	ds_load_b128 v[32:35], v7 offset:2048
	;; [unrolled: 1-line block ×4, first 2 shown]
	v_add_f64_e32 v[82:83], v[66:67], v[104:105]
	v_add_f64_e32 v[86:87], v[106:107], v[70:71]
	;; [unrolled: 1-line block ×8, first 2 shown]
	s_wait_dscnt 0x2
	v_mul_f64_e32 v[98:99], v[26:27], v[34:35]
	v_mul_f64_e32 v[104:105], v[24:25], v[34:35]
	s_wait_dscnt 0x1
	v_mul_f64_e32 v[106:107], v[26:27], v[38:39]
	v_mul_f64_e32 v[110:111], v[24:25], v[38:39]
	s_wait_dscnt 0x0
	v_mul_f64_e32 v[122:123], v[42:43], v[34:35]
	v_mul_f64_e32 v[126:127], v[40:41], v[34:35]
	v_mul_f64_e32 v[34:35], v[42:43], v[38:39]
	v_mul_f64_e32 v[128:129], v[40:41], v[38:39]
	v_fma_f64 v[38:39], v[2:3], v[50:51], -v[100:101]
	v_fmac_f64_e32 v[102:103], v[4:5], v[50:51]
	v_fma_f64 v[100:101], v[2:3], v[54:55], -v[108:109]
	v_fmac_f64_e32 v[112:113], v[4:5], v[54:55]
	;; [unrolled: 2-line block ×4, first 2 shown]
	ds_load_b128 v[56:59], v15 offset:80
	ds_load_b128 v[60:63], v15 offset:2128
	ds_load_b128 v[64:67], v7 offset:2560
	ds_load_b128 v[68:71], v7 offset:2816
	v_add_f64_e32 v[54:55], v[82:83], v[118:119]
	v_add_f64_e32 v[82:83], v[120:121], v[86:87]
	;; [unrolled: 1-line block ×8, first 2 shown]
	v_fma_f64 v[98:99], v[24:25], v[32:33], -v[98:99]
	v_fmac_f64_e32 v[104:105], v[26:27], v[32:33]
	v_fma_f64 v[106:107], v[24:25], v[36:37], -v[106:107]
	s_wait_dscnt 0x1
	v_mul_f64_e32 v[90:91], v[58:59], v[66:67]
	v_mul_f64_e32 v[92:93], v[56:57], v[66:67]
	s_wait_dscnt 0x0
	v_mul_f64_e32 v[94:95], v[58:59], v[70:71]
	v_mul_f64_e32 v[96:97], v[56:57], v[70:71]
	;; [unrolled: 1-line block ×6, first 2 shown]
	v_fmac_f64_e32 v[110:111], v[26:27], v[36:37]
	v_fma_f64 v[122:123], v[40:41], v[32:33], -v[122:123]
	v_fmac_f64_e32 v[126:127], v[42:43], v[32:33]
	v_fma_f64 v[124:125], v[40:41], v[36:37], -v[34:35]
	v_fmac_f64_e32 v[128:129], v[42:43], v[36:37]
	ds_load_b128 v[2:5], v15 offset:96
	ds_load_b128 v[46:49], v7 offset:3072
	;; [unrolled: 1-line block ×4, first 2 shown]
	v_add_f64_e32 v[54:55], v[54:55], v[38:39]
	v_add_f64_e32 v[82:83], v[102:103], v[82:83]
	;; [unrolled: 1-line block ×8, first 2 shown]
	ds_load_b128 v[24:27], v15 offset:112
	ds_load_b128 v[32:35], v15 offset:2160
	;; [unrolled: 1-line block ×4, first 2 shown]
	s_wait_dscnt 0x0
	v_mul_f64_e32 v[100:101], v[4:5], v[48:49]
	v_mul_f64_e32 v[102:103], v[2:3], v[48:49]
	v_mul_f64_e32 v[108:109], v[4:5], v[52:53]
	v_mul_f64_e32 v[112:113], v[2:3], v[52:53]
	v_mul_f64_e32 v[114:115], v[74:75], v[48:49]
	v_mul_f64_e32 v[48:49], v[72:73], v[48:49]
	v_mul_f64_e32 v[116:117], v[74:75], v[52:53]
	v_mul_f64_e32 v[52:53], v[72:73], v[52:53]
	v_fma_f64 v[90:91], v[56:57], v[64:65], -v[90:91]
	v_fmac_f64_e32 v[92:93], v[58:59], v[64:65]
	v_fma_f64 v[56:57], v[56:57], v[68:69], -v[94:95]
	v_fmac_f64_e32 v[96:97], v[58:59], v[68:69]
	;; [unrolled: 2-line block ×4, first 2 shown]
	s_barrier_signal -1
	s_barrier_wait -1
	v_mul_f64_e32 v[94:95], v[24:25], v[42:43]
	v_add_f64_e32 v[54:55], v[54:55], v[98:99]
	v_add_f64_e32 v[62:63], v[104:105], v[82:83]
	v_add_f64_e32 v[64:65], v[86:87], v[106:107]
	v_add_f64_e32 v[68:69], v[110:111], v[88:89]
	v_add_f64_e32 v[76:77], v[76:77], v[122:123]
	v_add_f64_e32 v[80:81], v[126:127], v[80:81]
	v_add_f64_e32 v[78:79], v[78:79], v[124:125]
	v_add_f64_e32 v[82:83], v[128:129], v[84:85]
	v_mul_f64_e32 v[84:85], v[26:27], v[38:39]
	v_mul_f64_e32 v[86:87], v[24:25], v[38:39]
	v_mul_f64_e32 v[88:89], v[26:27], v[42:43]
	v_mul_f64_e32 v[98:99], v[34:35], v[38:39]
	v_mul_f64_e32 v[104:105], v[32:33], v[38:39]
	v_mul_f64_e32 v[38:39], v[34:35], v[42:43]
	v_mul_f64_e32 v[106:107], v[32:33], v[42:43]
	v_fma_f64 v[42:43], v[2:3], v[46:47], -v[100:101]
	v_fmac_f64_e32 v[102:103], v[4:5], v[46:47]
	v_fma_f64 v[2:3], v[2:3], v[50:51], -v[108:109]
	v_fmac_f64_e32 v[112:113], v[4:5], v[50:51]
	;; [unrolled: 2-line block ×4, first 2 shown]
	v_fmac_f64_e32 v[94:95], v[26:27], v[40:41]
	v_add_f64_e32 v[50:51], v[54:55], v[90:91]
	v_add_f64_e32 v[54:55], v[92:93], v[62:63]
	;; [unrolled: 1-line block ×8, first 2 shown]
	v_fma_f64 v[68:69], v[24:25], v[36:37], -v[84:85]
	v_fmac_f64_e32 v[86:87], v[26:27], v[36:37]
	v_fma_f64 v[24:25], v[24:25], v[40:41], -v[88:89]
	v_fma_f64 v[26:27], v[32:33], v[36:37], -v[98:99]
	v_fmac_f64_e32 v[104:105], v[34:35], v[36:37]
	v_fma_f64 v[70:71], v[32:33], v[40:41], -v[38:39]
	v_fmac_f64_e32 v[106:107], v[34:35], v[40:41]
	v_add_f64_e32 v[32:33], v[50:51], v[42:43]
	v_add_f64_e32 v[34:35], v[102:103], v[54:55]
	v_add_f64_e32 v[2:3], v[56:57], v[2:3]
	v_add_f64_e32 v[38:39], v[112:113], v[62:63]
	v_add_f64_e32 v[4:5], v[58:59], v[4:5]
	v_add_f64_e32 v[48:49], v[48:49], v[64:65]
	v_add_f64_e32 v[46:47], v[60:61], v[46:47]
	v_add_f64_e32 v[50:51], v[52:53], v[66:67]
	v_add_f64_e32 v[40:41], v[32:33], v[68:69]
	v_add_f64_e32 v[42:43], v[86:87], v[34:35]
	v_add_f64_e32 v[36:37], v[2:3], v[24:25]
	v_add_f64_e32 v[38:39], v[94:95], v[38:39]
	v_add_f64_e32 v[32:33], v[4:5], v[26:27]
	v_add_f64_e32 v[34:35], v[104:105], v[48:49]
	v_add_f64_e32 v[26:27], v[46:47], v[70:71]
	v_add_f64_e32 v[24:25], v[106:107], v[50:51]
	s_cbranch_vccz .LBB257_19
.LBB257_10:                             ;   Parent Loop BB257_7 Depth=1
                                        ; =>  This Inner Loop Header: Depth=2
	s_mov_b32 s18, 0
	s_mov_b32 s24, s11
	s_and_saveexec_b32 s19, s0
	s_cbranch_execnz .LBB257_16
; %bb.11:                               ;   in Loop: Header=BB257_10 Depth=2
	s_or_b32 exec_lo, exec_lo, s19
	s_and_saveexec_b32 s19, s24
	s_delay_alu instid0(SALU_CYCLE_1)
	s_xor_b32 s19, exec_lo, s19
	s_cbranch_execnz .LBB257_17
.LBB257_12:                             ;   in Loop: Header=BB257_10 Depth=2
	s_or_b32 exec_lo, exec_lo, s19
	s_and_saveexec_b32 s19, s18
	s_cbranch_execz .LBB257_14
.LBB257_13:                             ;   in Loop: Header=BB257_10 Depth=2
	v_lshl_add_u64 v[2:3], v[22:23], 4, v[28:29]
	global_load_b128 v[2:5], v[2:3], off
	s_wait_loadcnt 0x0
	ds_store_2addr_b64 v44, v[2:3], v[4:5] offset1:1
.LBB257_14:                             ;   in Loop: Header=BB257_10 Depth=2
	s_wait_xcnt 0x0
	s_or_b32 exec_lo, exec_lo, s19
	v_add_nc_u32_e32 v0, s2, v6
	v_mov_b64_e32 v[2:3], 0
	v_mov_b64_e32 v[4:5], 0
	s_delay_alu instid0(VALU_DEP_3) | instskip(SKIP_1) | instid1(SALU_CYCLE_1)
	v_cmp_gt_u64_e32 vcc_lo, s[8:9], v[0:1]
	s_and_b32 s19, vcc_lo, s1
	s_and_saveexec_b32 s18, s19
	s_cbranch_execz .LBB257_9
; %bb.15:                               ;   in Loop: Header=BB257_10 Depth=2
	v_mul_u64_e32 v[2:3], s[20:21], v[0:1]
	s_delay_alu instid0(VALU_DEP_1)
	v_lshl_add_u64 v[2:3], v[2:3], 4, v[30:31]
	global_load_b128 v[2:5], v[2:3], off
	s_wait_loadcnt 0x0
	v_xor_b32_e32 v5, 0x80000000, v5
	s_branch .LBB257_9
.LBB257_16:                             ;   in Loop: Header=BB257_10 Depth=2
	v_add_nc_u32_e32 v0, s2, v14
	s_and_not1_b32 s24, s11, exec_lo
	s_mov_b32 s18, exec_lo
	s_delay_alu instid0(VALU_DEP_1) | instskip(SKIP_2) | instid1(SALU_CYCLE_1)
	v_cmp_le_u64_e32 vcc_lo, s[8:9], v[0:1]
	v_mov_b64_e32 v[22:23], v[0:1]
	s_and_b32 s25, vcc_lo, exec_lo
	s_or_b32 s24, s24, s25
	s_or_b32 exec_lo, exec_lo, s19
	s_and_saveexec_b32 s19, s24
	s_delay_alu instid0(SALU_CYCLE_1)
	s_xor_b32 s19, exec_lo, s19
	s_cbranch_execz .LBB257_12
.LBB257_17:                             ;   in Loop: Header=BB257_10 Depth=2
	v_dual_mov_b32 v0, v1 :: v_dual_mov_b32 v2, v1
	v_mov_b32_e32 v3, v1
	s_and_not1_b32 s18, s18, exec_lo
	ds_store_b128 v44, v[0:3]
	s_or_b32 exec_lo, exec_lo, s19
	s_and_saveexec_b32 s19, s18
	s_cbranch_execnz .LBB257_13
	s_branch .LBB257_14
.LBB257_18:                             ;   in Loop: Header=BB257_7 Depth=1
	v_mov_b64_e32 v[42:43], 0
	v_mov_b64_e32 v[36:37], 0
	;; [unrolled: 1-line block ×7, first 2 shown]
.LBB257_19:                             ;   in Loop: Header=BB257_7 Depth=1
	s_mul_u64 s[2:3], s[30:31], s[6:7]
	s_delay_alu instid0(SALU_CYCLE_1) | instskip(NEXT) | instid1(SALU_CYCLE_1)
	s_lshl_b64 s[2:3], s[2:3], 4
	s_add_nc_u64 s[2:3], s[26:27], s[2:3]
	s_delay_alu instid0(SALU_CYCLE_1)
	v_lshl_add_u64 v[28:29], v[10:11], 4, s[2:3]
	s_and_saveexec_b32 s18, s12
	s_cbranch_execz .LBB257_24
; %bb.20:                               ;   in Loop: Header=BB257_7 Depth=1
	v_mul_f64_e32 v[2:3], s[42:43], v[42:43]
	v_mul_f64_e32 v[4:5], s[40:41], v[42:43]
	v_lshl_add_u64 v[30:31], v[8:9], 4, v[28:29]
	s_and_b32 vcc_lo, exec_lo, s14
	s_mov_b32 s19, -1
	s_delay_alu instid0(VALU_DEP_3) | instskip(NEXT) | instid1(VALU_DEP_3)
	v_fma_f64 v[2:3], s[40:41], v[40:41], -v[2:3]
	v_fmac_f64_e32 v[4:5], s[42:43], v[40:41]
	s_cbranch_vccz .LBB257_22
; %bb.21:                               ;   in Loop: Header=BB257_7 Depth=1
	global_load_b128 v[40:43], v[30:31], off
	s_mov_b32 s19, 0
	s_wait_loadcnt 0x0
	v_mul_f64_e32 v[46:47], s[38:39], v[42:43]
	v_mul_f64_e32 v[42:43], s[36:37], v[42:43]
	s_delay_alu instid0(VALU_DEP_2) | instskip(NEXT) | instid1(VALU_DEP_2)
	v_fma_f64 v[46:47], s[36:37], v[40:41], -v[46:47]
	v_fmac_f64_e32 v[42:43], s[38:39], v[40:41]
	s_delay_alu instid0(VALU_DEP_2) | instskip(NEXT) | instid1(VALU_DEP_2)
	v_add_f64_e32 v[40:41], v[2:3], v[46:47]
	v_add_f64_e32 v[42:43], v[4:5], v[42:43]
	global_store_b128 v[30:31], v[40:43], off
.LBB257_22:                             ;   in Loop: Header=BB257_7 Depth=1
	s_and_not1_b32 vcc_lo, exec_lo, s19
	s_cbranch_vccnz .LBB257_24
; %bb.23:                               ;   in Loop: Header=BB257_7 Depth=1
	global_store_b128 v[30:31], v[2:5], off
.LBB257_24:                             ;   in Loop: Header=BB257_7 Depth=1
	s_wait_xcnt 0x0
	s_or_b32 exec_lo, exec_lo, s18
	s_and_saveexec_b32 s18, s15
	s_cbranch_execz .LBB257_29
; %bb.25:                               ;   in Loop: Header=BB257_7 Depth=1
	v_mul_f64_e32 v[2:3], s[42:43], v[38:39]
	v_mul_f64_e32 v[4:5], s[40:41], v[38:39]
	v_lshl_add_u64 v[28:29], v[16:17], 4, v[28:29]
	s_and_not1_b32 vcc_lo, exec_lo, s14
	s_mov_b32 s19, -1
	s_delay_alu instid0(VALU_DEP_3) | instskip(NEXT) | instid1(VALU_DEP_3)
	v_fma_f64 v[2:3], s[40:41], v[36:37], -v[2:3]
	v_fmac_f64_e32 v[4:5], s[42:43], v[36:37]
	s_cbranch_vccnz .LBB257_27
; %bb.26:                               ;   in Loop: Header=BB257_7 Depth=1
	global_load_b128 v[36:39], v[28:29], off
	s_mov_b32 s19, 0
	s_wait_loadcnt 0x0
	v_mul_f64_e32 v[30:31], s[38:39], v[38:39]
	v_mul_f64_e32 v[38:39], s[36:37], v[38:39]
	s_delay_alu instid0(VALU_DEP_2) | instskip(NEXT) | instid1(VALU_DEP_2)
	v_fma_f64 v[30:31], s[36:37], v[36:37], -v[30:31]
	v_fmac_f64_e32 v[38:39], s[38:39], v[36:37]
	s_delay_alu instid0(VALU_DEP_2) | instskip(NEXT) | instid1(VALU_DEP_2)
	v_add_f64_e32 v[36:37], v[2:3], v[30:31]
	v_add_f64_e32 v[38:39], v[4:5], v[38:39]
	global_store_b128 v[28:29], v[36:39], off
.LBB257_27:                             ;   in Loop: Header=BB257_7 Depth=1
	s_and_not1_b32 vcc_lo, exec_lo, s19
	s_cbranch_vccnz .LBB257_29
; %bb.28:                               ;   in Loop: Header=BB257_7 Depth=1
	global_store_b128 v[28:29], v[2:5], off
.LBB257_29:                             ;   in Loop: Header=BB257_7 Depth=1
	s_wait_xcnt 0x0
	s_or_b32 exec_lo, exec_lo, s18
	v_lshl_add_u64 v[28:29], v[12:13], 4, s[2:3]
	s_and_saveexec_b32 s2, s4
	s_cbranch_execz .LBB257_34
; %bb.30:                               ;   in Loop: Header=BB257_7 Depth=1
	v_mul_f64_e32 v[2:3], s[42:43], v[34:35]
	v_mul_f64_e32 v[4:5], s[40:41], v[34:35]
	v_lshl_add_u64 v[30:31], v[8:9], 4, v[28:29]
	s_and_not1_b32 vcc_lo, exec_lo, s14
	s_mov_b32 s3, -1
	s_delay_alu instid0(VALU_DEP_3) | instskip(NEXT) | instid1(VALU_DEP_3)
	v_fma_f64 v[2:3], s[40:41], v[32:33], -v[2:3]
	v_fmac_f64_e32 v[4:5], s[42:43], v[32:33]
	s_cbranch_vccnz .LBB257_32
; %bb.31:                               ;   in Loop: Header=BB257_7 Depth=1
	global_load_b128 v[32:35], v[30:31], off
	s_mov_b32 s3, 0
	s_wait_loadcnt 0x0
	v_mul_f64_e32 v[36:37], s[38:39], v[34:35]
	v_mul_f64_e32 v[34:35], s[36:37], v[34:35]
	s_delay_alu instid0(VALU_DEP_2) | instskip(NEXT) | instid1(VALU_DEP_2)
	v_fma_f64 v[36:37], s[36:37], v[32:33], -v[36:37]
	v_fmac_f64_e32 v[34:35], s[38:39], v[32:33]
	s_delay_alu instid0(VALU_DEP_2) | instskip(NEXT) | instid1(VALU_DEP_2)
	v_add_f64_e32 v[32:33], v[2:3], v[36:37]
	v_add_f64_e32 v[34:35], v[4:5], v[34:35]
	global_store_b128 v[30:31], v[32:35], off
.LBB257_32:                             ;   in Loop: Header=BB257_7 Depth=1
	s_and_not1_b32 vcc_lo, exec_lo, s3
	s_cbranch_vccnz .LBB257_34
; %bb.33:                               ;   in Loop: Header=BB257_7 Depth=1
	global_store_b128 v[30:31], v[2:5], off
.LBB257_34:                             ;   in Loop: Header=BB257_7 Depth=1
	s_wait_xcnt 0x0
	s_or_b32 exec_lo, exec_lo, s2
	s_and_saveexec_b32 s2, s5
	s_cbranch_execz .LBB257_6
; %bb.35:                               ;   in Loop: Header=BB257_7 Depth=1
	s_delay_alu instid0(VALU_DEP_3) | instskip(SKIP_4) | instid1(VALU_DEP_3)
	v_mul_f64_e32 v[2:3], s[42:43], v[24:25]
	v_mul_f64_e32 v[4:5], s[40:41], v[24:25]
	v_lshl_add_u64 v[24:25], v[16:17], 4, v[28:29]
	s_and_not1_b32 vcc_lo, exec_lo, s14
	s_mov_b32 s3, -1
	v_fma_f64 v[2:3], s[40:41], v[26:27], -v[2:3]
	s_delay_alu instid0(VALU_DEP_3)
	v_fmac_f64_e32 v[4:5], s[42:43], v[26:27]
	s_cbranch_vccnz .LBB257_37
; %bb.36:                               ;   in Loop: Header=BB257_7 Depth=1
	global_load_b128 v[26:29], v[24:25], off
	s_mov_b32 s3, 0
	s_wait_loadcnt 0x0
	v_mul_f64_e32 v[30:31], s[38:39], v[28:29]
	v_mul_f64_e32 v[28:29], s[36:37], v[28:29]
	s_delay_alu instid0(VALU_DEP_2) | instskip(NEXT) | instid1(VALU_DEP_2)
	v_fma_f64 v[30:31], s[36:37], v[26:27], -v[30:31]
	v_fmac_f64_e32 v[28:29], s[38:39], v[26:27]
	s_delay_alu instid0(VALU_DEP_2) | instskip(NEXT) | instid1(VALU_DEP_2)
	v_add_f64_e32 v[26:27], v[2:3], v[30:31]
	v_add_f64_e32 v[28:29], v[4:5], v[28:29]
	global_store_b128 v[24:25], v[26:29], off
.LBB257_37:                             ;   in Loop: Header=BB257_7 Depth=1
	s_and_not1_b32 vcc_lo, exec_lo, s3
	s_cbranch_vccnz .LBB257_6
; %bb.38:                               ;   in Loop: Header=BB257_7 Depth=1
	global_store_b128 v[24:25], v[2:5], off
	s_branch .LBB257_6
.LBB257_39:
.LBB257_40:
	s_sendmsg sendmsg(MSG_DEALLOC_VGPRS)
	s_endpgm
	.section	.rodata,"a",@progbits
	.p2align	6, 0x0
	.amdhsa_kernel _ZL29rocblas_internal_gemmt_kernelIlLi16ELi32ELi8ELc84ELc67ELc85ELb0ELb1E19rocblas_complex_numIdEPKS1_S3_PS1_EviT_T9_T10_S5_lS7_S5_lS6_T11_S5_li
		.amdhsa_group_segment_fixed_size 8192
		.amdhsa_private_segment_fixed_size 0
		.amdhsa_kernarg_size 108
		.amdhsa_user_sgpr_count 2
		.amdhsa_user_sgpr_dispatch_ptr 0
		.amdhsa_user_sgpr_queue_ptr 0
		.amdhsa_user_sgpr_kernarg_segment_ptr 1
		.amdhsa_user_sgpr_dispatch_id 0
		.amdhsa_user_sgpr_kernarg_preload_length 0
		.amdhsa_user_sgpr_kernarg_preload_offset 0
		.amdhsa_user_sgpr_private_segment_size 0
		.amdhsa_wavefront_size32 1
		.amdhsa_uses_dynamic_stack 0
		.amdhsa_enable_private_segment 0
		.amdhsa_system_sgpr_workgroup_id_x 1
		.amdhsa_system_sgpr_workgroup_id_y 1
		.amdhsa_system_sgpr_workgroup_id_z 1
		.amdhsa_system_sgpr_workgroup_info 0
		.amdhsa_system_vgpr_workitem_id 1
		.amdhsa_next_free_vgpr 132
		.amdhsa_next_free_sgpr 44
		.amdhsa_named_barrier_count 0
		.amdhsa_reserve_vcc 1
		.amdhsa_float_round_mode_32 0
		.amdhsa_float_round_mode_16_64 0
		.amdhsa_float_denorm_mode_32 3
		.amdhsa_float_denorm_mode_16_64 3
		.amdhsa_fp16_overflow 0
		.amdhsa_memory_ordered 1
		.amdhsa_forward_progress 1
		.amdhsa_inst_pref_size 23
		.amdhsa_round_robin_scheduling 0
		.amdhsa_exception_fp_ieee_invalid_op 0
		.amdhsa_exception_fp_denorm_src 0
		.amdhsa_exception_fp_ieee_div_zero 0
		.amdhsa_exception_fp_ieee_overflow 0
		.amdhsa_exception_fp_ieee_underflow 0
		.amdhsa_exception_fp_ieee_inexact 0
		.amdhsa_exception_int_div_zero 0
	.end_amdhsa_kernel
	.section	.text._ZL29rocblas_internal_gemmt_kernelIlLi16ELi32ELi8ELc84ELc67ELc85ELb0ELb1E19rocblas_complex_numIdEPKS1_S3_PS1_EviT_T9_T10_S5_lS7_S5_lS6_T11_S5_li,"axG",@progbits,_ZL29rocblas_internal_gemmt_kernelIlLi16ELi32ELi8ELc84ELc67ELc85ELb0ELb1E19rocblas_complex_numIdEPKS1_S3_PS1_EviT_T9_T10_S5_lS7_S5_lS6_T11_S5_li,comdat
.Lfunc_end257:
	.size	_ZL29rocblas_internal_gemmt_kernelIlLi16ELi32ELi8ELc84ELc67ELc85ELb0ELb1E19rocblas_complex_numIdEPKS1_S3_PS1_EviT_T9_T10_S5_lS7_S5_lS6_T11_S5_li, .Lfunc_end257-_ZL29rocblas_internal_gemmt_kernelIlLi16ELi32ELi8ELc84ELc67ELc85ELb0ELb1E19rocblas_complex_numIdEPKS1_S3_PS1_EviT_T9_T10_S5_lS7_S5_lS6_T11_S5_li
                                        ; -- End function
	.set _ZL29rocblas_internal_gemmt_kernelIlLi16ELi32ELi8ELc84ELc67ELc85ELb0ELb1E19rocblas_complex_numIdEPKS1_S3_PS1_EviT_T9_T10_S5_lS7_S5_lS6_T11_S5_li.num_vgpr, 132
	.set _ZL29rocblas_internal_gemmt_kernelIlLi16ELi32ELi8ELc84ELc67ELc85ELb0ELb1E19rocblas_complex_numIdEPKS1_S3_PS1_EviT_T9_T10_S5_lS7_S5_lS6_T11_S5_li.num_agpr, 0
	.set _ZL29rocblas_internal_gemmt_kernelIlLi16ELi32ELi8ELc84ELc67ELc85ELb0ELb1E19rocblas_complex_numIdEPKS1_S3_PS1_EviT_T9_T10_S5_lS7_S5_lS6_T11_S5_li.numbered_sgpr, 44
	.set _ZL29rocblas_internal_gemmt_kernelIlLi16ELi32ELi8ELc84ELc67ELc85ELb0ELb1E19rocblas_complex_numIdEPKS1_S3_PS1_EviT_T9_T10_S5_lS7_S5_lS6_T11_S5_li.num_named_barrier, 0
	.set _ZL29rocblas_internal_gemmt_kernelIlLi16ELi32ELi8ELc84ELc67ELc85ELb0ELb1E19rocblas_complex_numIdEPKS1_S3_PS1_EviT_T9_T10_S5_lS7_S5_lS6_T11_S5_li.private_seg_size, 0
	.set _ZL29rocblas_internal_gemmt_kernelIlLi16ELi32ELi8ELc84ELc67ELc85ELb0ELb1E19rocblas_complex_numIdEPKS1_S3_PS1_EviT_T9_T10_S5_lS7_S5_lS6_T11_S5_li.uses_vcc, 1
	.set _ZL29rocblas_internal_gemmt_kernelIlLi16ELi32ELi8ELc84ELc67ELc85ELb0ELb1E19rocblas_complex_numIdEPKS1_S3_PS1_EviT_T9_T10_S5_lS7_S5_lS6_T11_S5_li.uses_flat_scratch, 0
	.set _ZL29rocblas_internal_gemmt_kernelIlLi16ELi32ELi8ELc84ELc67ELc85ELb0ELb1E19rocblas_complex_numIdEPKS1_S3_PS1_EviT_T9_T10_S5_lS7_S5_lS6_T11_S5_li.has_dyn_sized_stack, 0
	.set _ZL29rocblas_internal_gemmt_kernelIlLi16ELi32ELi8ELc84ELc67ELc85ELb0ELb1E19rocblas_complex_numIdEPKS1_S3_PS1_EviT_T9_T10_S5_lS7_S5_lS6_T11_S5_li.has_recursion, 0
	.set _ZL29rocblas_internal_gemmt_kernelIlLi16ELi32ELi8ELc84ELc67ELc85ELb0ELb1E19rocblas_complex_numIdEPKS1_S3_PS1_EviT_T9_T10_S5_lS7_S5_lS6_T11_S5_li.has_indirect_call, 0
	.section	.AMDGPU.csdata,"",@progbits
; Kernel info:
; codeLenInByte = 2924
; TotalNumSgprs: 46
; NumVgprs: 132
; ScratchSize: 0
; MemoryBound: 1
; FloatMode: 240
; IeeeMode: 1
; LDSByteSize: 8192 bytes/workgroup (compile time only)
; SGPRBlocks: 0
; VGPRBlocks: 8
; NumSGPRsForWavesPerEU: 46
; NumVGPRsForWavesPerEU: 132
; NamedBarCnt: 0
; Occupancy: 7
; WaveLimiterHint : 0
; COMPUTE_PGM_RSRC2:SCRATCH_EN: 0
; COMPUTE_PGM_RSRC2:USER_SGPR: 2
; COMPUTE_PGM_RSRC2:TRAP_HANDLER: 0
; COMPUTE_PGM_RSRC2:TGID_X_EN: 1
; COMPUTE_PGM_RSRC2:TGID_Y_EN: 1
; COMPUTE_PGM_RSRC2:TGID_Z_EN: 1
; COMPUTE_PGM_RSRC2:TIDIG_COMP_CNT: 1
	.section	.text._ZL29rocblas_internal_gemmt_kernelIlLi16ELi32ELi8ELc67ELc78ELc85ELb1ELb0E19rocblas_complex_numIdEPKS1_S3_PS1_EviT_T9_T10_S5_lS7_S5_lS6_T11_S5_li,"axG",@progbits,_ZL29rocblas_internal_gemmt_kernelIlLi16ELi32ELi8ELc67ELc78ELc85ELb1ELb0E19rocblas_complex_numIdEPKS1_S3_PS1_EviT_T9_T10_S5_lS7_S5_lS6_T11_S5_li,comdat
	.globl	_ZL29rocblas_internal_gemmt_kernelIlLi16ELi32ELi8ELc67ELc78ELc85ELb1ELb0E19rocblas_complex_numIdEPKS1_S3_PS1_EviT_T9_T10_S5_lS7_S5_lS6_T11_S5_li ; -- Begin function _ZL29rocblas_internal_gemmt_kernelIlLi16ELi32ELi8ELc67ELc78ELc85ELb1ELb0E19rocblas_complex_numIdEPKS1_S3_PS1_EviT_T9_T10_S5_lS7_S5_lS6_T11_S5_li
	.p2align	8
	.type	_ZL29rocblas_internal_gemmt_kernelIlLi16ELi32ELi8ELc67ELc78ELc85ELb1ELb0E19rocblas_complex_numIdEPKS1_S3_PS1_EviT_T9_T10_S5_lS7_S5_lS6_T11_S5_li,@function
_ZL29rocblas_internal_gemmt_kernelIlLi16ELi32ELi8ELc67ELc78ELc85ELb1ELb0E19rocblas_complex_numIdEPKS1_S3_PS1_EviT_T9_T10_S5_lS7_S5_lS6_T11_S5_li: ; @_ZL29rocblas_internal_gemmt_kernelIlLi16ELi32ELi8ELc67ELc78ELc85ELb1ELb0E19rocblas_complex_numIdEPKS1_S3_PS1_EviT_T9_T10_S5_lS7_S5_lS6_T11_S5_li
; %bb.0:
	s_clause 0x1
	s_load_b256 s[20:27], s[0:1], 0x48
	s_load_b512 s[4:19], s[0:1], 0x8
	s_wait_kmcnt 0x0
	s_load_b128 s[28:31], s[20:21], 0x0
	s_load_b128 s[36:39], s[6:7], 0x0
	s_wait_kmcnt 0x0
	v_cmp_eq_f64_e64 s3, s[28:29], 1.0
	v_cmp_eq_f64_e64 s2, s[30:31], 0
	s_and_b32 s3, s3, s2
	s_delay_alu instid0(SALU_CYCLE_1)
	s_and_not1_b32 vcc_lo, exec_lo, s3
	s_mov_b32 s3, -1
	s_cbranch_vccnz .LBB258_3
; %bb.1:
	s_cmp_lg_u64 s[4:5], 0
	s_cbranch_scc0 .LBB258_38
; %bb.2:
	v_cmp_neq_f64_e64 s3, s[36:37], 0
	v_cmp_neq_f64_e64 s6, s[38:39], 0
	s_or_b32 s3, s3, s6
.LBB258_3:
	s_delay_alu instid0(SALU_CYCLE_1)
	s_and_b32 vcc_lo, exec_lo, s3
	s_cbranch_vccz .LBB258_39
; %bb.4:
	s_load_b32 s20, s[0:1], 0x68
	s_bfe_u32 s3, ttmp6, 0x40014
	s_lshr_b32 s6, ttmp7, 16
	s_add_co_i32 s3, s3, 1
	s_bfe_u32 s21, ttmp6, 0x40008
	s_mul_i32 s7, s6, s3
	s_getreg_b32 s3, hwreg(HW_REG_IB_STS2, 6, 4)
	s_add_co_i32 s21, s21, s7
	s_cmp_eq_u32 s3, 0
	s_mov_b32 s7, 0
	s_cselect_b32 s6, s6, s21
	s_wait_kmcnt 0x0
	s_cmp_ge_u32 s6, s20
	s_cbranch_scc1 .LBB258_39
; %bb.5:
	v_and_b32_e32 v1, 0x3ff, v0
	v_bfe_u32 v8, v0, 10, 10
	s_bfe_u32 s33, ttmp6, 0x4000c
	s_bfe_u32 s35, ttmp6, 0x40010
	s_and_b32 s34, ttmp7, 0xffff
	s_add_co_i32 s33, s33, 1
	s_add_co_i32 s35, s35, 1
	v_lshl_add_u32 v13, v8, 4, v1
	s_and_b32 s21, ttmp6, 15
	s_mul_i32 s33, ttmp9, s33
	s_mul_i32 s35, s34, s35
	s_bfe_u32 s40, ttmp6, 0x40004
	s_add_co_i32 s21, s21, s33
	s_add_co_i32 s40, s40, s35
	s_cmp_eq_u32 s3, 0
	v_dual_lshrrev_b32 v16, 3, v13 :: v_dual_bitop2_b32 v17, 31, v13 bitop3:0x40
	s_cselect_b32 s3, ttmp9, s21
	s_cselect_b32 s21, s34, s40
	s_lshl_b32 s3, s3, 5
	s_lshl_b32 s21, s21, 5
	s_delay_alu instid0(SALU_CYCLE_1) | instskip(SKIP_1) | instid1(VALU_DEP_2)
	v_dual_add_nc_u32 v4, s21, v16 :: v_dual_bitop2_b32 v2, s3, v17 bitop3:0x54
	v_dual_lshlrev_b32 v7, 4, v1 :: v_dual_bitop2_b32 v6, 7, v0 bitop3:0x40
	v_dual_add_nc_u32 v22, s21, v8 :: v_dual_ashrrev_i32 v3, 31, v2
	s_delay_alu instid0(VALU_DEP_2) | instskip(SKIP_1) | instid1(VALU_DEP_3)
	v_dual_ashrrev_i32 v5, 31, v4 :: v_dual_lshlrev_b32 v0, 4, v6
	v_cmp_neq_f64_e64 s33, s[36:37], 0
	v_dual_add_nc_u32 v24, 16, v22 :: v_dual_ashrrev_i32 v23, 31, v22
	s_delay_alu instid0(VALU_DEP_4) | instskip(SKIP_2) | instid1(VALU_DEP_4)
	v_mul_u64_e32 v[18:19], s[10:11], v[2:3]
	v_cmp_neq_f64_e64 s10, s[28:29], 0
	v_mul_u64_e32 v[20:21], s[16:17], v[4:5]
	v_dual_ashrrev_i32 v25, 31, v24 :: v_dual_add_nc_u32 v12, s3, v1
	v_cmp_neq_f64_e64 s34, s[38:39], 0
	s_load_b32 s11, s[0:1], 0x0
	v_lshl_add_u32 v15, v8, 7, 0x1000
	v_mul_u64_e32 v[8:9], s[24:25], v[22:23]
	v_mul_u64_e32 v[10:11], s[24:25], v[24:25]
	v_lshrrev_b32_e32 v14, 5, v13
	v_lshl_or_b32 v0, v16, 7, v0
	v_add_nc_u32_e32 v16, 16, v12
	s_xor_b32 s17, s2, -1
	v_cmp_le_i32_e32 vcc_lo, v12, v22
	v_dual_lshlrev_b32 v1, 4, v17 :: v_dual_ashrrev_i32 v13, 31, v12
	s_delay_alu instid0(VALU_DEP_3) | instskip(SKIP_2) | instid1(VALU_DEP_4)
	v_cmp_le_i32_e64 s3, v16, v22
	v_cmp_gt_i64_e64 s16, s[4:5], 0
	v_add_nc_u32_e32 v43, 0x1000, v0
	v_lshl_or_b32 v42, v14, 9, v1
	v_dual_ashrrev_i32 v17, 31, v16 :: v_dual_mov_b32 v1, 0
	s_wait_kmcnt 0x0
	v_cmp_gt_i32_e64 s2, s11, v22
	v_cmp_gt_i32_e64 s1, s11, v4
	;; [unrolled: 1-line block ×3, first 2 shown]
	v_lshl_add_u64 v[18:19], v[18:19], 4, s[8:9]
	s_or_b32 s8, s10, s17
	s_and_b32 s9, s2, vcc_lo
	s_and_b32 s10, s2, s3
	v_cmp_gt_i32_e32 vcc_lo, s11, v24
	v_cmp_le_i32_e64 s2, v12, v24
	v_cmp_le_i32_e64 s3, v16, v24
	v_lshl_add_u64 v[20:21], v[20:21], 4, s[14:15]
	s_or_b32 s21, s33, s34
	s_xor_b32 s1, s1, -1
	s_and_b32 s11, s21, s16
	s_and_b32 s14, vcc_lo, s2
	s_and_b32 s15, vcc_lo, s3
	s_branch .LBB258_7
.LBB258_6:                              ;   in Loop: Header=BB258_7 Depth=1
	s_wait_xcnt 0x0
	s_or_b32 exec_lo, exec_lo, s2
	s_add_co_i32 s6, s6, 0x10000
	s_delay_alu instid0(SALU_CYCLE_1)
	s_cmp_lt_u32 s6, s20
	s_cbranch_scc0 .LBB258_39
.LBB258_7:                              ; =>This Loop Header: Depth=1
                                        ;     Child Loop BB258_10 Depth 2
	v_mov_b64_e32 v[38:39], 0
	v_mov_b64_e32 v[40:41], 0
	;; [unrolled: 1-line block ×8, first 2 shown]
	s_and_not1_b32 vcc_lo, exec_lo, s11
	s_cbranch_vccnz .LBB258_18
; %bb.8:                                ;   in Loop: Header=BB258_7 Depth=1
	s_mul_u64 s[2:3], s[18:19], s[6:7]
	s_mul_u64 s[16:17], s[12:13], s[6:7]
	v_mov_b64_e32 v[24:25], 0
	v_mov_b64_e32 v[22:23], 0
	;; [unrolled: 1-line block ×8, first 2 shown]
	v_lshl_add_u64 v[26:27], s[16:17], 4, v[18:19]
	v_lshl_add_u64 v[28:29], s[2:3], 4, v[20:21]
	s_mov_b64 s[2:3], 0
	s_branch .LBB258_10
.LBB258_9:                              ;   in Loop: Header=BB258_10 Depth=2
	s_wait_xcnt 0x0
	s_or_b32 exec_lo, exec_lo, s16
	s_wait_dscnt 0x0
	s_barrier_signal -1
	s_barrier_wait -1
	ds_load_b128 v[2:5], v15
	ds_load_b128 v[44:47], v7
	ds_load_b128 v[48:51], v7 offset:256
	ds_load_b128 v[52:55], v15 offset:2048
	;; [unrolled: 1-line block ×10, first 2 shown]
	s_add_nc_u64 s[2:3], s[2:3], 8
	s_delay_alu instid0(SALU_CYCLE_1)
	v_cmp_gt_i64_e64 s16, s[4:5], s[2:3]
	s_and_b32 vcc_lo, exec_lo, s16
	s_wait_dscnt 0xa
	v_mul_f64_e32 v[88:89], v[4:5], v[46:47]
	v_mul_f64_e32 v[90:91], v[2:3], v[46:47]
	s_wait_dscnt 0x9
	v_mul_f64_e32 v[92:93], v[4:5], v[50:51]
	v_mul_f64_e32 v[94:95], v[2:3], v[50:51]
	s_wait_dscnt 0x8
	v_mul_f64_e32 v[96:97], v[54:55], v[46:47]
	v_mul_f64_e32 v[98:99], v[52:53], v[46:47]
	v_mul_f64_e32 v[46:47], v[54:55], v[50:51]
	v_mul_f64_e32 v[100:101], v[52:53], v[50:51]
	s_wait_dscnt 0x6
	v_mul_f64_e32 v[102:103], v[58:59], v[62:63]
	v_mul_f64_e32 v[104:105], v[56:57], v[62:63]
	s_wait_dscnt 0x5
	v_mul_f64_e32 v[106:107], v[58:59], v[66:67]
	v_mul_f64_e32 v[108:109], v[56:57], v[66:67]
	s_wait_dscnt 0x4
	v_mul_f64_e32 v[110:111], v[70:71], v[62:63]
	v_mul_f64_e32 v[62:63], v[68:69], v[62:63]
	v_mul_f64_e32 v[112:113], v[70:71], v[66:67]
	v_mul_f64_e32 v[66:67], v[68:69], v[66:67]
	;; [unrolled: 11-line block ×3, first 2 shown]
	v_fma_f64 v[88:89], v[2:3], v[44:45], -v[88:89]
	v_fmac_f64_e32 v[90:91], v[4:5], v[44:45]
	v_fma_f64 v[92:93], v[2:3], v[48:49], -v[92:93]
	v_fmac_f64_e32 v[94:95], v[4:5], v[48:49]
	;; [unrolled: 2-line block ×8, first 2 shown]
	ds_load_b128 v[2:5], v15 offset:48
	ds_load_b128 v[44:47], v15 offset:2096
	;; [unrolled: 1-line block ×4, first 2 shown]
	v_fma_f64 v[116:117], v[72:73], v[76:77], -v[116:117]
	v_fmac_f64_e32 v[118:119], v[74:75], v[76:77]
	v_fma_f64 v[72:73], v[72:73], v[80:81], -v[120:121]
	v_fmac_f64_e32 v[122:123], v[74:75], v[80:81]
	;; [unrolled: 2-line block ×4, first 2 shown]
	v_add_f64_e32 v[64:65], v[38:39], v[88:89]
	v_add_f64_e32 v[68:69], v[90:91], v[40:41]
	;; [unrolled: 1-line block ×8, first 2 shown]
	s_wait_dscnt 0x1
	v_mul_f64_e32 v[98:99], v[4:5], v[50:51]
	v_mul_f64_e32 v[100:101], v[2:3], v[50:51]
	s_wait_dscnt 0x0
	v_mul_f64_e32 v[106:107], v[4:5], v[54:55]
	v_mul_f64_e32 v[110:111], v[2:3], v[54:55]
	v_mul_f64_e32 v[112:113], v[46:47], v[50:51]
	v_mul_f64_e32 v[114:115], v[44:45], v[50:51]
	v_mul_f64_e32 v[50:51], v[46:47], v[54:55]
	v_mul_f64_e32 v[128:129], v[44:45], v[54:55]
	ds_load_b128 v[22:25], v15 offset:64
	ds_load_b128 v[30:33], v7 offset:2048
	;; [unrolled: 1-line block ×4, first 2 shown]
	v_add_f64_e32 v[80:81], v[64:65], v[102:103]
	v_add_f64_e32 v[84:85], v[104:105], v[68:69]
	;; [unrolled: 1-line block ×8, first 2 shown]
	s_wait_dscnt 0x2
	v_mul_f64_e32 v[96:97], v[24:25], v[32:33]
	v_mul_f64_e32 v[102:103], v[22:23], v[32:33]
	s_wait_dscnt 0x1
	v_mul_f64_e32 v[104:105], v[24:25], v[36:37]
	v_mul_f64_e32 v[108:109], v[22:23], v[36:37]
	;; [unrolled: 3-line block ×3, first 2 shown]
	v_mul_f64_e32 v[32:33], v[40:41], v[36:37]
	v_mul_f64_e32 v[126:127], v[38:39], v[36:37]
	v_fma_f64 v[36:37], v[2:3], v[48:49], -v[98:99]
	v_fmac_f64_e32 v[100:101], v[4:5], v[48:49]
	v_fma_f64 v[98:99], v[2:3], v[52:53], -v[106:107]
	v_fmac_f64_e32 v[110:111], v[4:5], v[52:53]
	;; [unrolled: 2-line block ×4, first 2 shown]
	ds_load_b128 v[54:57], v15 offset:80
	ds_load_b128 v[58:61], v15 offset:2128
	;; [unrolled: 1-line block ×4, first 2 shown]
	v_add_f64_e32 v[52:53], v[80:81], v[116:117]
	v_add_f64_e32 v[80:81], v[118:119], v[84:85]
	;; [unrolled: 1-line block ×8, first 2 shown]
	v_fma_f64 v[96:97], v[22:23], v[30:31], -v[96:97]
	v_fmac_f64_e32 v[102:103], v[24:25], v[30:31]
	v_fma_f64 v[104:105], v[22:23], v[34:35], -v[104:105]
	s_wait_dscnt 0x1
	v_mul_f64_e32 v[88:89], v[56:57], v[64:65]
	v_mul_f64_e32 v[90:91], v[54:55], v[64:65]
	s_wait_dscnt 0x0
	v_mul_f64_e32 v[92:93], v[56:57], v[68:69]
	v_mul_f64_e32 v[94:95], v[54:55], v[68:69]
	;; [unrolled: 1-line block ×6, first 2 shown]
	v_fmac_f64_e32 v[108:109], v[24:25], v[34:35]
	v_fma_f64 v[120:121], v[38:39], v[30:31], -v[120:121]
	v_fmac_f64_e32 v[124:125], v[40:41], v[30:31]
	v_fma_f64 v[122:123], v[38:39], v[34:35], -v[32:33]
	v_fmac_f64_e32 v[126:127], v[40:41], v[34:35]
	ds_load_b128 v[2:5], v15 offset:96
	ds_load_b128 v[44:47], v7 offset:3072
	;; [unrolled: 1-line block ×4, first 2 shown]
	v_add_f64_e32 v[52:53], v[52:53], v[36:37]
	v_add_f64_e32 v[80:81], v[100:101], v[80:81]
	;; [unrolled: 1-line block ×8, first 2 shown]
	ds_load_b128 v[22:25], v15 offset:112
	ds_load_b128 v[30:33], v15 offset:2160
	;; [unrolled: 1-line block ×4, first 2 shown]
	s_wait_dscnt 0x0
	v_mul_f64_e32 v[98:99], v[4:5], v[46:47]
	v_mul_f64_e32 v[100:101], v[2:3], v[46:47]
	v_mul_f64_e32 v[106:107], v[4:5], v[50:51]
	v_mul_f64_e32 v[110:111], v[2:3], v[50:51]
	v_mul_f64_e32 v[112:113], v[72:73], v[46:47]
	v_mul_f64_e32 v[46:47], v[70:71], v[46:47]
	v_mul_f64_e32 v[114:115], v[72:73], v[50:51]
	v_mul_f64_e32 v[50:51], v[70:71], v[50:51]
	v_fma_f64 v[88:89], v[54:55], v[62:63], -v[88:89]
	v_fmac_f64_e32 v[90:91], v[56:57], v[62:63]
	v_fma_f64 v[54:55], v[54:55], v[66:67], -v[92:93]
	v_fmac_f64_e32 v[94:95], v[56:57], v[66:67]
	;; [unrolled: 2-line block ×4, first 2 shown]
	s_barrier_signal -1
	s_barrier_wait -1
	v_mul_f64_e32 v[92:93], v[22:23], v[40:41]
	v_add_f64_e32 v[52:53], v[52:53], v[96:97]
	v_add_f64_e32 v[60:61], v[102:103], v[80:81]
	;; [unrolled: 1-line block ×8, first 2 shown]
	v_mul_f64_e32 v[82:83], v[24:25], v[36:37]
	v_mul_f64_e32 v[84:85], v[22:23], v[36:37]
	;; [unrolled: 1-line block ×7, first 2 shown]
	v_fma_f64 v[40:41], v[2:3], v[44:45], -v[98:99]
	v_fmac_f64_e32 v[100:101], v[4:5], v[44:45]
	v_fma_f64 v[2:3], v[2:3], v[48:49], -v[106:107]
	v_fmac_f64_e32 v[110:111], v[4:5], v[48:49]
	;; [unrolled: 2-line block ×4, first 2 shown]
	v_fmac_f64_e32 v[92:93], v[24:25], v[38:39]
	v_add_f64_e32 v[48:49], v[52:53], v[88:89]
	v_add_f64_e32 v[52:53], v[90:91], v[60:61]
	;; [unrolled: 1-line block ×8, first 2 shown]
	v_fma_f64 v[66:67], v[22:23], v[34:35], -v[82:83]
	v_fmac_f64_e32 v[84:85], v[24:25], v[34:35]
	v_fma_f64 v[22:23], v[22:23], v[38:39], -v[86:87]
	v_fma_f64 v[24:25], v[30:31], v[34:35], -v[96:97]
	v_fmac_f64_e32 v[102:103], v[32:33], v[34:35]
	v_fma_f64 v[68:69], v[30:31], v[38:39], -v[36:37]
	v_fmac_f64_e32 v[104:105], v[32:33], v[38:39]
	v_add_f64_e32 v[30:31], v[48:49], v[40:41]
	v_add_f64_e32 v[32:33], v[100:101], v[52:53]
	;; [unrolled: 1-line block ×16, first 2 shown]
	s_cbranch_vccz .LBB258_18
.LBB258_10:                             ;   Parent Loop BB258_7 Depth=1
                                        ; =>  This Inner Loop Header: Depth=2
	v_mov_b64_e32 v[2:3], 0
	v_mov_b64_e32 v[4:5], 0
	s_and_saveexec_b32 s16, s0
	s_cbranch_execz .LBB258_14
; %bb.11:                               ;   in Loop: Header=BB258_10 Depth=2
	v_mov_b64_e32 v[4:5], 0
	v_mov_b64_e32 v[2:3], 0
	v_add_nc_u32_e32 v0, s2, v14
	s_mov_b32 s17, exec_lo
	s_delay_alu instid0(VALU_DEP_1)
	v_cmpx_gt_u64_e64 s[4:5], v[0:1]
	s_cbranch_execz .LBB258_13
; %bb.12:                               ;   in Loop: Header=BB258_10 Depth=2
	v_lshl_add_u64 v[2:3], v[0:1], 4, v[26:27]
	global_load_b128 v[2:5], v[2:3], off
	s_wait_loadcnt 0x0
	v_xor_b32_e32 v5, 0x80000000, v5
.LBB258_13:                             ;   in Loop: Header=BB258_10 Depth=2
	s_wait_xcnt 0x0
	s_or_b32 exec_lo, exec_lo, s17
.LBB258_14:                             ;   in Loop: Header=BB258_10 Depth=2
	s_delay_alu instid0(SALU_CYCLE_1) | instskip(SKIP_4) | instid1(SALU_CYCLE_1)
	s_or_b32 exec_lo, exec_lo, s16
	v_add_nc_u32_e32 v0, s2, v6
	ds_store_b128 v42, v[2:5]
	v_cmp_le_u64_e32 vcc_lo, s[4:5], v[0:1]
	s_or_b32 s16, vcc_lo, s1
	s_and_saveexec_b32 s17, s16
	s_delay_alu instid0(SALU_CYCLE_1)
	s_xor_b32 s16, exec_lo, s17
; %bb.15:                               ;   in Loop: Header=BB258_10 Depth=2
	v_dual_mov_b32 v0, v1 :: v_dual_mov_b32 v2, v1
	v_mov_b32_e32 v3, v1
	ds_store_b128 v43, v[0:3]
; %bb.16:                               ;   in Loop: Header=BB258_10 Depth=2
	s_and_not1_saveexec_b32 s16, s16
	s_cbranch_execz .LBB258_9
; %bb.17:                               ;   in Loop: Header=BB258_10 Depth=2
	v_lshl_add_u64 v[2:3], v[0:1], 4, v[28:29]
	global_load_b128 v[2:5], v[2:3], off
	s_wait_loadcnt 0x0
	ds_store_2addr_b64 v43, v[2:3], v[4:5] offset1:1
	s_branch .LBB258_9
.LBB258_18:                             ;   in Loop: Header=BB258_7 Depth=1
	s_mul_u64 s[2:3], s[26:27], s[6:7]
	s_delay_alu instid0(SALU_CYCLE_1) | instskip(NEXT) | instid1(SALU_CYCLE_1)
	s_lshl_b64 s[2:3], s[2:3], 4
	s_add_nc_u64 s[2:3], s[22:23], s[2:3]
	s_delay_alu instid0(SALU_CYCLE_1)
	v_lshl_add_u64 v[26:27], v[8:9], 4, s[2:3]
	s_and_saveexec_b32 s16, s9
	s_cbranch_execz .LBB258_23
; %bb.19:                               ;   in Loop: Header=BB258_7 Depth=1
	v_mul_f64_e32 v[2:3], s[38:39], v[40:41]
	v_mul_f64_e32 v[4:5], s[36:37], v[40:41]
	v_lshl_add_u64 v[28:29], v[12:13], 4, v[26:27]
	s_and_b32 vcc_lo, exec_lo, s8
	s_mov_b32 s17, -1
	s_delay_alu instid0(VALU_DEP_3) | instskip(NEXT) | instid1(VALU_DEP_3)
	v_fma_f64 v[2:3], s[36:37], v[38:39], -v[2:3]
	v_fmac_f64_e32 v[4:5], s[38:39], v[38:39]
	s_cbranch_vccz .LBB258_21
; %bb.20:                               ;   in Loop: Header=BB258_7 Depth=1
	global_load_b128 v[38:41], v[28:29], off
	s_mov_b32 s17, 0
	s_wait_loadcnt 0x0
	v_mul_f64_e32 v[44:45], s[30:31], v[40:41]
	v_mul_f64_e32 v[40:41], s[28:29], v[40:41]
	s_delay_alu instid0(VALU_DEP_2) | instskip(NEXT) | instid1(VALU_DEP_2)
	v_fma_f64 v[44:45], s[28:29], v[38:39], -v[44:45]
	v_fmac_f64_e32 v[40:41], s[30:31], v[38:39]
	s_delay_alu instid0(VALU_DEP_2) | instskip(NEXT) | instid1(VALU_DEP_2)
	v_add_f64_e32 v[38:39], v[2:3], v[44:45]
	v_add_f64_e32 v[40:41], v[4:5], v[40:41]
	global_store_b128 v[28:29], v[38:41], off
.LBB258_21:                             ;   in Loop: Header=BB258_7 Depth=1
	s_and_not1_b32 vcc_lo, exec_lo, s17
	s_cbranch_vccnz .LBB258_23
; %bb.22:                               ;   in Loop: Header=BB258_7 Depth=1
	global_store_b128 v[28:29], v[2:5], off
.LBB258_23:                             ;   in Loop: Header=BB258_7 Depth=1
	s_wait_xcnt 0x0
	s_or_b32 exec_lo, exec_lo, s16
	s_and_saveexec_b32 s16, s10
	s_cbranch_execz .LBB258_28
; %bb.24:                               ;   in Loop: Header=BB258_7 Depth=1
	v_mul_f64_e32 v[2:3], s[38:39], v[36:37]
	v_mul_f64_e32 v[4:5], s[36:37], v[36:37]
	v_lshl_add_u64 v[26:27], v[16:17], 4, v[26:27]
	s_and_not1_b32 vcc_lo, exec_lo, s8
	s_mov_b32 s17, -1
	s_delay_alu instid0(VALU_DEP_3) | instskip(NEXT) | instid1(VALU_DEP_3)
	v_fma_f64 v[2:3], s[36:37], v[34:35], -v[2:3]
	v_fmac_f64_e32 v[4:5], s[38:39], v[34:35]
	s_cbranch_vccnz .LBB258_26
; %bb.25:                               ;   in Loop: Header=BB258_7 Depth=1
	global_load_b128 v[34:37], v[26:27], off
	s_mov_b32 s17, 0
	s_wait_loadcnt 0x0
	v_mul_f64_e32 v[28:29], s[30:31], v[36:37]
	v_mul_f64_e32 v[36:37], s[28:29], v[36:37]
	s_delay_alu instid0(VALU_DEP_2) | instskip(NEXT) | instid1(VALU_DEP_2)
	v_fma_f64 v[28:29], s[28:29], v[34:35], -v[28:29]
	v_fmac_f64_e32 v[36:37], s[30:31], v[34:35]
	s_delay_alu instid0(VALU_DEP_2) | instskip(NEXT) | instid1(VALU_DEP_2)
	v_add_f64_e32 v[34:35], v[2:3], v[28:29]
	v_add_f64_e32 v[36:37], v[4:5], v[36:37]
	global_store_b128 v[26:27], v[34:37], off
.LBB258_26:                             ;   in Loop: Header=BB258_7 Depth=1
	s_and_not1_b32 vcc_lo, exec_lo, s17
	s_cbranch_vccnz .LBB258_28
; %bb.27:                               ;   in Loop: Header=BB258_7 Depth=1
	global_store_b128 v[26:27], v[2:5], off
.LBB258_28:                             ;   in Loop: Header=BB258_7 Depth=1
	s_wait_xcnt 0x0
	s_or_b32 exec_lo, exec_lo, s16
	v_lshl_add_u64 v[26:27], v[10:11], 4, s[2:3]
	s_and_saveexec_b32 s2, s14
	s_cbranch_execz .LBB258_33
; %bb.29:                               ;   in Loop: Header=BB258_7 Depth=1
	v_mul_f64_e32 v[2:3], s[38:39], v[32:33]
	v_mul_f64_e32 v[4:5], s[36:37], v[32:33]
	v_lshl_add_u64 v[28:29], v[12:13], 4, v[26:27]
	s_and_not1_b32 vcc_lo, exec_lo, s8
	s_mov_b32 s3, -1
	s_delay_alu instid0(VALU_DEP_3) | instskip(NEXT) | instid1(VALU_DEP_3)
	v_fma_f64 v[2:3], s[36:37], v[30:31], -v[2:3]
	v_fmac_f64_e32 v[4:5], s[38:39], v[30:31]
	s_cbranch_vccnz .LBB258_31
; %bb.30:                               ;   in Loop: Header=BB258_7 Depth=1
	global_load_b128 v[30:33], v[28:29], off
	s_mov_b32 s3, 0
	s_wait_loadcnt 0x0
	v_mul_f64_e32 v[34:35], s[30:31], v[32:33]
	v_mul_f64_e32 v[32:33], s[28:29], v[32:33]
	s_delay_alu instid0(VALU_DEP_2) | instskip(NEXT) | instid1(VALU_DEP_2)
	v_fma_f64 v[34:35], s[28:29], v[30:31], -v[34:35]
	v_fmac_f64_e32 v[32:33], s[30:31], v[30:31]
	s_delay_alu instid0(VALU_DEP_2) | instskip(NEXT) | instid1(VALU_DEP_2)
	v_add_f64_e32 v[30:31], v[2:3], v[34:35]
	v_add_f64_e32 v[32:33], v[4:5], v[32:33]
	global_store_b128 v[28:29], v[30:33], off
.LBB258_31:                             ;   in Loop: Header=BB258_7 Depth=1
	s_and_not1_b32 vcc_lo, exec_lo, s3
	s_cbranch_vccnz .LBB258_33
; %bb.32:                               ;   in Loop: Header=BB258_7 Depth=1
	global_store_b128 v[28:29], v[2:5], off
.LBB258_33:                             ;   in Loop: Header=BB258_7 Depth=1
	s_wait_xcnt 0x0
	s_or_b32 exec_lo, exec_lo, s2
	s_and_saveexec_b32 s2, s15
	s_cbranch_execz .LBB258_6
; %bb.34:                               ;   in Loop: Header=BB258_7 Depth=1
	s_delay_alu instid0(VALU_DEP_3) | instskip(SKIP_3) | instid1(VALU_DEP_2)
	v_mul_f64_e32 v[2:3], s[38:39], v[24:25]
	v_mul_f64_e32 v[4:5], s[36:37], v[24:25]
	s_and_not1_b32 vcc_lo, exec_lo, s8
	s_mov_b32 s3, -1
	v_fma_f64 v[2:3], s[36:37], v[22:23], -v[2:3]
	s_delay_alu instid0(VALU_DEP_2)
	v_fmac_f64_e32 v[4:5], s[38:39], v[22:23]
	v_lshl_add_u64 v[22:23], v[16:17], 4, v[26:27]
	s_cbranch_vccnz .LBB258_36
; %bb.35:                               ;   in Loop: Header=BB258_7 Depth=1
	global_load_b128 v[24:27], v[22:23], off
	s_mov_b32 s3, 0
	s_wait_loadcnt 0x0
	v_mul_f64_e32 v[28:29], s[30:31], v[26:27]
	v_mul_f64_e32 v[26:27], s[28:29], v[26:27]
	s_delay_alu instid0(VALU_DEP_2) | instskip(NEXT) | instid1(VALU_DEP_2)
	v_fma_f64 v[28:29], s[28:29], v[24:25], -v[28:29]
	v_fmac_f64_e32 v[26:27], s[30:31], v[24:25]
	s_delay_alu instid0(VALU_DEP_2) | instskip(NEXT) | instid1(VALU_DEP_2)
	v_add_f64_e32 v[24:25], v[2:3], v[28:29]
	v_add_f64_e32 v[26:27], v[4:5], v[26:27]
	global_store_b128 v[22:23], v[24:27], off
.LBB258_36:                             ;   in Loop: Header=BB258_7 Depth=1
	s_and_not1_b32 vcc_lo, exec_lo, s3
	s_cbranch_vccnz .LBB258_6
; %bb.37:                               ;   in Loop: Header=BB258_7 Depth=1
	global_store_b128 v[22:23], v[2:5], off
	s_branch .LBB258_6
.LBB258_38:
.LBB258_39:
	s_sendmsg sendmsg(MSG_DEALLOC_VGPRS)
	s_endpgm
	.section	.rodata,"a",@progbits
	.p2align	6, 0x0
	.amdhsa_kernel _ZL29rocblas_internal_gemmt_kernelIlLi16ELi32ELi8ELc67ELc78ELc85ELb1ELb0E19rocblas_complex_numIdEPKS1_S3_PS1_EviT_T9_T10_S5_lS7_S5_lS6_T11_S5_li
		.amdhsa_group_segment_fixed_size 8192
		.amdhsa_private_segment_fixed_size 0
		.amdhsa_kernarg_size 108
		.amdhsa_user_sgpr_count 2
		.amdhsa_user_sgpr_dispatch_ptr 0
		.amdhsa_user_sgpr_queue_ptr 0
		.amdhsa_user_sgpr_kernarg_segment_ptr 1
		.amdhsa_user_sgpr_dispatch_id 0
		.amdhsa_user_sgpr_kernarg_preload_length 0
		.amdhsa_user_sgpr_kernarg_preload_offset 0
		.amdhsa_user_sgpr_private_segment_size 0
		.amdhsa_wavefront_size32 1
		.amdhsa_uses_dynamic_stack 0
		.amdhsa_enable_private_segment 0
		.amdhsa_system_sgpr_workgroup_id_x 1
		.amdhsa_system_sgpr_workgroup_id_y 1
		.amdhsa_system_sgpr_workgroup_id_z 1
		.amdhsa_system_sgpr_workgroup_info 0
		.amdhsa_system_vgpr_workitem_id 1
		.amdhsa_next_free_vgpr 130
		.amdhsa_next_free_sgpr 41
		.amdhsa_named_barrier_count 0
		.amdhsa_reserve_vcc 1
		.amdhsa_float_round_mode_32 0
		.amdhsa_float_round_mode_16_64 0
		.amdhsa_float_denorm_mode_32 3
		.amdhsa_float_denorm_mode_16_64 3
		.amdhsa_fp16_overflow 0
		.amdhsa_memory_ordered 1
		.amdhsa_forward_progress 1
		.amdhsa_inst_pref_size 23
		.amdhsa_round_robin_scheduling 0
		.amdhsa_exception_fp_ieee_invalid_op 0
		.amdhsa_exception_fp_denorm_src 0
		.amdhsa_exception_fp_ieee_div_zero 0
		.amdhsa_exception_fp_ieee_overflow 0
		.amdhsa_exception_fp_ieee_underflow 0
		.amdhsa_exception_fp_ieee_inexact 0
		.amdhsa_exception_int_div_zero 0
	.end_amdhsa_kernel
	.section	.text._ZL29rocblas_internal_gemmt_kernelIlLi16ELi32ELi8ELc67ELc78ELc85ELb1ELb0E19rocblas_complex_numIdEPKS1_S3_PS1_EviT_T9_T10_S5_lS7_S5_lS6_T11_S5_li,"axG",@progbits,_ZL29rocblas_internal_gemmt_kernelIlLi16ELi32ELi8ELc67ELc78ELc85ELb1ELb0E19rocblas_complex_numIdEPKS1_S3_PS1_EviT_T9_T10_S5_lS7_S5_lS6_T11_S5_li,comdat
.Lfunc_end258:
	.size	_ZL29rocblas_internal_gemmt_kernelIlLi16ELi32ELi8ELc67ELc78ELc85ELb1ELb0E19rocblas_complex_numIdEPKS1_S3_PS1_EviT_T9_T10_S5_lS7_S5_lS6_T11_S5_li, .Lfunc_end258-_ZL29rocblas_internal_gemmt_kernelIlLi16ELi32ELi8ELc67ELc78ELc85ELb1ELb0E19rocblas_complex_numIdEPKS1_S3_PS1_EviT_T9_T10_S5_lS7_S5_lS6_T11_S5_li
                                        ; -- End function
	.set _ZL29rocblas_internal_gemmt_kernelIlLi16ELi32ELi8ELc67ELc78ELc85ELb1ELb0E19rocblas_complex_numIdEPKS1_S3_PS1_EviT_T9_T10_S5_lS7_S5_lS6_T11_S5_li.num_vgpr, 130
	.set _ZL29rocblas_internal_gemmt_kernelIlLi16ELi32ELi8ELc67ELc78ELc85ELb1ELb0E19rocblas_complex_numIdEPKS1_S3_PS1_EviT_T9_T10_S5_lS7_S5_lS6_T11_S5_li.num_agpr, 0
	.set _ZL29rocblas_internal_gemmt_kernelIlLi16ELi32ELi8ELc67ELc78ELc85ELb1ELb0E19rocblas_complex_numIdEPKS1_S3_PS1_EviT_T9_T10_S5_lS7_S5_lS6_T11_S5_li.numbered_sgpr, 41
	.set _ZL29rocblas_internal_gemmt_kernelIlLi16ELi32ELi8ELc67ELc78ELc85ELb1ELb0E19rocblas_complex_numIdEPKS1_S3_PS1_EviT_T9_T10_S5_lS7_S5_lS6_T11_S5_li.num_named_barrier, 0
	.set _ZL29rocblas_internal_gemmt_kernelIlLi16ELi32ELi8ELc67ELc78ELc85ELb1ELb0E19rocblas_complex_numIdEPKS1_S3_PS1_EviT_T9_T10_S5_lS7_S5_lS6_T11_S5_li.private_seg_size, 0
	.set _ZL29rocblas_internal_gemmt_kernelIlLi16ELi32ELi8ELc67ELc78ELc85ELb1ELb0E19rocblas_complex_numIdEPKS1_S3_PS1_EviT_T9_T10_S5_lS7_S5_lS6_T11_S5_li.uses_vcc, 1
	.set _ZL29rocblas_internal_gemmt_kernelIlLi16ELi32ELi8ELc67ELc78ELc85ELb1ELb0E19rocblas_complex_numIdEPKS1_S3_PS1_EviT_T9_T10_S5_lS7_S5_lS6_T11_S5_li.uses_flat_scratch, 0
	.set _ZL29rocblas_internal_gemmt_kernelIlLi16ELi32ELi8ELc67ELc78ELc85ELb1ELb0E19rocblas_complex_numIdEPKS1_S3_PS1_EviT_T9_T10_S5_lS7_S5_lS6_T11_S5_li.has_dyn_sized_stack, 0
	.set _ZL29rocblas_internal_gemmt_kernelIlLi16ELi32ELi8ELc67ELc78ELc85ELb1ELb0E19rocblas_complex_numIdEPKS1_S3_PS1_EviT_T9_T10_S5_lS7_S5_lS6_T11_S5_li.has_recursion, 0
	.set _ZL29rocblas_internal_gemmt_kernelIlLi16ELi32ELi8ELc67ELc78ELc85ELb1ELb0E19rocblas_complex_numIdEPKS1_S3_PS1_EviT_T9_T10_S5_lS7_S5_lS6_T11_S5_li.has_indirect_call, 0
	.section	.AMDGPU.csdata,"",@progbits
; Kernel info:
; codeLenInByte = 2868
; TotalNumSgprs: 43
; NumVgprs: 130
; ScratchSize: 0
; MemoryBound: 1
; FloatMode: 240
; IeeeMode: 1
; LDSByteSize: 8192 bytes/workgroup (compile time only)
; SGPRBlocks: 0
; VGPRBlocks: 8
; NumSGPRsForWavesPerEU: 43
; NumVGPRsForWavesPerEU: 130
; NamedBarCnt: 0
; Occupancy: 7
; WaveLimiterHint : 0
; COMPUTE_PGM_RSRC2:SCRATCH_EN: 0
; COMPUTE_PGM_RSRC2:USER_SGPR: 2
; COMPUTE_PGM_RSRC2:TRAP_HANDLER: 0
; COMPUTE_PGM_RSRC2:TGID_X_EN: 1
; COMPUTE_PGM_RSRC2:TGID_Y_EN: 1
; COMPUTE_PGM_RSRC2:TGID_Z_EN: 1
; COMPUTE_PGM_RSRC2:TIDIG_COMP_CNT: 1
	.section	.text._ZL29rocblas_internal_gemmt_kernelIlLi16ELi32ELi8ELc67ELc84ELc85ELb1ELb0E19rocblas_complex_numIdEPKS1_S3_PS1_EviT_T9_T10_S5_lS7_S5_lS6_T11_S5_li,"axG",@progbits,_ZL29rocblas_internal_gemmt_kernelIlLi16ELi32ELi8ELc67ELc84ELc85ELb1ELb0E19rocblas_complex_numIdEPKS1_S3_PS1_EviT_T9_T10_S5_lS7_S5_lS6_T11_S5_li,comdat
	.globl	_ZL29rocblas_internal_gemmt_kernelIlLi16ELi32ELi8ELc67ELc84ELc85ELb1ELb0E19rocblas_complex_numIdEPKS1_S3_PS1_EviT_T9_T10_S5_lS7_S5_lS6_T11_S5_li ; -- Begin function _ZL29rocblas_internal_gemmt_kernelIlLi16ELi32ELi8ELc67ELc84ELc85ELb1ELb0E19rocblas_complex_numIdEPKS1_S3_PS1_EviT_T9_T10_S5_lS7_S5_lS6_T11_S5_li
	.p2align	8
	.type	_ZL29rocblas_internal_gemmt_kernelIlLi16ELi32ELi8ELc67ELc84ELc85ELb1ELb0E19rocblas_complex_numIdEPKS1_S3_PS1_EviT_T9_T10_S5_lS7_S5_lS6_T11_S5_li,@function
_ZL29rocblas_internal_gemmt_kernelIlLi16ELi32ELi8ELc67ELc84ELc85ELb1ELb0E19rocblas_complex_numIdEPKS1_S3_PS1_EviT_T9_T10_S5_lS7_S5_lS6_T11_S5_li: ; @_ZL29rocblas_internal_gemmt_kernelIlLi16ELi32ELi8ELc67ELc84ELc85ELb1ELb0E19rocblas_complex_numIdEPKS1_S3_PS1_EviT_T9_T10_S5_lS7_S5_lS6_T11_S5_li
; %bb.0:
	s_clause 0x1
	s_load_b256 s[20:27], s[0:1], 0x48
	s_load_b512 s[4:19], s[0:1], 0x8
	s_wait_kmcnt 0x0
	s_load_b128 s[28:31], s[20:21], 0x0
	s_load_b128 s[36:39], s[6:7], 0x0
	s_wait_kmcnt 0x0
	v_cmp_eq_f64_e64 s3, s[28:29], 1.0
	v_cmp_eq_f64_e64 s2, s[30:31], 0
	s_and_b32 s3, s3, s2
	s_delay_alu instid0(SALU_CYCLE_1)
	s_and_not1_b32 vcc_lo, exec_lo, s3
	s_mov_b32 s3, -1
	s_cbranch_vccnz .LBB259_3
; %bb.1:
	s_cmp_lg_u64 s[4:5], 0
	s_cbranch_scc0 .LBB259_38
; %bb.2:
	v_cmp_neq_f64_e64 s3, s[36:37], 0
	v_cmp_neq_f64_e64 s6, s[38:39], 0
	s_or_b32 s3, s3, s6
.LBB259_3:
	s_delay_alu instid0(SALU_CYCLE_1)
	s_and_b32 vcc_lo, exec_lo, s3
	s_cbranch_vccz .LBB259_39
; %bb.4:
	s_load_b32 s20, s[0:1], 0x68
	s_bfe_u32 s3, ttmp6, 0x40014
	s_lshr_b32 s6, ttmp7, 16
	s_add_co_i32 s3, s3, 1
	s_bfe_u32 s21, ttmp6, 0x40008
	s_mul_i32 s7, s6, s3
	s_getreg_b32 s3, hwreg(HW_REG_IB_STS2, 6, 4)
	s_add_co_i32 s21, s21, s7
	s_cmp_eq_u32 s3, 0
	s_mov_b32 s7, 0
	s_cselect_b32 s6, s6, s21
	s_wait_kmcnt 0x0
	s_cmp_ge_u32 s6, s20
	s_cbranch_scc1 .LBB259_39
; %bb.5:
	v_and_b32_e32 v8, 0x3ff, v0
	v_bfe_u32 v1, v0, 10, 10
	s_bfe_u32 s21, ttmp6, 0x4000c
	s_bfe_u32 s34, ttmp6, 0x40010
	s_add_co_i32 s21, s21, 1
	s_and_b32 s35, ttmp7, 0xffff
	s_add_co_i32 s34, s34, 1
	v_lshl_add_u32 v9, v1, 4, v8
	s_and_b32 s33, ttmp6, 15
	s_mul_i32 s21, ttmp9, s21
	s_mul_i32 s34, s35, s34
	s_bfe_u32 s40, ttmp6, 0x40004
	s_add_co_i32 s33, s33, s21
	s_add_co_i32 s40, s40, s34
	s_cmp_eq_u32 s3, 0
	v_and_b32_e32 v16, 31, v9
	s_cselect_b32 s3, ttmp9, s33
	s_cselect_b32 s21, s35, s40
	s_lshl_b32 s3, s3, 5
	s_lshl_b32 s21, s21, 5
	s_delay_alu instid0(SALU_CYCLE_1) | instskip(SKIP_3) | instid1(VALU_DEP_4)
	v_dual_add_nc_u32 v18, s21, v1 :: v_dual_bitop2_b32 v2, s3, v16 bitop3:0x54
	v_and_b32_e32 v6, 7, v0
	v_lshl_add_u32 v15, v1, 7, 0x1000
	v_cmp_neq_f64_e64 s33, s[36:37], 0
	v_ashrrev_i32_e32 v3, 31, v2
	v_dual_add_nc_u32 v0, 16, v18 :: v_dual_ashrrev_i32 v19, 31, v18
	v_cmp_neq_f64_e64 s34, s[38:39], 0
	v_cmp_neq_f64_e64 s35, s[28:29], 0
	s_delay_alu instid0(VALU_DEP_4) | instskip(NEXT) | instid1(VALU_DEP_4)
	v_mul_u64_e32 v[4:5], s[10:11], v[2:3]
	v_ashrrev_i32_e32 v1, 31, v0
	s_load_b32 s11, s[0:1], 0x0
	v_mul_u64_e32 v[10:11], s[24:25], v[18:19]
	v_dual_lshlrev_b32 v3, 4, v6 :: v_dual_lshlrev_b32 v7, 4, v8
	s_delay_alu instid0(VALU_DEP_3) | instskip(SKIP_3) | instid1(VALU_DEP_2)
	v_mul_u64_e32 v[12:13], s[24:25], v[0:1]
	v_dual_lshrrev_b32 v17, 3, v9 :: v_dual_add_nc_u32 v8, s3, v8
	v_dual_lshrrev_b32 v14, 5, v9 :: v_dual_lshlrev_b32 v1, 4, v16
	s_xor_b32 s10, s2, -1
	v_dual_add_nc_u32 v20, s21, v17 :: v_dual_add_nc_u32 v16, 16, v8
	v_cmp_le_i32_e32 vcc_lo, v8, v18
	v_lshl_or_b32 v3, v17, 7, v3
	v_cmp_gt_i64_e64 s40, s[4:5], 0
	s_delay_alu instid0(VALU_DEP_4)
	v_ashrrev_i32_e32 v21, 31, v20
	v_cmp_le_i32_e64 s3, v16, v18
	v_lshl_or_b32 v42, v14, 9, v1
	v_mov_b32_e32 v1, 0
	v_add_nc_u32_e32 v43, 0x1000, v3
	s_wait_kmcnt 0x0
	v_cmp_gt_i32_e64 s2, s11, v18
	v_cmp_gt_i32_e64 s1, s11, v20
	v_lshl_add_u64 v[18:19], v[20:21], 4, s[14:15]
	v_cmp_gt_i32_e64 s0, s11, v2
	v_ashrrev_i32_e32 v9, 31, v8
	v_ashrrev_i32_e32 v17, 31, v16
	s_xor_b32 s1, s1, -1
	s_or_b32 s14, s33, s34
	s_or_b32 s10, s35, s10
	v_lshl_add_u64 v[20:21], v[4:5], 4, s[8:9]
	s_and_b32 s8, s2, vcc_lo
	s_and_b32 s9, s2, s3
	v_cmp_gt_i32_e32 vcc_lo, s11, v0
	v_cmp_le_i32_e64 s2, v8, v0
	v_cmp_le_i32_e64 s3, v16, v0
	s_and_b32 s11, s14, s40
	s_and_b32 s14, vcc_lo, s2
	s_and_b32 s15, vcc_lo, s3
	s_branch .LBB259_7
.LBB259_6:                              ;   in Loop: Header=BB259_7 Depth=1
	s_wait_xcnt 0x0
	s_or_b32 exec_lo, exec_lo, s2
	s_add_co_i32 s6, s6, 0x10000
	s_delay_alu instid0(SALU_CYCLE_1)
	s_cmp_lt_u32 s6, s20
	s_cbranch_scc0 .LBB259_39
.LBB259_7:                              ; =>This Loop Header: Depth=1
                                        ;     Child Loop BB259_10 Depth 2
	v_mov_b64_e32 v[38:39], 0
	v_mov_b64_e32 v[40:41], 0
	;; [unrolled: 1-line block ×8, first 2 shown]
	s_and_not1_b32 vcc_lo, exec_lo, s11
	s_cbranch_vccnz .LBB259_18
; %bb.8:                                ;   in Loop: Header=BB259_7 Depth=1
	s_mul_u64 s[2:3], s[18:19], s[6:7]
	s_mul_u64 s[24:25], s[12:13], s[6:7]
	v_mov_b64_e32 v[24:25], 0
	v_mov_b64_e32 v[22:23], 0
	;; [unrolled: 1-line block ×8, first 2 shown]
	v_lshl_add_u64 v[26:27], s[24:25], 4, v[20:21]
	v_lshl_add_u64 v[28:29], s[2:3], 4, v[18:19]
	s_mov_b64 s[2:3], 0
	s_branch .LBB259_10
.LBB259_9:                              ;   in Loop: Header=BB259_10 Depth=2
	s_wait_xcnt 0x0
	s_or_b32 exec_lo, exec_lo, s21
	s_wait_dscnt 0x0
	s_barrier_signal -1
	s_barrier_wait -1
	ds_load_b128 v[2:5], v15
	ds_load_b128 v[44:47], v7
	ds_load_b128 v[48:51], v7 offset:256
	ds_load_b128 v[52:55], v15 offset:2048
	;; [unrolled: 1-line block ×10, first 2 shown]
	s_add_nc_u64 s[2:3], s[2:3], 8
	s_delay_alu instid0(SALU_CYCLE_1)
	v_cmp_gt_i64_e64 s21, s[4:5], s[2:3]
	s_and_b32 vcc_lo, exec_lo, s21
	s_wait_dscnt 0xa
	v_mul_f64_e32 v[88:89], v[4:5], v[46:47]
	v_mul_f64_e32 v[90:91], v[2:3], v[46:47]
	s_wait_dscnt 0x9
	v_mul_f64_e32 v[92:93], v[4:5], v[50:51]
	v_mul_f64_e32 v[94:95], v[2:3], v[50:51]
	s_wait_dscnt 0x8
	v_mul_f64_e32 v[96:97], v[54:55], v[46:47]
	v_mul_f64_e32 v[98:99], v[52:53], v[46:47]
	v_mul_f64_e32 v[46:47], v[54:55], v[50:51]
	v_mul_f64_e32 v[100:101], v[52:53], v[50:51]
	s_wait_dscnt 0x6
	v_mul_f64_e32 v[102:103], v[58:59], v[62:63]
	v_mul_f64_e32 v[104:105], v[56:57], v[62:63]
	s_wait_dscnt 0x5
	v_mul_f64_e32 v[106:107], v[58:59], v[66:67]
	v_mul_f64_e32 v[108:109], v[56:57], v[66:67]
	s_wait_dscnt 0x4
	v_mul_f64_e32 v[110:111], v[70:71], v[62:63]
	v_mul_f64_e32 v[62:63], v[68:69], v[62:63]
	v_mul_f64_e32 v[112:113], v[70:71], v[66:67]
	v_mul_f64_e32 v[66:67], v[68:69], v[66:67]
	;; [unrolled: 11-line block ×3, first 2 shown]
	v_fma_f64 v[88:89], v[2:3], v[44:45], -v[88:89]
	v_fmac_f64_e32 v[90:91], v[4:5], v[44:45]
	v_fma_f64 v[92:93], v[2:3], v[48:49], -v[92:93]
	v_fmac_f64_e32 v[94:95], v[4:5], v[48:49]
	;; [unrolled: 2-line block ×8, first 2 shown]
	ds_load_b128 v[2:5], v15 offset:48
	ds_load_b128 v[44:47], v15 offset:2096
	;; [unrolled: 1-line block ×4, first 2 shown]
	v_fma_f64 v[116:117], v[72:73], v[76:77], -v[116:117]
	v_fmac_f64_e32 v[118:119], v[74:75], v[76:77]
	v_fma_f64 v[72:73], v[72:73], v[80:81], -v[120:121]
	v_fmac_f64_e32 v[122:123], v[74:75], v[80:81]
	v_fma_f64 v[74:75], v[84:85], v[76:77], -v[124:125]
	v_fmac_f64_e32 v[78:79], v[86:87], v[76:77]
	v_fma_f64 v[76:77], v[84:85], v[80:81], -v[126:127]
	v_fmac_f64_e32 v[82:83], v[86:87], v[80:81]
	v_add_f64_e32 v[64:65], v[38:39], v[88:89]
	v_add_f64_e32 v[68:69], v[90:91], v[40:41]
	;; [unrolled: 1-line block ×8, first 2 shown]
	s_wait_dscnt 0x1
	v_mul_f64_e32 v[98:99], v[4:5], v[50:51]
	v_mul_f64_e32 v[100:101], v[2:3], v[50:51]
	s_wait_dscnt 0x0
	v_mul_f64_e32 v[106:107], v[4:5], v[54:55]
	v_mul_f64_e32 v[110:111], v[2:3], v[54:55]
	;; [unrolled: 1-line block ×6, first 2 shown]
	ds_load_b128 v[22:25], v15 offset:64
	ds_load_b128 v[30:33], v7 offset:2048
	;; [unrolled: 1-line block ×4, first 2 shown]
	v_add_f64_e32 v[80:81], v[64:65], v[102:103]
	v_add_f64_e32 v[84:85], v[104:105], v[68:69]
	;; [unrolled: 1-line block ×8, first 2 shown]
	s_wait_dscnt 0x2
	v_mul_f64_e32 v[96:97], v[24:25], v[32:33]
	v_mul_f64_e32 v[102:103], v[22:23], v[32:33]
	s_wait_dscnt 0x1
	v_mul_f64_e32 v[104:105], v[24:25], v[36:37]
	v_mul_f64_e32 v[108:109], v[22:23], v[36:37]
	;; [unrolled: 3-line block ×3, first 2 shown]
	v_mul_f64_e32 v[32:33], v[40:41], v[36:37]
	v_mul_f64_e32 v[126:127], v[38:39], v[36:37]
	v_fma_f64 v[36:37], v[2:3], v[48:49], -v[98:99]
	v_fmac_f64_e32 v[100:101], v[4:5], v[48:49]
	v_fma_f64 v[98:99], v[2:3], v[52:53], -v[106:107]
	v_fmac_f64_e32 v[110:111], v[4:5], v[52:53]
	;; [unrolled: 2-line block ×4, first 2 shown]
	ds_load_b128 v[54:57], v15 offset:80
	ds_load_b128 v[58:61], v15 offset:2128
	;; [unrolled: 1-line block ×4, first 2 shown]
	v_add_f64_e32 v[52:53], v[80:81], v[116:117]
	v_add_f64_e32 v[80:81], v[118:119], v[84:85]
	;; [unrolled: 1-line block ×8, first 2 shown]
	v_fma_f64 v[96:97], v[22:23], v[30:31], -v[96:97]
	v_fmac_f64_e32 v[102:103], v[24:25], v[30:31]
	v_fma_f64 v[104:105], v[22:23], v[34:35], -v[104:105]
	s_wait_dscnt 0x1
	v_mul_f64_e32 v[88:89], v[56:57], v[64:65]
	v_mul_f64_e32 v[90:91], v[54:55], v[64:65]
	s_wait_dscnt 0x0
	v_mul_f64_e32 v[92:93], v[56:57], v[68:69]
	v_mul_f64_e32 v[94:95], v[54:55], v[68:69]
	;; [unrolled: 1-line block ×6, first 2 shown]
	v_fmac_f64_e32 v[108:109], v[24:25], v[34:35]
	v_fma_f64 v[120:121], v[38:39], v[30:31], -v[120:121]
	v_fmac_f64_e32 v[124:125], v[40:41], v[30:31]
	v_fma_f64 v[122:123], v[38:39], v[34:35], -v[32:33]
	v_fmac_f64_e32 v[126:127], v[40:41], v[34:35]
	ds_load_b128 v[2:5], v15 offset:96
	ds_load_b128 v[44:47], v7 offset:3072
	;; [unrolled: 1-line block ×4, first 2 shown]
	v_add_f64_e32 v[52:53], v[52:53], v[36:37]
	v_add_f64_e32 v[80:81], v[100:101], v[80:81]
	;; [unrolled: 1-line block ×8, first 2 shown]
	ds_load_b128 v[22:25], v15 offset:112
	ds_load_b128 v[30:33], v15 offset:2160
	ds_load_b128 v[34:37], v7 offset:3584
	ds_load_b128 v[38:41], v7 offset:3840
	s_wait_dscnt 0x0
	v_mul_f64_e32 v[98:99], v[4:5], v[46:47]
	v_mul_f64_e32 v[100:101], v[2:3], v[46:47]
	;; [unrolled: 1-line block ×8, first 2 shown]
	v_fma_f64 v[88:89], v[54:55], v[62:63], -v[88:89]
	v_fmac_f64_e32 v[90:91], v[56:57], v[62:63]
	v_fma_f64 v[54:55], v[54:55], v[66:67], -v[92:93]
	v_fmac_f64_e32 v[94:95], v[56:57], v[66:67]
	;; [unrolled: 2-line block ×4, first 2 shown]
	s_barrier_signal -1
	s_barrier_wait -1
	v_mul_f64_e32 v[92:93], v[22:23], v[40:41]
	v_add_f64_e32 v[52:53], v[52:53], v[96:97]
	v_add_f64_e32 v[60:61], v[102:103], v[80:81]
	;; [unrolled: 1-line block ×8, first 2 shown]
	v_mul_f64_e32 v[82:83], v[24:25], v[36:37]
	v_mul_f64_e32 v[84:85], v[22:23], v[36:37]
	;; [unrolled: 1-line block ×7, first 2 shown]
	v_fma_f64 v[40:41], v[2:3], v[44:45], -v[98:99]
	v_fmac_f64_e32 v[100:101], v[4:5], v[44:45]
	v_fma_f64 v[2:3], v[2:3], v[48:49], -v[106:107]
	v_fmac_f64_e32 v[110:111], v[4:5], v[48:49]
	;; [unrolled: 2-line block ×4, first 2 shown]
	v_fmac_f64_e32 v[92:93], v[24:25], v[38:39]
	v_add_f64_e32 v[48:49], v[52:53], v[88:89]
	v_add_f64_e32 v[52:53], v[90:91], v[60:61]
	;; [unrolled: 1-line block ×8, first 2 shown]
	v_fma_f64 v[66:67], v[22:23], v[34:35], -v[82:83]
	v_fmac_f64_e32 v[84:85], v[24:25], v[34:35]
	v_fma_f64 v[22:23], v[22:23], v[38:39], -v[86:87]
	v_fma_f64 v[24:25], v[30:31], v[34:35], -v[96:97]
	v_fmac_f64_e32 v[102:103], v[32:33], v[34:35]
	v_fma_f64 v[68:69], v[30:31], v[38:39], -v[36:37]
	v_fmac_f64_e32 v[104:105], v[32:33], v[38:39]
	v_add_f64_e32 v[30:31], v[48:49], v[40:41]
	v_add_f64_e32 v[32:33], v[100:101], v[52:53]
	;; [unrolled: 1-line block ×16, first 2 shown]
	s_cbranch_vccz .LBB259_18
.LBB259_10:                             ;   Parent Loop BB259_7 Depth=1
                                        ; =>  This Inner Loop Header: Depth=2
	v_mov_b64_e32 v[2:3], 0
	v_mov_b64_e32 v[4:5], 0
	s_and_saveexec_b32 s21, s0
	s_cbranch_execz .LBB259_14
; %bb.11:                               ;   in Loop: Header=BB259_10 Depth=2
	v_mov_b64_e32 v[4:5], 0
	v_mov_b64_e32 v[2:3], 0
	v_add_nc_u32_e32 v0, s2, v14
	s_mov_b32 s24, exec_lo
	s_delay_alu instid0(VALU_DEP_1)
	v_cmpx_gt_u64_e64 s[4:5], v[0:1]
	s_cbranch_execz .LBB259_13
; %bb.12:                               ;   in Loop: Header=BB259_10 Depth=2
	v_lshl_add_u64 v[2:3], v[0:1], 4, v[26:27]
	global_load_b128 v[2:5], v[2:3], off
	s_wait_loadcnt 0x0
	v_xor_b32_e32 v5, 0x80000000, v5
.LBB259_13:                             ;   in Loop: Header=BB259_10 Depth=2
	s_wait_xcnt 0x0
	s_or_b32 exec_lo, exec_lo, s24
.LBB259_14:                             ;   in Loop: Header=BB259_10 Depth=2
	s_delay_alu instid0(SALU_CYCLE_1) | instskip(SKIP_4) | instid1(SALU_CYCLE_1)
	s_or_b32 exec_lo, exec_lo, s21
	v_add_nc_u32_e32 v0, s2, v6
	ds_store_b128 v42, v[2:5]
	v_cmp_le_u64_e32 vcc_lo, s[4:5], v[0:1]
	s_or_b32 s21, vcc_lo, s1
	s_and_saveexec_b32 s24, s21
	s_delay_alu instid0(SALU_CYCLE_1)
	s_xor_b32 s21, exec_lo, s24
; %bb.15:                               ;   in Loop: Header=BB259_10 Depth=2
	v_dual_mov_b32 v0, v1 :: v_dual_mov_b32 v2, v1
	v_mov_b32_e32 v3, v1
	ds_store_b128 v43, v[0:3]
; %bb.16:                               ;   in Loop: Header=BB259_10 Depth=2
	s_and_not1_saveexec_b32 s21, s21
	s_cbranch_execz .LBB259_9
; %bb.17:                               ;   in Loop: Header=BB259_10 Depth=2
	v_mul_u64_e32 v[2:3], s[16:17], v[0:1]
	s_delay_alu instid0(VALU_DEP_1)
	v_lshl_add_u64 v[2:3], v[2:3], 4, v[28:29]
	global_load_b128 v[2:5], v[2:3], off
	s_wait_loadcnt 0x0
	ds_store_2addr_b64 v43, v[2:3], v[4:5] offset1:1
	s_branch .LBB259_9
.LBB259_18:                             ;   in Loop: Header=BB259_7 Depth=1
	s_mul_u64 s[2:3], s[26:27], s[6:7]
	s_delay_alu instid0(SALU_CYCLE_1) | instskip(NEXT) | instid1(SALU_CYCLE_1)
	s_lshl_b64 s[2:3], s[2:3], 4
	s_add_nc_u64 s[2:3], s[22:23], s[2:3]
	s_delay_alu instid0(SALU_CYCLE_1)
	v_lshl_add_u64 v[26:27], v[10:11], 4, s[2:3]
	s_and_saveexec_b32 s21, s8
	s_cbranch_execz .LBB259_23
; %bb.19:                               ;   in Loop: Header=BB259_7 Depth=1
	v_mul_f64_e32 v[2:3], s[38:39], v[40:41]
	v_mul_f64_e32 v[4:5], s[36:37], v[40:41]
	v_lshl_add_u64 v[28:29], v[8:9], 4, v[26:27]
	s_and_b32 vcc_lo, exec_lo, s10
	s_mov_b32 s24, -1
	s_delay_alu instid0(VALU_DEP_3) | instskip(NEXT) | instid1(VALU_DEP_3)
	v_fma_f64 v[2:3], s[36:37], v[38:39], -v[2:3]
	v_fmac_f64_e32 v[4:5], s[38:39], v[38:39]
	s_cbranch_vccz .LBB259_21
; %bb.20:                               ;   in Loop: Header=BB259_7 Depth=1
	global_load_b128 v[38:41], v[28:29], off
	s_mov_b32 s24, 0
	s_wait_loadcnt 0x0
	v_mul_f64_e32 v[44:45], s[30:31], v[40:41]
	v_mul_f64_e32 v[40:41], s[28:29], v[40:41]
	s_delay_alu instid0(VALU_DEP_2) | instskip(NEXT) | instid1(VALU_DEP_2)
	v_fma_f64 v[44:45], s[28:29], v[38:39], -v[44:45]
	v_fmac_f64_e32 v[40:41], s[30:31], v[38:39]
	s_delay_alu instid0(VALU_DEP_2) | instskip(NEXT) | instid1(VALU_DEP_2)
	v_add_f64_e32 v[38:39], v[2:3], v[44:45]
	v_add_f64_e32 v[40:41], v[4:5], v[40:41]
	global_store_b128 v[28:29], v[38:41], off
.LBB259_21:                             ;   in Loop: Header=BB259_7 Depth=1
	s_and_not1_b32 vcc_lo, exec_lo, s24
	s_cbranch_vccnz .LBB259_23
; %bb.22:                               ;   in Loop: Header=BB259_7 Depth=1
	global_store_b128 v[28:29], v[2:5], off
.LBB259_23:                             ;   in Loop: Header=BB259_7 Depth=1
	s_wait_xcnt 0x0
	s_or_b32 exec_lo, exec_lo, s21
	s_and_saveexec_b32 s21, s9
	s_cbranch_execz .LBB259_28
; %bb.24:                               ;   in Loop: Header=BB259_7 Depth=1
	v_mul_f64_e32 v[2:3], s[38:39], v[36:37]
	v_mul_f64_e32 v[4:5], s[36:37], v[36:37]
	v_lshl_add_u64 v[26:27], v[16:17], 4, v[26:27]
	s_and_not1_b32 vcc_lo, exec_lo, s10
	s_mov_b32 s24, -1
	s_delay_alu instid0(VALU_DEP_3) | instskip(NEXT) | instid1(VALU_DEP_3)
	v_fma_f64 v[2:3], s[36:37], v[34:35], -v[2:3]
	v_fmac_f64_e32 v[4:5], s[38:39], v[34:35]
	s_cbranch_vccnz .LBB259_26
; %bb.25:                               ;   in Loop: Header=BB259_7 Depth=1
	global_load_b128 v[34:37], v[26:27], off
	s_mov_b32 s24, 0
	s_wait_loadcnt 0x0
	v_mul_f64_e32 v[28:29], s[30:31], v[36:37]
	v_mul_f64_e32 v[36:37], s[28:29], v[36:37]
	s_delay_alu instid0(VALU_DEP_2) | instskip(NEXT) | instid1(VALU_DEP_2)
	v_fma_f64 v[28:29], s[28:29], v[34:35], -v[28:29]
	v_fmac_f64_e32 v[36:37], s[30:31], v[34:35]
	s_delay_alu instid0(VALU_DEP_2) | instskip(NEXT) | instid1(VALU_DEP_2)
	v_add_f64_e32 v[34:35], v[2:3], v[28:29]
	v_add_f64_e32 v[36:37], v[4:5], v[36:37]
	global_store_b128 v[26:27], v[34:37], off
.LBB259_26:                             ;   in Loop: Header=BB259_7 Depth=1
	s_and_not1_b32 vcc_lo, exec_lo, s24
	s_cbranch_vccnz .LBB259_28
; %bb.27:                               ;   in Loop: Header=BB259_7 Depth=1
	global_store_b128 v[26:27], v[2:5], off
.LBB259_28:                             ;   in Loop: Header=BB259_7 Depth=1
	s_wait_xcnt 0x0
	s_or_b32 exec_lo, exec_lo, s21
	v_lshl_add_u64 v[26:27], v[12:13], 4, s[2:3]
	s_and_saveexec_b32 s2, s14
	s_cbranch_execz .LBB259_33
; %bb.29:                               ;   in Loop: Header=BB259_7 Depth=1
	v_mul_f64_e32 v[2:3], s[38:39], v[32:33]
	v_mul_f64_e32 v[4:5], s[36:37], v[32:33]
	v_lshl_add_u64 v[28:29], v[8:9], 4, v[26:27]
	s_and_not1_b32 vcc_lo, exec_lo, s10
	s_mov_b32 s3, -1
	s_delay_alu instid0(VALU_DEP_3) | instskip(NEXT) | instid1(VALU_DEP_3)
	v_fma_f64 v[2:3], s[36:37], v[30:31], -v[2:3]
	v_fmac_f64_e32 v[4:5], s[38:39], v[30:31]
	s_cbranch_vccnz .LBB259_31
; %bb.30:                               ;   in Loop: Header=BB259_7 Depth=1
	global_load_b128 v[30:33], v[28:29], off
	s_mov_b32 s3, 0
	s_wait_loadcnt 0x0
	v_mul_f64_e32 v[34:35], s[30:31], v[32:33]
	v_mul_f64_e32 v[32:33], s[28:29], v[32:33]
	s_delay_alu instid0(VALU_DEP_2) | instskip(NEXT) | instid1(VALU_DEP_2)
	v_fma_f64 v[34:35], s[28:29], v[30:31], -v[34:35]
	v_fmac_f64_e32 v[32:33], s[30:31], v[30:31]
	s_delay_alu instid0(VALU_DEP_2) | instskip(NEXT) | instid1(VALU_DEP_2)
	v_add_f64_e32 v[30:31], v[2:3], v[34:35]
	v_add_f64_e32 v[32:33], v[4:5], v[32:33]
	global_store_b128 v[28:29], v[30:33], off
.LBB259_31:                             ;   in Loop: Header=BB259_7 Depth=1
	s_and_not1_b32 vcc_lo, exec_lo, s3
	s_cbranch_vccnz .LBB259_33
; %bb.32:                               ;   in Loop: Header=BB259_7 Depth=1
	global_store_b128 v[28:29], v[2:5], off
.LBB259_33:                             ;   in Loop: Header=BB259_7 Depth=1
	s_wait_xcnt 0x0
	s_or_b32 exec_lo, exec_lo, s2
	s_and_saveexec_b32 s2, s15
	s_cbranch_execz .LBB259_6
; %bb.34:                               ;   in Loop: Header=BB259_7 Depth=1
	s_delay_alu instid0(VALU_DEP_3) | instskip(SKIP_3) | instid1(VALU_DEP_2)
	v_mul_f64_e32 v[2:3], s[38:39], v[24:25]
	v_mul_f64_e32 v[4:5], s[36:37], v[24:25]
	s_and_not1_b32 vcc_lo, exec_lo, s10
	s_mov_b32 s3, -1
	v_fma_f64 v[2:3], s[36:37], v[22:23], -v[2:3]
	s_delay_alu instid0(VALU_DEP_2)
	v_fmac_f64_e32 v[4:5], s[38:39], v[22:23]
	v_lshl_add_u64 v[22:23], v[16:17], 4, v[26:27]
	s_cbranch_vccnz .LBB259_36
; %bb.35:                               ;   in Loop: Header=BB259_7 Depth=1
	global_load_b128 v[24:27], v[22:23], off
	s_mov_b32 s3, 0
	s_wait_loadcnt 0x0
	v_mul_f64_e32 v[28:29], s[30:31], v[26:27]
	v_mul_f64_e32 v[26:27], s[28:29], v[26:27]
	s_delay_alu instid0(VALU_DEP_2) | instskip(NEXT) | instid1(VALU_DEP_2)
	v_fma_f64 v[28:29], s[28:29], v[24:25], -v[28:29]
	v_fmac_f64_e32 v[26:27], s[30:31], v[24:25]
	s_delay_alu instid0(VALU_DEP_2) | instskip(NEXT) | instid1(VALU_DEP_2)
	v_add_f64_e32 v[24:25], v[2:3], v[28:29]
	v_add_f64_e32 v[26:27], v[4:5], v[26:27]
	global_store_b128 v[22:23], v[24:27], off
.LBB259_36:                             ;   in Loop: Header=BB259_7 Depth=1
	s_and_not1_b32 vcc_lo, exec_lo, s3
	s_cbranch_vccnz .LBB259_6
; %bb.37:                               ;   in Loop: Header=BB259_7 Depth=1
	global_store_b128 v[22:23], v[2:5], off
	s_branch .LBB259_6
.LBB259_38:
.LBB259_39:
	s_sendmsg sendmsg(MSG_DEALLOC_VGPRS)
	s_endpgm
	.section	.rodata,"a",@progbits
	.p2align	6, 0x0
	.amdhsa_kernel _ZL29rocblas_internal_gemmt_kernelIlLi16ELi32ELi8ELc67ELc84ELc85ELb1ELb0E19rocblas_complex_numIdEPKS1_S3_PS1_EviT_T9_T10_S5_lS7_S5_lS6_T11_S5_li
		.amdhsa_group_segment_fixed_size 8192
		.amdhsa_private_segment_fixed_size 0
		.amdhsa_kernarg_size 108
		.amdhsa_user_sgpr_count 2
		.amdhsa_user_sgpr_dispatch_ptr 0
		.amdhsa_user_sgpr_queue_ptr 0
		.amdhsa_user_sgpr_kernarg_segment_ptr 1
		.amdhsa_user_sgpr_dispatch_id 0
		.amdhsa_user_sgpr_kernarg_preload_length 0
		.amdhsa_user_sgpr_kernarg_preload_offset 0
		.amdhsa_user_sgpr_private_segment_size 0
		.amdhsa_wavefront_size32 1
		.amdhsa_uses_dynamic_stack 0
		.amdhsa_enable_private_segment 0
		.amdhsa_system_sgpr_workgroup_id_x 1
		.amdhsa_system_sgpr_workgroup_id_y 1
		.amdhsa_system_sgpr_workgroup_id_z 1
		.amdhsa_system_sgpr_workgroup_info 0
		.amdhsa_system_vgpr_workitem_id 1
		.amdhsa_next_free_vgpr 130
		.amdhsa_next_free_sgpr 41
		.amdhsa_named_barrier_count 0
		.amdhsa_reserve_vcc 1
		.amdhsa_float_round_mode_32 0
		.amdhsa_float_round_mode_16_64 0
		.amdhsa_float_denorm_mode_32 3
		.amdhsa_float_denorm_mode_16_64 3
		.amdhsa_fp16_overflow 0
		.amdhsa_memory_ordered 1
		.amdhsa_forward_progress 1
		.amdhsa_inst_pref_size 23
		.amdhsa_round_robin_scheduling 0
		.amdhsa_exception_fp_ieee_invalid_op 0
		.amdhsa_exception_fp_denorm_src 0
		.amdhsa_exception_fp_ieee_div_zero 0
		.amdhsa_exception_fp_ieee_overflow 0
		.amdhsa_exception_fp_ieee_underflow 0
		.amdhsa_exception_fp_ieee_inexact 0
		.amdhsa_exception_int_div_zero 0
	.end_amdhsa_kernel
	.section	.text._ZL29rocblas_internal_gemmt_kernelIlLi16ELi32ELi8ELc67ELc84ELc85ELb1ELb0E19rocblas_complex_numIdEPKS1_S3_PS1_EviT_T9_T10_S5_lS7_S5_lS6_T11_S5_li,"axG",@progbits,_ZL29rocblas_internal_gemmt_kernelIlLi16ELi32ELi8ELc67ELc84ELc85ELb1ELb0E19rocblas_complex_numIdEPKS1_S3_PS1_EviT_T9_T10_S5_lS7_S5_lS6_T11_S5_li,comdat
.Lfunc_end259:
	.size	_ZL29rocblas_internal_gemmt_kernelIlLi16ELi32ELi8ELc67ELc84ELc85ELb1ELb0E19rocblas_complex_numIdEPKS1_S3_PS1_EviT_T9_T10_S5_lS7_S5_lS6_T11_S5_li, .Lfunc_end259-_ZL29rocblas_internal_gemmt_kernelIlLi16ELi32ELi8ELc67ELc84ELc85ELb1ELb0E19rocblas_complex_numIdEPKS1_S3_PS1_EviT_T9_T10_S5_lS7_S5_lS6_T11_S5_li
                                        ; -- End function
	.set _ZL29rocblas_internal_gemmt_kernelIlLi16ELi32ELi8ELc67ELc84ELc85ELb1ELb0E19rocblas_complex_numIdEPKS1_S3_PS1_EviT_T9_T10_S5_lS7_S5_lS6_T11_S5_li.num_vgpr, 130
	.set _ZL29rocblas_internal_gemmt_kernelIlLi16ELi32ELi8ELc67ELc84ELc85ELb1ELb0E19rocblas_complex_numIdEPKS1_S3_PS1_EviT_T9_T10_S5_lS7_S5_lS6_T11_S5_li.num_agpr, 0
	.set _ZL29rocblas_internal_gemmt_kernelIlLi16ELi32ELi8ELc67ELc84ELc85ELb1ELb0E19rocblas_complex_numIdEPKS1_S3_PS1_EviT_T9_T10_S5_lS7_S5_lS6_T11_S5_li.numbered_sgpr, 41
	.set _ZL29rocblas_internal_gemmt_kernelIlLi16ELi32ELi8ELc67ELc84ELc85ELb1ELb0E19rocblas_complex_numIdEPKS1_S3_PS1_EviT_T9_T10_S5_lS7_S5_lS6_T11_S5_li.num_named_barrier, 0
	.set _ZL29rocblas_internal_gemmt_kernelIlLi16ELi32ELi8ELc67ELc84ELc85ELb1ELb0E19rocblas_complex_numIdEPKS1_S3_PS1_EviT_T9_T10_S5_lS7_S5_lS6_T11_S5_li.private_seg_size, 0
	.set _ZL29rocblas_internal_gemmt_kernelIlLi16ELi32ELi8ELc67ELc84ELc85ELb1ELb0E19rocblas_complex_numIdEPKS1_S3_PS1_EviT_T9_T10_S5_lS7_S5_lS6_T11_S5_li.uses_vcc, 1
	.set _ZL29rocblas_internal_gemmt_kernelIlLi16ELi32ELi8ELc67ELc84ELc85ELb1ELb0E19rocblas_complex_numIdEPKS1_S3_PS1_EviT_T9_T10_S5_lS7_S5_lS6_T11_S5_li.uses_flat_scratch, 0
	.set _ZL29rocblas_internal_gemmt_kernelIlLi16ELi32ELi8ELc67ELc84ELc85ELb1ELb0E19rocblas_complex_numIdEPKS1_S3_PS1_EviT_T9_T10_S5_lS7_S5_lS6_T11_S5_li.has_dyn_sized_stack, 0
	.set _ZL29rocblas_internal_gemmt_kernelIlLi16ELi32ELi8ELc67ELc84ELc85ELb1ELb0E19rocblas_complex_numIdEPKS1_S3_PS1_EviT_T9_T10_S5_lS7_S5_lS6_T11_S5_li.has_recursion, 0
	.set _ZL29rocblas_internal_gemmt_kernelIlLi16ELi32ELi8ELc67ELc84ELc85ELb1ELb0E19rocblas_complex_numIdEPKS1_S3_PS1_EviT_T9_T10_S5_lS7_S5_lS6_T11_S5_li.has_indirect_call, 0
	.section	.AMDGPU.csdata,"",@progbits
; Kernel info:
; codeLenInByte = 2860
; TotalNumSgprs: 43
; NumVgprs: 130
; ScratchSize: 0
; MemoryBound: 1
; FloatMode: 240
; IeeeMode: 1
; LDSByteSize: 8192 bytes/workgroup (compile time only)
; SGPRBlocks: 0
; VGPRBlocks: 8
; NumSGPRsForWavesPerEU: 43
; NumVGPRsForWavesPerEU: 130
; NamedBarCnt: 0
; Occupancy: 7
; WaveLimiterHint : 0
; COMPUTE_PGM_RSRC2:SCRATCH_EN: 0
; COMPUTE_PGM_RSRC2:USER_SGPR: 2
; COMPUTE_PGM_RSRC2:TRAP_HANDLER: 0
; COMPUTE_PGM_RSRC2:TGID_X_EN: 1
; COMPUTE_PGM_RSRC2:TGID_Y_EN: 1
; COMPUTE_PGM_RSRC2:TGID_Z_EN: 1
; COMPUTE_PGM_RSRC2:TIDIG_COMP_CNT: 1
	.section	.text._ZL29rocblas_internal_gemmt_kernelIlLi16ELi32ELi8ELc67ELc67ELc85ELb1ELb1E19rocblas_complex_numIdEPKS1_S3_PS1_EviT_T9_T10_S5_lS7_S5_lS6_T11_S5_li,"axG",@progbits,_ZL29rocblas_internal_gemmt_kernelIlLi16ELi32ELi8ELc67ELc67ELc85ELb1ELb1E19rocblas_complex_numIdEPKS1_S3_PS1_EviT_T9_T10_S5_lS7_S5_lS6_T11_S5_li,comdat
	.globl	_ZL29rocblas_internal_gemmt_kernelIlLi16ELi32ELi8ELc67ELc67ELc85ELb1ELb1E19rocblas_complex_numIdEPKS1_S3_PS1_EviT_T9_T10_S5_lS7_S5_lS6_T11_S5_li ; -- Begin function _ZL29rocblas_internal_gemmt_kernelIlLi16ELi32ELi8ELc67ELc67ELc85ELb1ELb1E19rocblas_complex_numIdEPKS1_S3_PS1_EviT_T9_T10_S5_lS7_S5_lS6_T11_S5_li
	.p2align	8
	.type	_ZL29rocblas_internal_gemmt_kernelIlLi16ELi32ELi8ELc67ELc67ELc85ELb1ELb1E19rocblas_complex_numIdEPKS1_S3_PS1_EviT_T9_T10_S5_lS7_S5_lS6_T11_S5_li,@function
_ZL29rocblas_internal_gemmt_kernelIlLi16ELi32ELi8ELc67ELc67ELc85ELb1ELb1E19rocblas_complex_numIdEPKS1_S3_PS1_EviT_T9_T10_S5_lS7_S5_lS6_T11_S5_li: ; @_ZL29rocblas_internal_gemmt_kernelIlLi16ELi32ELi8ELc67ELc67ELc85ELb1ELb1E19rocblas_complex_numIdEPKS1_S3_PS1_EviT_T9_T10_S5_lS7_S5_lS6_T11_S5_li
; %bb.0:
	s_clause 0x1
	s_load_b256 s[24:31], s[0:1], 0x48
	s_load_b512 s[8:23], s[0:1], 0x8
	s_wait_kmcnt 0x0
	s_load_b128 s[36:39], s[24:25], 0x0
	s_load_b128 s[40:43], s[10:11], 0x0
	s_wait_kmcnt 0x0
	v_cmp_eq_f64_e64 s3, s[36:37], 1.0
	v_cmp_eq_f64_e64 s2, s[38:39], 0
	s_and_b32 s3, s3, s2
	s_delay_alu instid0(SALU_CYCLE_1)
	s_and_not1_b32 vcc_lo, exec_lo, s3
	s_mov_b32 s3, -1
	s_cbranch_vccnz .LBB260_3
; %bb.1:
	s_cmp_lg_u64 s[8:9], 0
	s_cbranch_scc0 .LBB260_36
; %bb.2:
	v_cmp_neq_f64_e64 s3, s[40:41], 0
	v_cmp_neq_f64_e64 s4, s[42:43], 0
	s_or_b32 s3, s3, s4
.LBB260_3:
	s_delay_alu instid0(SALU_CYCLE_1)
	s_and_b32 vcc_lo, exec_lo, s3
	s_cbranch_vccz .LBB260_37
; %bb.4:
	s_load_b32 s10, s[0:1], 0x68
	s_bfe_u32 s3, ttmp6, 0x40014
	s_lshr_b32 s4, ttmp7, 16
	s_add_co_i32 s3, s3, 1
	s_bfe_u32 s6, ttmp6, 0x40008
	s_mul_i32 s5, s4, s3
	s_getreg_b32 s3, hwreg(HW_REG_IB_STS2, 6, 4)
	s_add_co_i32 s6, s6, s5
	s_cmp_eq_u32 s3, 0
	s_mov_b32 s7, 0
	s_cselect_b32 s6, s4, s6
	s_wait_kmcnt 0x0
	s_cmp_ge_u32 s6, s10
	s_cbranch_scc1 .LBB260_37
; %bb.5:
	v_and_b32_e32 v14, 0x3ff, v0
	v_bfe_u32 v10, v0, 10, 10
	s_bfe_u32 s4, ttmp6, 0x4000c
	s_bfe_u32 s11, ttmp6, 0x40010
	s_add_co_i32 s4, s4, 1
	s_and_b32 s24, ttmp7, 0xffff
	s_add_co_i32 s11, s11, 1
	v_lshl_add_u32 v15, v10, 4, v14
	s_and_b32 s5, ttmp6, 15
	s_mul_i32 s4, ttmp9, s4
	s_mul_i32 s11, s24, s11
	s_bfe_u32 s25, ttmp6, 0x40004
	s_add_co_i32 s5, s5, s4
	s_add_co_i32 s25, s25, s11
	s_cmp_eq_u32 s3, 0
	v_and_b32_e32 v18, 31, v15
	s_cselect_b32 s3, ttmp9, s5
	s_cselect_b32 s4, s24, s25
	s_lshl_b32 s3, s3, 5
	s_lshl_b32 s4, s4, 5
	s_delay_alu instid0(SALU_CYCLE_1) | instskip(SKIP_4) | instid1(VALU_DEP_4)
	v_dual_add_nc_u32 v4, s4, v10 :: v_dual_bitop2_b32 v8, 7, v0 bitop3:0x40
	v_or_b32_e32 v2, s3, v18
	v_cmp_neq_f64_e64 s5, s[40:41], 0
	v_cmp_neq_f64_e64 s24, s[42:43], 0
	;; [unrolled: 1-line block ×3, first 2 shown]
	v_dual_add_nc_u32 v0, 16, v4 :: v_dual_ashrrev_i32 v3, 31, v2
	v_dual_ashrrev_i32 v5, 31, v4 :: v_dual_lshrrev_b32 v19, 3, v15
	s_delay_alu instid0(VALU_DEP_2) | instskip(SKIP_1) | instid1(VALU_DEP_4)
	v_dual_lshlrev_b32 v9, 4, v14 :: v_dual_ashrrev_i32 v1, 31, v0
	v_add_nc_u32_e32 v14, s3, v14
	v_mul_u64_e32 v[6:7], s[14:15], v[2:3]
	s_load_b32 s15, s[0:1], 0x0
	v_lshlrev_b32_e32 v3, 4, v8
	v_lshl_add_u32 v17, v10, 7, 0x1000
	v_mul_u64_e32 v[10:11], s[28:29], v[4:5]
	v_mul_u64_e32 v[12:13], s[28:29], v[0:1]
	v_add_nc_u32_e32 v20, s4, v19
	s_xor_b32 s14, s2, -1
	v_dual_lshrrev_b32 v16, 5, v15 :: v_dual_lshlrev_b32 v1, 4, v18
	v_cmp_le_i32_e32 vcc_lo, v14, v4
	s_delay_alu instid0(VALU_DEP_3)
	v_dual_add_nc_u32 v18, 16, v14 :: v_dual_ashrrev_i32 v21, 31, v20
	v_ashrrev_i32_e32 v15, 31, v14
	v_lshl_or_b32 v3, v19, 7, v3
	v_cmp_gt_i64_e64 s33, s[8:9], 0
	v_cmp_le_i32_e64 s4, v14, v0
	v_lshl_or_b32 v46, v16, 9, v1
	v_dual_ashrrev_i32 v19, 31, v18 :: v_dual_mov_b32 v25, 0
	v_add_nc_u32_e32 v47, 0x1000, v3
	s_wait_kmcnt 0x0
	v_cmp_gt_i32_e64 s2, s15, v4
	v_cmp_gt_i32_e64 s1, s15, v20
	v_lshl_add_u64 v[20:21], v[20:21], 4, s[18:19]
	s_or_b32 s18, s5, s24
	v_cmp_gt_i32_e64 s3, s15, v0
	s_and_b32 s11, s2, vcc_lo
	v_cmp_le_i32_e32 vcc_lo, v18, v4
	v_cmp_le_i32_e64 s5, v18, v0
	v_cmp_gt_i32_e64 s0, s15, v2
	s_or_b32 s14, s25, s14
	s_and_b32 s4, s3, s4
	v_lshl_add_u64 v[22:23], v[6:7], 4, s[12:13]
	s_and_b32 s12, s18, s33
	s_and_b32 s13, s2, vcc_lo
	s_and_b32 s5, s3, s5
	s_branch .LBB260_7
.LBB260_6:                              ;   in Loop: Header=BB260_7 Depth=1
	s_wait_xcnt 0x0
	s_or_b32 exec_lo, exec_lo, s2
	s_add_co_i32 s6, s6, 0x10000
	s_delay_alu instid0(SALU_CYCLE_1)
	s_cmp_lt_u32 s6, s10
	s_cbranch_scc0 .LBB260_37
.LBB260_7:                              ; =>This Loop Header: Depth=1
                                        ;     Child Loop BB260_10 Depth 2
	v_mov_b64_e32 v[42:43], 0
	v_mov_b64_e32 v[44:45], 0
	;; [unrolled: 1-line block ×8, first 2 shown]
	s_and_not1_b32 vcc_lo, exec_lo, s12
	s_cbranch_vccnz .LBB260_16
; %bb.8:                                ;   in Loop: Header=BB260_7 Depth=1
	s_mul_u64 s[2:3], s[22:23], s[6:7]
	s_mul_u64 s[18:19], s[16:17], s[6:7]
	v_mov_b64_e32 v[28:29], 0
	v_mov_b64_e32 v[26:27], 0
	;; [unrolled: 1-line block ×8, first 2 shown]
	v_lshl_add_u64 v[30:31], s[18:19], 4, v[22:23]
	v_lshl_add_u64 v[32:33], s[2:3], 4, v[20:21]
	s_mov_b64 s[2:3], 0
	s_branch .LBB260_10
.LBB260_9:                              ;   in Loop: Header=BB260_10 Depth=2
	s_wait_xcnt 0x0
	s_or_b32 exec_lo, exec_lo, s15
	ds_store_b128 v47, v[4:7]
	s_wait_dscnt 0x0
	s_barrier_signal -1
	s_barrier_wait -1
	ds_load_b128 v[0:3], v17
	ds_load_b128 v[4:7], v9
	ds_load_b128 v[48:51], v9 offset:256
	ds_load_b128 v[52:55], v17 offset:2048
	;; [unrolled: 1-line block ×10, first 2 shown]
	s_add_nc_u64 s[2:3], s[2:3], 8
	s_delay_alu instid0(SALU_CYCLE_1)
	v_cmp_gt_i64_e64 s15, s[8:9], s[2:3]
	s_and_b32 vcc_lo, exec_lo, s15
	s_wait_dscnt 0xa
	v_mul_f64_e32 v[88:89], v[2:3], v[6:7]
	v_mul_f64_e32 v[90:91], v[0:1], v[6:7]
	s_wait_dscnt 0x9
	v_mul_f64_e32 v[92:93], v[2:3], v[50:51]
	v_mul_f64_e32 v[94:95], v[0:1], v[50:51]
	s_wait_dscnt 0x8
	v_mul_f64_e32 v[96:97], v[54:55], v[6:7]
	v_mul_f64_e32 v[98:99], v[52:53], v[6:7]
	v_mul_f64_e32 v[6:7], v[54:55], v[50:51]
	v_mul_f64_e32 v[100:101], v[52:53], v[50:51]
	s_wait_dscnt 0x6
	v_mul_f64_e32 v[102:103], v[58:59], v[62:63]
	v_mul_f64_e32 v[104:105], v[56:57], v[62:63]
	s_wait_dscnt 0x5
	v_mul_f64_e32 v[106:107], v[58:59], v[66:67]
	v_mul_f64_e32 v[108:109], v[56:57], v[66:67]
	s_wait_dscnt 0x4
	v_mul_f64_e32 v[110:111], v[70:71], v[62:63]
	v_mul_f64_e32 v[62:63], v[68:69], v[62:63]
	v_mul_f64_e32 v[112:113], v[70:71], v[66:67]
	v_mul_f64_e32 v[66:67], v[68:69], v[66:67]
	;; [unrolled: 11-line block ×3, first 2 shown]
	v_fma_f64 v[88:89], v[0:1], v[4:5], -v[88:89]
	v_fmac_f64_e32 v[90:91], v[2:3], v[4:5]
	v_fma_f64 v[92:93], v[0:1], v[48:49], -v[92:93]
	v_fmac_f64_e32 v[94:95], v[2:3], v[48:49]
	v_fma_f64 v[96:97], v[52:53], v[4:5], -v[96:97]
	v_fmac_f64_e32 v[98:99], v[54:55], v[4:5]
	v_fma_f64 v[114:115], v[52:53], v[48:49], -v[6:7]
	v_fmac_f64_e32 v[100:101], v[54:55], v[48:49]
	v_fma_f64 v[102:103], v[56:57], v[60:61], -v[102:103]
	v_fmac_f64_e32 v[104:105], v[58:59], v[60:61]
	v_fma_f64 v[56:57], v[56:57], v[64:65], -v[106:107]
	v_fmac_f64_e32 v[108:109], v[58:59], v[64:65]
	v_fma_f64 v[58:59], v[68:69], v[60:61], -v[110:111]
	v_fmac_f64_e32 v[62:63], v[70:71], v[60:61]
	v_fma_f64 v[60:61], v[68:69], v[64:65], -v[112:113]
	v_fmac_f64_e32 v[66:67], v[70:71], v[64:65]
	ds_load_b128 v[0:3], v17 offset:48
	ds_load_b128 v[4:7], v17 offset:2096
	;; [unrolled: 1-line block ×4, first 2 shown]
	v_fma_f64 v[116:117], v[72:73], v[76:77], -v[116:117]
	v_fmac_f64_e32 v[118:119], v[74:75], v[76:77]
	v_fma_f64 v[72:73], v[72:73], v[80:81], -v[120:121]
	v_fmac_f64_e32 v[122:123], v[74:75], v[80:81]
	;; [unrolled: 2-line block ×4, first 2 shown]
	v_add_f64_e32 v[64:65], v[42:43], v[88:89]
	v_add_f64_e32 v[68:69], v[90:91], v[44:45]
	;; [unrolled: 1-line block ×8, first 2 shown]
	s_wait_dscnt 0x1
	v_mul_f64_e32 v[98:99], v[2:3], v[50:51]
	v_mul_f64_e32 v[100:101], v[0:1], v[50:51]
	s_wait_dscnt 0x0
	v_mul_f64_e32 v[106:107], v[2:3], v[54:55]
	v_mul_f64_e32 v[110:111], v[0:1], v[54:55]
	v_mul_f64_e32 v[112:113], v[6:7], v[50:51]
	v_mul_f64_e32 v[114:115], v[4:5], v[50:51]
	v_mul_f64_e32 v[50:51], v[6:7], v[54:55]
	v_mul_f64_e32 v[128:129], v[4:5], v[54:55]
	ds_load_b128 v[26:29], v17 offset:64
	ds_load_b128 v[34:37], v9 offset:2048
	;; [unrolled: 1-line block ×4, first 2 shown]
	v_add_f64_e32 v[80:81], v[64:65], v[102:103]
	v_add_f64_e32 v[84:85], v[104:105], v[68:69]
	;; [unrolled: 1-line block ×8, first 2 shown]
	s_wait_dscnt 0x2
	v_mul_f64_e32 v[96:97], v[28:29], v[36:37]
	v_mul_f64_e32 v[102:103], v[26:27], v[36:37]
	s_wait_dscnt 0x1
	v_mul_f64_e32 v[104:105], v[28:29], v[40:41]
	v_mul_f64_e32 v[108:109], v[26:27], v[40:41]
	;; [unrolled: 3-line block ×3, first 2 shown]
	v_mul_f64_e32 v[36:37], v[44:45], v[40:41]
	v_mul_f64_e32 v[126:127], v[42:43], v[40:41]
	v_fma_f64 v[40:41], v[0:1], v[48:49], -v[98:99]
	v_fmac_f64_e32 v[100:101], v[2:3], v[48:49]
	v_fma_f64 v[98:99], v[0:1], v[52:53], -v[106:107]
	v_fmac_f64_e32 v[110:111], v[2:3], v[52:53]
	;; [unrolled: 2-line block ×4, first 2 shown]
	ds_load_b128 v[54:57], v17 offset:80
	ds_load_b128 v[58:61], v17 offset:2128
	;; [unrolled: 1-line block ×4, first 2 shown]
	v_add_f64_e32 v[52:53], v[80:81], v[116:117]
	v_add_f64_e32 v[80:81], v[118:119], v[84:85]
	;; [unrolled: 1-line block ×8, first 2 shown]
	v_fma_f64 v[96:97], v[26:27], v[34:35], -v[96:97]
	v_fmac_f64_e32 v[102:103], v[28:29], v[34:35]
	v_fma_f64 v[104:105], v[26:27], v[38:39], -v[104:105]
	s_wait_dscnt 0x1
	v_mul_f64_e32 v[88:89], v[56:57], v[64:65]
	v_mul_f64_e32 v[90:91], v[54:55], v[64:65]
	s_wait_dscnt 0x0
	v_mul_f64_e32 v[92:93], v[56:57], v[68:69]
	v_mul_f64_e32 v[94:95], v[54:55], v[68:69]
	;; [unrolled: 1-line block ×6, first 2 shown]
	v_fmac_f64_e32 v[108:109], v[28:29], v[38:39]
	v_fma_f64 v[120:121], v[42:43], v[34:35], -v[120:121]
	v_fmac_f64_e32 v[124:125], v[44:45], v[34:35]
	v_fma_f64 v[122:123], v[42:43], v[38:39], -v[36:37]
	v_fmac_f64_e32 v[126:127], v[44:45], v[38:39]
	ds_load_b128 v[0:3], v17 offset:96
	ds_load_b128 v[4:7], v9 offset:3072
	;; [unrolled: 1-line block ×4, first 2 shown]
	v_add_f64_e32 v[52:53], v[52:53], v[40:41]
	v_add_f64_e32 v[80:81], v[100:101], v[80:81]
	;; [unrolled: 1-line block ×8, first 2 shown]
	ds_load_b128 v[26:29], v17 offset:112
	ds_load_b128 v[34:37], v17 offset:2160
	;; [unrolled: 1-line block ×4, first 2 shown]
	s_wait_dscnt 0x0
	v_mul_f64_e32 v[98:99], v[2:3], v[6:7]
	v_mul_f64_e32 v[100:101], v[0:1], v[6:7]
	;; [unrolled: 1-line block ×8, first 2 shown]
	v_fma_f64 v[88:89], v[54:55], v[62:63], -v[88:89]
	v_fmac_f64_e32 v[90:91], v[56:57], v[62:63]
	v_fma_f64 v[54:55], v[54:55], v[66:67], -v[92:93]
	v_fmac_f64_e32 v[94:95], v[56:57], v[66:67]
	;; [unrolled: 2-line block ×4, first 2 shown]
	s_barrier_signal -1
	s_barrier_wait -1
	v_mul_f64_e32 v[92:93], v[26:27], v[44:45]
	v_add_f64_e32 v[52:53], v[52:53], v[96:97]
	v_add_f64_e32 v[60:61], v[102:103], v[80:81]
	;; [unrolled: 1-line block ×8, first 2 shown]
	v_mul_f64_e32 v[82:83], v[28:29], v[40:41]
	v_mul_f64_e32 v[84:85], v[26:27], v[40:41]
	;; [unrolled: 1-line block ×7, first 2 shown]
	v_fma_f64 v[44:45], v[0:1], v[4:5], -v[98:99]
	v_fmac_f64_e32 v[100:101], v[2:3], v[4:5]
	v_fma_f64 v[0:1], v[0:1], v[48:49], -v[106:107]
	v_fmac_f64_e32 v[110:111], v[2:3], v[48:49]
	;; [unrolled: 2-line block ×4, first 2 shown]
	v_fmac_f64_e32 v[92:93], v[28:29], v[42:43]
	v_add_f64_e32 v[48:49], v[52:53], v[88:89]
	v_add_f64_e32 v[52:53], v[90:91], v[60:61]
	;; [unrolled: 1-line block ×8, first 2 shown]
	v_fma_f64 v[66:67], v[26:27], v[38:39], -v[82:83]
	v_fmac_f64_e32 v[84:85], v[28:29], v[38:39]
	v_fma_f64 v[26:27], v[26:27], v[42:43], -v[86:87]
	v_fma_f64 v[28:29], v[34:35], v[38:39], -v[96:97]
	v_fmac_f64_e32 v[102:103], v[36:37], v[38:39]
	v_fma_f64 v[68:69], v[34:35], v[42:43], -v[40:41]
	v_fmac_f64_e32 v[104:105], v[36:37], v[42:43]
	v_add_f64_e32 v[34:35], v[48:49], v[44:45]
	v_add_f64_e32 v[36:37], v[100:101], v[52:53]
	;; [unrolled: 1-line block ×16, first 2 shown]
	s_cbranch_vccz .LBB260_16
.LBB260_10:                             ;   Parent Loop BB260_7 Depth=1
                                        ; =>  This Inner Loop Header: Depth=2
	v_mov_b64_e32 v[0:1], 0
	v_mov_b64_e32 v[2:3], 0
	s_and_saveexec_b32 s15, s0
	s_cbranch_execz .LBB260_14
; %bb.11:                               ;   in Loop: Header=BB260_10 Depth=2
	v_mov_b64_e32 v[2:3], 0
	v_mov_b64_e32 v[0:1], 0
	v_add_nc_u32_e32 v24, s2, v16
	s_mov_b32 s18, exec_lo
	s_delay_alu instid0(VALU_DEP_1)
	v_cmpx_gt_u64_e64 s[8:9], v[24:25]
	s_cbranch_execz .LBB260_13
; %bb.12:                               ;   in Loop: Header=BB260_10 Depth=2
	v_lshl_add_u64 v[0:1], v[24:25], 4, v[30:31]
	global_load_b128 v[0:3], v[0:1], off
	s_wait_loadcnt 0x0
	v_xor_b32_e32 v3, 0x80000000, v3
.LBB260_13:                             ;   in Loop: Header=BB260_10 Depth=2
	s_wait_xcnt 0x0
	s_or_b32 exec_lo, exec_lo, s18
.LBB260_14:                             ;   in Loop: Header=BB260_10 Depth=2
	s_delay_alu instid0(SALU_CYCLE_1)
	s_or_b32 exec_lo, exec_lo, s15
	v_add_nc_u32_e32 v24, s2, v8
	v_mov_b64_e32 v[4:5], 0
	v_mov_b64_e32 v[6:7], 0
	ds_store_b128 v46, v[0:3]
	v_cmp_gt_u64_e32 vcc_lo, s[8:9], v[24:25]
	s_and_b32 s18, vcc_lo, s1
	s_delay_alu instid0(SALU_CYCLE_1)
	s_and_saveexec_b32 s15, s18
	s_cbranch_execz .LBB260_9
; %bb.15:                               ;   in Loop: Header=BB260_10 Depth=2
	v_mul_u64_e32 v[0:1], s[20:21], v[24:25]
	s_delay_alu instid0(VALU_DEP_1)
	v_lshl_add_u64 v[0:1], v[0:1], 4, v[32:33]
	global_load_b128 v[4:7], v[0:1], off
	s_wait_loadcnt 0x0
	v_xor_b32_e32 v7, 0x80000000, v7
	s_branch .LBB260_9
.LBB260_16:                             ;   in Loop: Header=BB260_7 Depth=1
	s_mul_u64 s[2:3], s[30:31], s[6:7]
	s_delay_alu instid0(SALU_CYCLE_1) | instskip(NEXT) | instid1(SALU_CYCLE_1)
	s_lshl_b64 s[2:3], s[2:3], 4
	s_add_nc_u64 s[2:3], s[26:27], s[2:3]
	s_delay_alu instid0(SALU_CYCLE_1)
	v_lshl_add_u64 v[4:5], v[10:11], 4, s[2:3]
	s_and_saveexec_b32 s15, s11
	s_cbranch_execz .LBB260_21
; %bb.17:                               ;   in Loop: Header=BB260_7 Depth=1
	v_mul_f64_e32 v[0:1], s[42:43], v[44:45]
	v_mul_f64_e32 v[2:3], s[40:41], v[44:45]
	v_lshl_add_u64 v[6:7], v[14:15], 4, v[4:5]
	s_and_b32 vcc_lo, exec_lo, s14
	s_mov_b32 s18, -1
	s_delay_alu instid0(VALU_DEP_3) | instskip(NEXT) | instid1(VALU_DEP_3)
	v_fma_f64 v[0:1], s[40:41], v[42:43], -v[0:1]
	v_fmac_f64_e32 v[2:3], s[42:43], v[42:43]
	s_cbranch_vccz .LBB260_19
; %bb.18:                               ;   in Loop: Header=BB260_7 Depth=1
	global_load_b128 v[30:33], v[6:7], off
	s_mov_b32 s18, 0
	s_wait_loadcnt 0x0
	v_mul_f64_e32 v[42:43], s[38:39], v[32:33]
	v_mul_f64_e32 v[32:33], s[36:37], v[32:33]
	s_delay_alu instid0(VALU_DEP_2) | instskip(NEXT) | instid1(VALU_DEP_2)
	v_fma_f64 v[42:43], s[36:37], v[30:31], -v[42:43]
	v_fmac_f64_e32 v[32:33], s[38:39], v[30:31]
	s_delay_alu instid0(VALU_DEP_2) | instskip(NEXT) | instid1(VALU_DEP_2)
	v_add_f64_e32 v[30:31], v[0:1], v[42:43]
	v_add_f64_e32 v[32:33], v[2:3], v[32:33]
	global_store_b128 v[6:7], v[30:33], off
.LBB260_19:                             ;   in Loop: Header=BB260_7 Depth=1
	s_and_not1_b32 vcc_lo, exec_lo, s18
	s_cbranch_vccnz .LBB260_21
; %bb.20:                               ;   in Loop: Header=BB260_7 Depth=1
	global_store_b128 v[6:7], v[0:3], off
.LBB260_21:                             ;   in Loop: Header=BB260_7 Depth=1
	s_wait_xcnt 0x0
	s_or_b32 exec_lo, exec_lo, s15
	s_and_saveexec_b32 s15, s13
	s_cbranch_execz .LBB260_26
; %bb.22:                               ;   in Loop: Header=BB260_7 Depth=1
	v_mul_f64_e32 v[0:1], s[42:43], v[40:41]
	v_mul_f64_e32 v[2:3], s[40:41], v[40:41]
	v_lshl_add_u64 v[4:5], v[18:19], 4, v[4:5]
	s_and_not1_b32 vcc_lo, exec_lo, s14
	s_mov_b32 s18, -1
	s_delay_alu instid0(VALU_DEP_3) | instskip(NEXT) | instid1(VALU_DEP_3)
	v_fma_f64 v[0:1], s[40:41], v[38:39], -v[0:1]
	v_fmac_f64_e32 v[2:3], s[42:43], v[38:39]
	s_cbranch_vccnz .LBB260_24
; %bb.23:                               ;   in Loop: Header=BB260_7 Depth=1
	global_load_b128 v[30:33], v[4:5], off
	s_mov_b32 s18, 0
	s_wait_loadcnt 0x0
	v_mul_f64_e32 v[6:7], s[38:39], v[32:33]
	v_mul_f64_e32 v[32:33], s[36:37], v[32:33]
	s_delay_alu instid0(VALU_DEP_2) | instskip(NEXT) | instid1(VALU_DEP_2)
	v_fma_f64 v[6:7], s[36:37], v[30:31], -v[6:7]
	v_fmac_f64_e32 v[32:33], s[38:39], v[30:31]
	s_delay_alu instid0(VALU_DEP_2) | instskip(NEXT) | instid1(VALU_DEP_2)
	v_add_f64_e32 v[30:31], v[0:1], v[6:7]
	v_add_f64_e32 v[32:33], v[2:3], v[32:33]
	global_store_b128 v[4:5], v[30:33], off
.LBB260_24:                             ;   in Loop: Header=BB260_7 Depth=1
	s_and_not1_b32 vcc_lo, exec_lo, s18
	s_cbranch_vccnz .LBB260_26
; %bb.25:                               ;   in Loop: Header=BB260_7 Depth=1
	global_store_b128 v[4:5], v[0:3], off
.LBB260_26:                             ;   in Loop: Header=BB260_7 Depth=1
	s_wait_xcnt 0x0
	s_or_b32 exec_lo, exec_lo, s15
	v_lshl_add_u64 v[4:5], v[12:13], 4, s[2:3]
	s_and_saveexec_b32 s2, s4
	s_cbranch_execz .LBB260_31
; %bb.27:                               ;   in Loop: Header=BB260_7 Depth=1
	v_mul_f64_e32 v[0:1], s[42:43], v[36:37]
	v_mul_f64_e32 v[2:3], s[40:41], v[36:37]
	v_lshl_add_u64 v[6:7], v[14:15], 4, v[4:5]
	s_and_not1_b32 vcc_lo, exec_lo, s14
	s_mov_b32 s3, -1
	s_delay_alu instid0(VALU_DEP_3) | instskip(NEXT) | instid1(VALU_DEP_3)
	v_fma_f64 v[0:1], s[40:41], v[34:35], -v[0:1]
	v_fmac_f64_e32 v[2:3], s[42:43], v[34:35]
	s_cbranch_vccnz .LBB260_29
; %bb.28:                               ;   in Loop: Header=BB260_7 Depth=1
	global_load_b128 v[30:33], v[6:7], off
	s_mov_b32 s3, 0
	s_wait_loadcnt 0x0
	v_mul_f64_e32 v[34:35], s[38:39], v[32:33]
	v_mul_f64_e32 v[32:33], s[36:37], v[32:33]
	s_delay_alu instid0(VALU_DEP_2) | instskip(NEXT) | instid1(VALU_DEP_2)
	v_fma_f64 v[34:35], s[36:37], v[30:31], -v[34:35]
	v_fmac_f64_e32 v[32:33], s[38:39], v[30:31]
	s_delay_alu instid0(VALU_DEP_2) | instskip(NEXT) | instid1(VALU_DEP_2)
	v_add_f64_e32 v[30:31], v[0:1], v[34:35]
	v_add_f64_e32 v[32:33], v[2:3], v[32:33]
	global_store_b128 v[6:7], v[30:33], off
.LBB260_29:                             ;   in Loop: Header=BB260_7 Depth=1
	s_and_not1_b32 vcc_lo, exec_lo, s3
	s_cbranch_vccnz .LBB260_31
; %bb.30:                               ;   in Loop: Header=BB260_7 Depth=1
	global_store_b128 v[6:7], v[0:3], off
.LBB260_31:                             ;   in Loop: Header=BB260_7 Depth=1
	s_wait_xcnt 0x0
	s_or_b32 exec_lo, exec_lo, s2
	s_and_saveexec_b32 s2, s5
	s_cbranch_execz .LBB260_6
; %bb.32:                               ;   in Loop: Header=BB260_7 Depth=1
	s_delay_alu instid0(VALU_DEP_3) | instskip(SKIP_4) | instid1(VALU_DEP_3)
	v_mul_f64_e32 v[0:1], s[42:43], v[28:29]
	v_mul_f64_e32 v[2:3], s[40:41], v[28:29]
	v_lshl_add_u64 v[4:5], v[18:19], 4, v[4:5]
	s_and_not1_b32 vcc_lo, exec_lo, s14
	s_mov_b32 s3, -1
	v_fma_f64 v[0:1], s[40:41], v[26:27], -v[0:1]
	s_delay_alu instid0(VALU_DEP_3)
	v_fmac_f64_e32 v[2:3], s[42:43], v[26:27]
	s_cbranch_vccnz .LBB260_34
; %bb.33:                               ;   in Loop: Header=BB260_7 Depth=1
	global_load_b128 v[26:29], v[4:5], off
	s_mov_b32 s3, 0
	s_wait_loadcnt 0x0
	v_mul_f64_e32 v[6:7], s[38:39], v[28:29]
	v_mul_f64_e32 v[28:29], s[36:37], v[28:29]
	s_delay_alu instid0(VALU_DEP_2) | instskip(NEXT) | instid1(VALU_DEP_2)
	v_fma_f64 v[6:7], s[36:37], v[26:27], -v[6:7]
	v_fmac_f64_e32 v[28:29], s[38:39], v[26:27]
	s_delay_alu instid0(VALU_DEP_2) | instskip(NEXT) | instid1(VALU_DEP_2)
	v_add_f64_e32 v[26:27], v[0:1], v[6:7]
	v_add_f64_e32 v[28:29], v[2:3], v[28:29]
	global_store_b128 v[4:5], v[26:29], off
.LBB260_34:                             ;   in Loop: Header=BB260_7 Depth=1
	s_and_not1_b32 vcc_lo, exec_lo, s3
	s_cbranch_vccnz .LBB260_6
; %bb.35:                               ;   in Loop: Header=BB260_7 Depth=1
	global_store_b128 v[4:5], v[0:3], off
	s_branch .LBB260_6
.LBB260_36:
.LBB260_37:
	s_sendmsg sendmsg(MSG_DEALLOC_VGPRS)
	s_endpgm
	.section	.rodata,"a",@progbits
	.p2align	6, 0x0
	.amdhsa_kernel _ZL29rocblas_internal_gemmt_kernelIlLi16ELi32ELi8ELc67ELc67ELc85ELb1ELb1E19rocblas_complex_numIdEPKS1_S3_PS1_EviT_T9_T10_S5_lS7_S5_lS6_T11_S5_li
		.amdhsa_group_segment_fixed_size 8192
		.amdhsa_private_segment_fixed_size 0
		.amdhsa_kernarg_size 108
		.amdhsa_user_sgpr_count 2
		.amdhsa_user_sgpr_dispatch_ptr 0
		.amdhsa_user_sgpr_queue_ptr 0
		.amdhsa_user_sgpr_kernarg_segment_ptr 1
		.amdhsa_user_sgpr_dispatch_id 0
		.amdhsa_user_sgpr_kernarg_preload_length 0
		.amdhsa_user_sgpr_kernarg_preload_offset 0
		.amdhsa_user_sgpr_private_segment_size 0
		.amdhsa_wavefront_size32 1
		.amdhsa_uses_dynamic_stack 0
		.amdhsa_enable_private_segment 0
		.amdhsa_system_sgpr_workgroup_id_x 1
		.amdhsa_system_sgpr_workgroup_id_y 1
		.amdhsa_system_sgpr_workgroup_id_z 1
		.amdhsa_system_sgpr_workgroup_info 0
		.amdhsa_system_vgpr_workitem_id 1
		.amdhsa_next_free_vgpr 130
		.amdhsa_next_free_sgpr 44
		.amdhsa_named_barrier_count 0
		.amdhsa_reserve_vcc 1
		.amdhsa_float_round_mode_32 0
		.amdhsa_float_round_mode_16_64 0
		.amdhsa_float_denorm_mode_32 3
		.amdhsa_float_denorm_mode_16_64 3
		.amdhsa_fp16_overflow 0
		.amdhsa_memory_ordered 1
		.amdhsa_forward_progress 1
		.amdhsa_inst_pref_size 23
		.amdhsa_round_robin_scheduling 0
		.amdhsa_exception_fp_ieee_invalid_op 0
		.amdhsa_exception_fp_denorm_src 0
		.amdhsa_exception_fp_ieee_div_zero 0
		.amdhsa_exception_fp_ieee_overflow 0
		.amdhsa_exception_fp_ieee_underflow 0
		.amdhsa_exception_fp_ieee_inexact 0
		.amdhsa_exception_int_div_zero 0
	.end_amdhsa_kernel
	.section	.text._ZL29rocblas_internal_gemmt_kernelIlLi16ELi32ELi8ELc67ELc67ELc85ELb1ELb1E19rocblas_complex_numIdEPKS1_S3_PS1_EviT_T9_T10_S5_lS7_S5_lS6_T11_S5_li,"axG",@progbits,_ZL29rocblas_internal_gemmt_kernelIlLi16ELi32ELi8ELc67ELc67ELc85ELb1ELb1E19rocblas_complex_numIdEPKS1_S3_PS1_EviT_T9_T10_S5_lS7_S5_lS6_T11_S5_li,comdat
.Lfunc_end260:
	.size	_ZL29rocblas_internal_gemmt_kernelIlLi16ELi32ELi8ELc67ELc67ELc85ELb1ELb1E19rocblas_complex_numIdEPKS1_S3_PS1_EviT_T9_T10_S5_lS7_S5_lS6_T11_S5_li, .Lfunc_end260-_ZL29rocblas_internal_gemmt_kernelIlLi16ELi32ELi8ELc67ELc67ELc85ELb1ELb1E19rocblas_complex_numIdEPKS1_S3_PS1_EviT_T9_T10_S5_lS7_S5_lS6_T11_S5_li
                                        ; -- End function
	.set _ZL29rocblas_internal_gemmt_kernelIlLi16ELi32ELi8ELc67ELc67ELc85ELb1ELb1E19rocblas_complex_numIdEPKS1_S3_PS1_EviT_T9_T10_S5_lS7_S5_lS6_T11_S5_li.num_vgpr, 130
	.set _ZL29rocblas_internal_gemmt_kernelIlLi16ELi32ELi8ELc67ELc67ELc85ELb1ELb1E19rocblas_complex_numIdEPKS1_S3_PS1_EviT_T9_T10_S5_lS7_S5_lS6_T11_S5_li.num_agpr, 0
	.set _ZL29rocblas_internal_gemmt_kernelIlLi16ELi32ELi8ELc67ELc67ELc85ELb1ELb1E19rocblas_complex_numIdEPKS1_S3_PS1_EviT_T9_T10_S5_lS7_S5_lS6_T11_S5_li.numbered_sgpr, 44
	.set _ZL29rocblas_internal_gemmt_kernelIlLi16ELi32ELi8ELc67ELc67ELc85ELb1ELb1E19rocblas_complex_numIdEPKS1_S3_PS1_EviT_T9_T10_S5_lS7_S5_lS6_T11_S5_li.num_named_barrier, 0
	.set _ZL29rocblas_internal_gemmt_kernelIlLi16ELi32ELi8ELc67ELc67ELc85ELb1ELb1E19rocblas_complex_numIdEPKS1_S3_PS1_EviT_T9_T10_S5_lS7_S5_lS6_T11_S5_li.private_seg_size, 0
	.set _ZL29rocblas_internal_gemmt_kernelIlLi16ELi32ELi8ELc67ELc67ELc85ELb1ELb1E19rocblas_complex_numIdEPKS1_S3_PS1_EviT_T9_T10_S5_lS7_S5_lS6_T11_S5_li.uses_vcc, 1
	.set _ZL29rocblas_internal_gemmt_kernelIlLi16ELi32ELi8ELc67ELc67ELc85ELb1ELb1E19rocblas_complex_numIdEPKS1_S3_PS1_EviT_T9_T10_S5_lS7_S5_lS6_T11_S5_li.uses_flat_scratch, 0
	.set _ZL29rocblas_internal_gemmt_kernelIlLi16ELi32ELi8ELc67ELc67ELc85ELb1ELb1E19rocblas_complex_numIdEPKS1_S3_PS1_EviT_T9_T10_S5_lS7_S5_lS6_T11_S5_li.has_dyn_sized_stack, 0
	.set _ZL29rocblas_internal_gemmt_kernelIlLi16ELi32ELi8ELc67ELc67ELc85ELb1ELb1E19rocblas_complex_numIdEPKS1_S3_PS1_EviT_T9_T10_S5_lS7_S5_lS6_T11_S5_li.has_recursion, 0
	.set _ZL29rocblas_internal_gemmt_kernelIlLi16ELi32ELi8ELc67ELc67ELc85ELb1ELb1E19rocblas_complex_numIdEPKS1_S3_PS1_EviT_T9_T10_S5_lS7_S5_lS6_T11_S5_li.has_indirect_call, 0
	.section	.AMDGPU.csdata,"",@progbits
; Kernel info:
; codeLenInByte = 2840
; TotalNumSgprs: 46
; NumVgprs: 130
; ScratchSize: 0
; MemoryBound: 1
; FloatMode: 240
; IeeeMode: 1
; LDSByteSize: 8192 bytes/workgroup (compile time only)
; SGPRBlocks: 0
; VGPRBlocks: 8
; NumSGPRsForWavesPerEU: 46
; NumVGPRsForWavesPerEU: 130
; NamedBarCnt: 0
; Occupancy: 7
; WaveLimiterHint : 0
; COMPUTE_PGM_RSRC2:SCRATCH_EN: 0
; COMPUTE_PGM_RSRC2:USER_SGPR: 2
; COMPUTE_PGM_RSRC2:TRAP_HANDLER: 0
; COMPUTE_PGM_RSRC2:TGID_X_EN: 1
; COMPUTE_PGM_RSRC2:TGID_Y_EN: 1
; COMPUTE_PGM_RSRC2:TGID_Z_EN: 1
; COMPUTE_PGM_RSRC2:TIDIG_COMP_CNT: 1
	.section	.text._ZL29rocblas_internal_gemmt_kernelIlLi16ELi32ELi8ELc78ELc78ELc76ELb0ELb0E19rocblas_complex_numIdEPKS1_S3_PS1_EviT_T9_T10_S5_lS7_S5_lS6_T11_S5_li,"axG",@progbits,_ZL29rocblas_internal_gemmt_kernelIlLi16ELi32ELi8ELc78ELc78ELc76ELb0ELb0E19rocblas_complex_numIdEPKS1_S3_PS1_EviT_T9_T10_S5_lS7_S5_lS6_T11_S5_li,comdat
	.globl	_ZL29rocblas_internal_gemmt_kernelIlLi16ELi32ELi8ELc78ELc78ELc76ELb0ELb0E19rocblas_complex_numIdEPKS1_S3_PS1_EviT_T9_T10_S5_lS7_S5_lS6_T11_S5_li ; -- Begin function _ZL29rocblas_internal_gemmt_kernelIlLi16ELi32ELi8ELc78ELc78ELc76ELb0ELb0E19rocblas_complex_numIdEPKS1_S3_PS1_EviT_T9_T10_S5_lS7_S5_lS6_T11_S5_li
	.p2align	8
	.type	_ZL29rocblas_internal_gemmt_kernelIlLi16ELi32ELi8ELc78ELc78ELc76ELb0ELb0E19rocblas_complex_numIdEPKS1_S3_PS1_EviT_T9_T10_S5_lS7_S5_lS6_T11_S5_li,@function
_ZL29rocblas_internal_gemmt_kernelIlLi16ELi32ELi8ELc78ELc78ELc76ELb0ELb0E19rocblas_complex_numIdEPKS1_S3_PS1_EviT_T9_T10_S5_lS7_S5_lS6_T11_S5_li: ; @_ZL29rocblas_internal_gemmt_kernelIlLi16ELi32ELi8ELc78ELc78ELc76ELb0ELb0E19rocblas_complex_numIdEPKS1_S3_PS1_EviT_T9_T10_S5_lS7_S5_lS6_T11_S5_li
; %bb.0:
	s_clause 0x1
	s_load_b256 s[24:31], s[0:1], 0x48
	s_load_b512 s[8:23], s[0:1], 0x8
	s_wait_kmcnt 0x0
	s_load_b128 s[36:39], s[24:25], 0x0
	s_load_b128 s[40:43], s[10:11], 0x0
	s_wait_kmcnt 0x0
	v_cmp_eq_f64_e64 s3, s[36:37], 1.0
	v_cmp_eq_f64_e64 s2, s[38:39], 0
	s_and_b32 s3, s3, s2
	s_delay_alu instid0(SALU_CYCLE_1)
	s_and_not1_b32 vcc_lo, exec_lo, s3
	s_mov_b32 s3, -1
	s_cbranch_vccnz .LBB261_3
; %bb.1:
	s_cmp_lg_u64 s[8:9], 0
	s_cbranch_scc0 .LBB261_41
; %bb.2:
	v_cmp_neq_f64_e64 s3, s[40:41], 0
	v_cmp_neq_f64_e64 s4, s[42:43], 0
	s_or_b32 s3, s3, s4
.LBB261_3:
	s_delay_alu instid0(SALU_CYCLE_1)
	s_and_b32 vcc_lo, exec_lo, s3
	s_cbranch_vccz .LBB261_42
; %bb.4:
	s_load_b32 s5, s[0:1], 0x68
	s_bfe_u32 s3, ttmp6, 0x40014
	s_lshr_b32 s4, ttmp7, 16
	s_add_co_i32 s3, s3, 1
	s_bfe_u32 s7, ttmp6, 0x40008
	s_mul_i32 s6, s4, s3
	s_getreg_b32 s3, hwreg(HW_REG_IB_STS2, 6, 4)
	s_add_co_i32 s7, s7, s6
	s_cmp_eq_u32 s3, 0
	s_cselect_b32 s6, s4, s7
	s_mov_b32 s7, 0
	s_wait_kmcnt 0x0
	s_cmp_ge_u32 s6, s5
	s_cbranch_scc1 .LBB261_42
; %bb.5:
	v_and_b32_e32 v9, 0x3ff, v0
	v_bfe_u32 v11, v0, 10, 10
	s_bfe_u32 s4, ttmp6, 0x4000c
	s_bfe_u32 s11, ttmp6, 0x40010
	s_add_co_i32 s4, s4, 1
	s_and_b32 s24, ttmp7, 0xffff
	s_add_co_i32 s11, s11, 1
	v_lshl_add_u32 v8, v11, 4, v9
	s_and_b32 s10, ttmp6, 15
	s_mul_i32 s4, ttmp9, s4
	s_mul_i32 s11, s24, s11
	s_bfe_u32 s25, ttmp6, 0x40004
	s_add_co_i32 s10, s10, s4
	s_add_co_i32 s25, s25, s11
	s_cmp_eq_u32 s3, 0
	v_lshrrev_b32_e32 v16, 3, v8
	s_cselect_b32 s3, s24, s25
	s_cselect_b32 s4, ttmp9, s10
	s_lshl_b32 s3, s3, 5
	v_dual_lshlrev_b32 v7, 4, v9 :: v_dual_bitop2_b32 v6, 7, v0 bitop3:0x40
	v_dual_add_nc_u32 v2, s3, v16 :: v_dual_add_nc_u32 v4, s3, v11
	s_load_b32 s11, s[0:1], 0x0
	s_wait_xcnt 0x0
	s_lshl_b32 s0, s4, 5
	v_cmp_neq_f64_e64 s24, s[40:41], 0
	v_dual_ashrrev_i32 v3, 31, v2 :: v_dual_add_nc_u32 v22, 16, v4
	v_and_b32_e32 v17, 31, v8
	v_dual_ashrrev_i32 v5, 31, v4 :: v_dual_add_nc_u32 v10, s0, v9
	s_delay_alu instid0(VALU_DEP_3)
	v_mul_u64_e32 v[0:1], s[20:21], v[2:3]
	v_lshlrev_b32_e32 v3, 4, v6
	v_ashrrev_i32_e32 v23, 31, v22
	v_cmp_neq_f64_e64 s25, s[42:43], 0
	v_cmp_neq_f64_e64 s20, s[36:37], 0
	v_mul_u64_e32 v[12:13], s[28:29], v[4:5]
	v_dual_lshrrev_b32 v8, 5, v8 :: v_dual_bitop2_b32 v18, s0, v17 bitop3:0x54
	v_mul_u64_e32 v[14:15], s[28:29], v[22:23]
	v_lshlrev_b32_e32 v5, 4, v17
	v_lshl_or_b32 v3, v16, 7, v3
	v_add_nc_u32_e32 v16, 16, v10
	s_xor_b32 s33, s2, -1
	v_cmp_le_i32_e32 vcc_lo, v4, v10
	v_ashrrev_i32_e32 v19, 31, v18
	s_wait_kmcnt 0x0
	v_cmp_gt_i32_e64 s2, s11, v10
	v_cmp_le_i32_e64 s3, v4, v16
	v_cmp_gt_i32_e64 s4, s11, v16
	v_cmp_gt_i64_e64 s21, s[8:9], 0
	v_cmp_gt_i32_e64 s0, s11, v18
	v_cmp_le_i32_e64 s10, s11, v18
	v_cmp_gt_i32_e64 s1, s11, v2
	v_ashrrev_i32_e32 v17, 31, v16
	v_lshl_add_u64 v[18:19], v[18:19], 4, s[12:13]
	s_and_b32 s12, vcc_lo, s2
	s_and_b32 s13, s3, s4
	v_cmp_le_i32_e32 vcc_lo, v22, v10
	v_cmp_le_i32_e64 s3, v22, v16
	v_lshl_or_b32 v9, v8, 9, v5
	v_add_nc_u32_e32 v42, 0x1000, v3
	v_lshl_add_u32 v43, v11, 7, 0x1000
	v_ashrrev_i32_e32 v11, 31, v10
	v_lshl_add_u64 v[20:21], v[0:1], 4, s[18:19]
	v_mov_b32_e32 v1, 0
	s_and_b32 s19, vcc_lo, s2
	s_or_b32 s24, s24, s25
	s_or_b32 s11, s20, s33
	s_and_b32 s18, s24, s21
	s_and_b32 s4, s3, s4
	s_xor_b32 s1, s1, -1
                                        ; implicit-def: $vgpr22_vgpr23
	s_branch .LBB261_7
.LBB261_6:                              ;   in Loop: Header=BB261_7 Depth=1
	s_wait_xcnt 0x0
	s_or_b32 exec_lo, exec_lo, s2
	s_add_co_i32 s6, s6, 0x10000
	s_delay_alu instid0(SALU_CYCLE_1)
	s_cmp_lt_u32 s6, s5
	s_cbranch_scc0 .LBB261_42
.LBB261_7:                              ; =>This Loop Header: Depth=1
                                        ;     Child Loop BB261_10 Depth 2
	v_mov_b64_e32 v[34:35], 0
	s_and_not1_b32 vcc_lo, exec_lo, s18
	s_cbranch_vccnz .LBB261_20
; %bb.8:                                ;   in Loop: Header=BB261_7 Depth=1
	s_mul_u64 s[2:3], s[22:23], s[6:7]
	s_mul_u64 s[20:21], s[16:17], s[6:7]
	v_mov_b64_e32 v[38:39], 0
	v_mov_b64_e32 v[40:41], 0
	;; [unrolled: 1-line block ×8, first 2 shown]
	v_lshl_add_u64 v[4:5], s[20:21], 4, v[18:19]
	v_lshl_add_u64 v[24:25], s[2:3], 4, v[20:21]
	s_mov_b64 s[2:3], 0
	s_branch .LBB261_10
.LBB261_9:                              ;   in Loop: Header=BB261_10 Depth=2
	s_wait_xcnt 0x0
	s_or_b32 exec_lo, exec_lo, s20
	s_wait_dscnt 0x0
	s_barrier_signal -1
	s_barrier_wait -1
	ds_load_b128 v[44:47], v43
	ds_load_b128 v[48:51], v43 offset:16
	ds_load_b128 v[52:55], v43 offset:32
	ds_load_b128 v[56:59], v43 offset:48
	ds_load_b128 v[60:63], v7
	s_add_nc_u64 s[2:3], s[2:3], 8
	s_delay_alu instid0(SALU_CYCLE_1) | instskip(SKIP_4) | instid1(VALU_DEP_2)
	v_cmp_gt_i64_e64 s20, s[8:9], s[2:3]
	s_and_b32 vcc_lo, exec_lo, s20
	s_wait_dscnt 0x0
	v_mul_f64_e32 v[2:3], v[46:47], v[62:63]
	v_mul_f64_e32 v[64:65], v[44:45], v[62:63]
	v_fma_f64 v[2:3], v[44:45], v[60:61], -v[2:3]
	s_delay_alu instid0(VALU_DEP_2) | instskip(NEXT) | instid1(VALU_DEP_2)
	v_fmac_f64_e32 v[64:65], v[46:47], v[60:61]
	v_add_f64_e32 v[2:3], v[34:35], v[2:3]
	s_delay_alu instid0(VALU_DEP_2) | instskip(SKIP_3) | instid1(VALU_DEP_1)
	v_add_f64_e32 v[64:65], v[64:65], v[36:37]
	ds_load_b128 v[34:37], v7 offset:256
	s_wait_dscnt 0x0
	v_mul_f64_e32 v[66:67], v[46:47], v[36:37]
	v_fma_f64 v[66:67], v[44:45], v[34:35], -v[66:67]
	v_mul_f64_e32 v[44:45], v[44:45], v[36:37]
	s_delay_alu instid0(VALU_DEP_1) | instskip(NEXT) | instid1(VALU_DEP_3)
	v_fmac_f64_e32 v[44:45], v[46:47], v[34:35]
	v_add_f64_e32 v[46:47], v[26:27], v[66:67]
	s_delay_alu instid0(VALU_DEP_2) | instskip(SKIP_4) | instid1(VALU_DEP_2)
	v_add_f64_e32 v[44:45], v[44:45], v[28:29]
	ds_load_b128 v[26:29], v43 offset:2048
	s_wait_dscnt 0x0
	v_mul_f64_e32 v[66:67], v[28:29], v[62:63]
	v_mul_f64_e32 v[62:63], v[26:27], v[62:63]
	v_fma_f64 v[66:67], v[26:27], v[60:61], -v[66:67]
	s_delay_alu instid0(VALU_DEP_2) | instskip(NEXT) | instid1(VALU_DEP_2)
	v_fmac_f64_e32 v[62:63], v[28:29], v[60:61]
	v_add_f64_e32 v[60:61], v[30:31], v[66:67]
	v_mul_f64_e32 v[30:31], v[28:29], v[36:37]
	s_delay_alu instid0(VALU_DEP_3) | instskip(NEXT) | instid1(VALU_DEP_2)
	v_add_f64_e32 v[62:63], v[62:63], v[32:33]
	v_fma_f64 v[30:31], v[26:27], v[34:35], -v[30:31]
	v_mul_f64_e32 v[26:27], v[26:27], v[36:37]
	s_delay_alu instid0(VALU_DEP_2) | instskip(NEXT) | instid1(VALU_DEP_2)
	v_add_f64_e32 v[40:41], v[40:41], v[30:31]
	v_fmac_f64_e32 v[26:27], v[28:29], v[34:35]
	s_delay_alu instid0(VALU_DEP_1) | instskip(SKIP_4) | instid1(VALU_DEP_2)
	v_add_f64_e32 v[38:39], v[26:27], v[38:39]
	ds_load_b128 v[26:29], v7 offset:512
	s_wait_dscnt 0x0
	v_mul_f64_e32 v[30:31], v[50:51], v[28:29]
	v_mul_f64_e32 v[32:33], v[48:49], v[28:29]
	v_fma_f64 v[30:31], v[48:49], v[26:27], -v[30:31]
	s_delay_alu instid0(VALU_DEP_2) | instskip(NEXT) | instid1(VALU_DEP_2)
	v_fmac_f64_e32 v[32:33], v[50:51], v[26:27]
	v_add_f64_e32 v[2:3], v[2:3], v[30:31]
	s_delay_alu instid0(VALU_DEP_2) | instskip(SKIP_4) | instid1(VALU_DEP_2)
	v_add_f64_e32 v[64:65], v[32:33], v[64:65]
	ds_load_b128 v[30:33], v7 offset:768
	s_wait_dscnt 0x0
	v_mul_f64_e32 v[34:35], v[50:51], v[32:33]
	v_mul_f64_e32 v[36:37], v[48:49], v[32:33]
	v_fma_f64 v[34:35], v[48:49], v[30:31], -v[34:35]
	s_delay_alu instid0(VALU_DEP_2) | instskip(NEXT) | instid1(VALU_DEP_2)
	v_fmac_f64_e32 v[36:37], v[50:51], v[30:31]
	v_add_f64_e32 v[46:47], v[46:47], v[34:35]
	s_delay_alu instid0(VALU_DEP_2) | instskip(SKIP_4) | instid1(VALU_DEP_2)
	v_add_f64_e32 v[44:45], v[36:37], v[44:45]
	ds_load_b128 v[34:37], v43 offset:2064
	s_wait_dscnt 0x0
	v_mul_f64_e32 v[48:49], v[36:37], v[28:29]
	v_mul_f64_e32 v[28:29], v[34:35], v[28:29]
	v_fma_f64 v[48:49], v[34:35], v[26:27], -v[48:49]
	s_delay_alu instid0(VALU_DEP_2) | instskip(SKIP_1) | instid1(VALU_DEP_3)
	v_fmac_f64_e32 v[28:29], v[36:37], v[26:27]
	v_mul_f64_e32 v[26:27], v[36:37], v[32:33]
	v_add_f64_e32 v[48:49], v[60:61], v[48:49]
	s_delay_alu instid0(VALU_DEP_3) | instskip(SKIP_1) | instid1(VALU_DEP_4)
	v_add_f64_e32 v[50:51], v[28:29], v[62:63]
	v_mul_f64_e32 v[28:29], v[34:35], v[32:33]
	v_fma_f64 v[26:27], v[34:35], v[30:31], -v[26:27]
	s_delay_alu instid0(VALU_DEP_2) | instskip(NEXT) | instid1(VALU_DEP_2)
	v_fmac_f64_e32 v[28:29], v[36:37], v[30:31]
	v_add_f64_e32 v[40:41], v[40:41], v[26:27]
	s_delay_alu instid0(VALU_DEP_2) | instskip(SKIP_4) | instid1(VALU_DEP_2)
	v_add_f64_e32 v[38:39], v[28:29], v[38:39]
	ds_load_b128 v[26:29], v7 offset:1024
	s_wait_dscnt 0x0
	v_mul_f64_e32 v[30:31], v[54:55], v[28:29]
	v_mul_f64_e32 v[32:33], v[52:53], v[28:29]
	v_fma_f64 v[30:31], v[52:53], v[26:27], -v[30:31]
	s_delay_alu instid0(VALU_DEP_2) | instskip(NEXT) | instid1(VALU_DEP_2)
	v_fmac_f64_e32 v[32:33], v[54:55], v[26:27]
	v_add_f64_e32 v[2:3], v[2:3], v[30:31]
	s_delay_alu instid0(VALU_DEP_2) | instskip(SKIP_4) | instid1(VALU_DEP_2)
	v_add_f64_e32 v[60:61], v[32:33], v[64:65]
	ds_load_b128 v[30:33], v7 offset:1280
	s_wait_dscnt 0x0
	v_mul_f64_e32 v[34:35], v[54:55], v[32:33]
	;; [unrolled: 10-line block ×3, first 2 shown]
	v_mul_f64_e32 v[28:29], v[34:35], v[28:29]
	v_fma_f64 v[52:53], v[34:35], v[26:27], -v[52:53]
	s_delay_alu instid0(VALU_DEP_2) | instskip(SKIP_1) | instid1(VALU_DEP_3)
	v_fmac_f64_e32 v[28:29], v[36:37], v[26:27]
	v_mul_f64_e32 v[26:27], v[36:37], v[32:33]
	v_add_f64_e32 v[48:49], v[48:49], v[52:53]
	s_delay_alu instid0(VALU_DEP_3) | instskip(SKIP_1) | instid1(VALU_DEP_4)
	v_add_f64_e32 v[50:51], v[28:29], v[50:51]
	v_mul_f64_e32 v[28:29], v[34:35], v[32:33]
	v_fma_f64 v[26:27], v[34:35], v[30:31], -v[26:27]
	s_delay_alu instid0(VALU_DEP_2) | instskip(NEXT) | instid1(VALU_DEP_2)
	v_fmac_f64_e32 v[28:29], v[36:37], v[30:31]
	v_add_f64_e32 v[40:41], v[40:41], v[26:27]
	s_delay_alu instid0(VALU_DEP_2) | instskip(SKIP_4) | instid1(VALU_DEP_2)
	v_add_f64_e32 v[38:39], v[28:29], v[38:39]
	ds_load_b128 v[26:29], v7 offset:1536
	s_wait_dscnt 0x0
	v_mul_f64_e32 v[30:31], v[58:59], v[28:29]
	v_mul_f64_e32 v[32:33], v[56:57], v[28:29]
	v_fma_f64 v[30:31], v[56:57], v[26:27], -v[30:31]
	s_delay_alu instid0(VALU_DEP_2) | instskip(NEXT) | instid1(VALU_DEP_2)
	v_fmac_f64_e32 v[32:33], v[58:59], v[26:27]
	v_add_f64_e32 v[2:3], v[2:3], v[30:31]
	s_delay_alu instid0(VALU_DEP_2) | instskip(SKIP_4) | instid1(VALU_DEP_2)
	v_add_f64_e32 v[52:53], v[32:33], v[60:61]
	ds_load_b128 v[30:33], v7 offset:1792
	s_wait_dscnt 0x0
	v_mul_f64_e32 v[34:35], v[58:59], v[32:33]
	;; [unrolled: 10-line block ×3, first 2 shown]
	v_mul_f64_e32 v[28:29], v[34:35], v[28:29]
	v_fma_f64 v[54:55], v[34:35], v[26:27], -v[54:55]
	s_delay_alu instid0(VALU_DEP_2) | instskip(SKIP_1) | instid1(VALU_DEP_3)
	v_fmac_f64_e32 v[28:29], v[36:37], v[26:27]
	v_mul_f64_e32 v[26:27], v[36:37], v[32:33]
	v_add_f64_e32 v[48:49], v[48:49], v[54:55]
	s_delay_alu instid0(VALU_DEP_3) | instskip(SKIP_1) | instid1(VALU_DEP_4)
	v_add_f64_e32 v[50:51], v[28:29], v[50:51]
	v_mul_f64_e32 v[28:29], v[34:35], v[32:33]
	v_fma_f64 v[26:27], v[34:35], v[30:31], -v[26:27]
	s_delay_alu instid0(VALU_DEP_2) | instskip(NEXT) | instid1(VALU_DEP_2)
	v_fmac_f64_e32 v[28:29], v[36:37], v[30:31]
	v_add_f64_e32 v[40:41], v[40:41], v[26:27]
	s_delay_alu instid0(VALU_DEP_2)
	v_add_f64_e32 v[38:39], v[28:29], v[38:39]
	ds_load_b128 v[26:29], v43 offset:64
	ds_load_b128 v[30:33], v7 offset:2048
	s_wait_dscnt 0x0
	v_mul_f64_e32 v[34:35], v[28:29], v[32:33]
	v_mul_f64_e32 v[36:37], v[26:27], v[32:33]
	s_delay_alu instid0(VALU_DEP_2) | instskip(NEXT) | instid1(VALU_DEP_2)
	v_fma_f64 v[34:35], v[26:27], v[30:31], -v[34:35]
	v_fmac_f64_e32 v[36:37], v[28:29], v[30:31]
	s_delay_alu instid0(VALU_DEP_2) | instskip(NEXT) | instid1(VALU_DEP_2)
	v_add_f64_e32 v[2:3], v[2:3], v[34:35]
	v_add_f64_e32 v[52:53], v[36:37], v[52:53]
	ds_load_b128 v[34:37], v7 offset:2304
	s_wait_dscnt 0x0
	v_mul_f64_e32 v[54:55], v[28:29], v[36:37]
	s_delay_alu instid0(VALU_DEP_1) | instskip(SKIP_1) | instid1(VALU_DEP_2)
	v_fma_f64 v[54:55], v[26:27], v[34:35], -v[54:55]
	v_mul_f64_e32 v[26:27], v[26:27], v[36:37]
	v_add_f64_e32 v[46:47], v[46:47], v[54:55]
	s_delay_alu instid0(VALU_DEP_2) | instskip(NEXT) | instid1(VALU_DEP_1)
	v_fmac_f64_e32 v[26:27], v[28:29], v[34:35]
	v_add_f64_e32 v[44:45], v[26:27], v[44:45]
	ds_load_b128 v[26:29], v43 offset:2112
	s_wait_dscnt 0x0
	v_mul_f64_e32 v[54:55], v[28:29], v[32:33]
	v_mul_f64_e32 v[32:33], v[26:27], v[32:33]
	s_delay_alu instid0(VALU_DEP_2) | instskip(NEXT) | instid1(VALU_DEP_2)
	v_fma_f64 v[54:55], v[26:27], v[30:31], -v[54:55]
	v_fmac_f64_e32 v[32:33], v[28:29], v[30:31]
	v_mul_f64_e32 v[30:31], v[28:29], v[36:37]
	s_delay_alu instid0(VALU_DEP_3) | instskip(NEXT) | instid1(VALU_DEP_3)
	v_add_f64_e32 v[48:49], v[48:49], v[54:55]
	v_add_f64_e32 v[50:51], v[32:33], v[50:51]
	s_delay_alu instid0(VALU_DEP_3) | instskip(SKIP_1) | instid1(VALU_DEP_2)
	v_fma_f64 v[30:31], v[26:27], v[34:35], -v[30:31]
	v_mul_f64_e32 v[26:27], v[26:27], v[36:37]
	v_add_f64_e32 v[40:41], v[40:41], v[30:31]
	s_delay_alu instid0(VALU_DEP_2) | instskip(NEXT) | instid1(VALU_DEP_1)
	v_fmac_f64_e32 v[26:27], v[28:29], v[34:35]
	v_add_f64_e32 v[38:39], v[26:27], v[38:39]
	ds_load_b128 v[26:29], v43 offset:80
	ds_load_b128 v[30:33], v7 offset:2560
	s_wait_dscnt 0x0
	v_mul_f64_e32 v[34:35], v[28:29], v[32:33]
	v_mul_f64_e32 v[36:37], v[26:27], v[32:33]
	s_delay_alu instid0(VALU_DEP_2) | instskip(NEXT) | instid1(VALU_DEP_2)
	v_fma_f64 v[34:35], v[26:27], v[30:31], -v[34:35]
	v_fmac_f64_e32 v[36:37], v[28:29], v[30:31]
	s_delay_alu instid0(VALU_DEP_2) | instskip(NEXT) | instid1(VALU_DEP_2)
	v_add_f64_e32 v[2:3], v[2:3], v[34:35]
	v_add_f64_e32 v[52:53], v[36:37], v[52:53]
	ds_load_b128 v[34:37], v7 offset:2816
	s_wait_dscnt 0x0
	v_mul_f64_e32 v[54:55], v[28:29], v[36:37]
	s_delay_alu instid0(VALU_DEP_1) | instskip(SKIP_1) | instid1(VALU_DEP_2)
	v_fma_f64 v[54:55], v[26:27], v[34:35], -v[54:55]
	v_mul_f64_e32 v[26:27], v[26:27], v[36:37]
	v_add_f64_e32 v[46:47], v[46:47], v[54:55]
	s_delay_alu instid0(VALU_DEP_2) | instskip(NEXT) | instid1(VALU_DEP_1)
	v_fmac_f64_e32 v[26:27], v[28:29], v[34:35]
	v_add_f64_e32 v[44:45], v[26:27], v[44:45]
	ds_load_b128 v[26:29], v43 offset:2128
	s_wait_dscnt 0x0
	v_mul_f64_e32 v[54:55], v[28:29], v[32:33]
	v_mul_f64_e32 v[32:33], v[26:27], v[32:33]
	s_delay_alu instid0(VALU_DEP_2) | instskip(NEXT) | instid1(VALU_DEP_2)
	v_fma_f64 v[54:55], v[26:27], v[30:31], -v[54:55]
	v_fmac_f64_e32 v[32:33], v[28:29], v[30:31]
	v_mul_f64_e32 v[30:31], v[28:29], v[36:37]
	s_delay_alu instid0(VALU_DEP_3) | instskip(NEXT) | instid1(VALU_DEP_3)
	v_add_f64_e32 v[48:49], v[48:49], v[54:55]
	v_add_f64_e32 v[50:51], v[32:33], v[50:51]
	s_delay_alu instid0(VALU_DEP_3) | instskip(SKIP_1) | instid1(VALU_DEP_2)
	v_fma_f64 v[30:31], v[26:27], v[34:35], -v[30:31]
	v_mul_f64_e32 v[26:27], v[26:27], v[36:37]
	v_add_f64_e32 v[40:41], v[40:41], v[30:31]
	s_delay_alu instid0(VALU_DEP_2) | instskip(NEXT) | instid1(VALU_DEP_1)
	v_fmac_f64_e32 v[26:27], v[28:29], v[34:35]
	;; [unrolled: 39-line block ×3, first 2 shown]
	v_add_f64_e32 v[56:57], v[26:27], v[38:39]
	ds_load_b128 v[26:29], v43 offset:112
	ds_load_b128 v[30:33], v7 offset:3584
	;; [unrolled: 1-line block ×3, first 2 shown]
	s_wait_dscnt 0x1
	v_mul_f64_e32 v[34:35], v[28:29], v[32:33]
	v_mul_f64_e32 v[36:37], v[26:27], v[32:33]
	s_delay_alu instid0(VALU_DEP_2) | instskip(NEXT) | instid1(VALU_DEP_2)
	v_fma_f64 v[34:35], v[26:27], v[30:31], -v[34:35]
	v_fmac_f64_e32 v[36:37], v[28:29], v[30:31]
	s_delay_alu instid0(VALU_DEP_2) | instskip(NEXT) | instid1(VALU_DEP_2)
	v_add_f64_e32 v[34:35], v[2:3], v[34:35]
	v_add_f64_e32 v[36:37], v[36:37], v[52:53]
	s_wait_dscnt 0x0
	v_mul_f64_e32 v[2:3], v[28:29], v[40:41]
	v_mul_f64_e32 v[52:53], v[26:27], v[40:41]
	s_delay_alu instid0(VALU_DEP_2) | instskip(NEXT) | instid1(VALU_DEP_2)
	v_fma_f64 v[2:3], v[26:27], v[38:39], -v[2:3]
	v_fmac_f64_e32 v[52:53], v[28:29], v[38:39]
	s_delay_alu instid0(VALU_DEP_2) | instskip(NEXT) | instid1(VALU_DEP_2)
	v_add_f64_e32 v[26:27], v[46:47], v[2:3]
	v_add_f64_e32 v[28:29], v[52:53], v[44:45]
	ds_load_b128 v[44:47], v43 offset:2160
	s_wait_dscnt 0x0
	s_barrier_signal -1
	s_barrier_wait -1
	v_mul_f64_e32 v[2:3], v[46:47], v[32:33]
	v_mul_f64_e32 v[32:33], v[44:45], v[32:33]
	s_delay_alu instid0(VALU_DEP_2) | instskip(NEXT) | instid1(VALU_DEP_2)
	v_fma_f64 v[2:3], v[44:45], v[30:31], -v[2:3]
	v_fmac_f64_e32 v[32:33], v[46:47], v[30:31]
	s_delay_alu instid0(VALU_DEP_2) | instskip(SKIP_1) | instid1(VALU_DEP_3)
	v_add_f64_e32 v[30:31], v[48:49], v[2:3]
	v_mul_f64_e32 v[2:3], v[46:47], v[40:41]
	v_add_f64_e32 v[32:33], v[32:33], v[50:51]
	s_delay_alu instid0(VALU_DEP_2) | instskip(SKIP_1) | instid1(VALU_DEP_2)
	v_fma_f64 v[2:3], v[44:45], v[38:39], -v[2:3]
	v_mul_f64_e32 v[44:45], v[44:45], v[40:41]
	v_add_f64_e32 v[40:41], v[54:55], v[2:3]
	s_delay_alu instid0(VALU_DEP_2) | instskip(NEXT) | instid1(VALU_DEP_1)
	v_fmac_f64_e32 v[44:45], v[46:47], v[38:39]
	v_add_f64_e32 v[38:39], v[44:45], v[56:57]
	s_cbranch_vccz .LBB261_21
.LBB261_10:                             ;   Parent Loop BB261_7 Depth=1
                                        ; =>  This Inner Loop Header: Depth=2
	s_mov_b32 s20, 0
	s_mov_b32 s24, s10
	s_and_saveexec_b32 s21, s0
	s_cbranch_execnz .LBB261_18
; %bb.11:                               ;   in Loop: Header=BB261_10 Depth=2
	s_or_b32 exec_lo, exec_lo, s21
	s_and_saveexec_b32 s21, s24
	s_delay_alu instid0(SALU_CYCLE_1)
	s_xor_b32 s21, exec_lo, s21
	s_cbranch_execnz .LBB261_19
.LBB261_12:                             ;   in Loop: Header=BB261_10 Depth=2
	s_or_b32 exec_lo, exec_lo, s21
	s_and_saveexec_b32 s21, s20
	s_cbranch_execz .LBB261_14
.LBB261_13:                             ;   in Loop: Header=BB261_10 Depth=2
	v_mul_u64_e32 v[2:3], s[14:15], v[22:23]
	s_delay_alu instid0(VALU_DEP_1)
	v_lshl_add_u64 v[2:3], v[2:3], 4, v[4:5]
	global_load_b128 v[44:47], v[2:3], off
	s_wait_loadcnt 0x0
	ds_store_2addr_b64 v9, v[44:45], v[46:47] offset1:1
.LBB261_14:                             ;   in Loop: Header=BB261_10 Depth=2
	s_wait_xcnt 0x0
	s_or_b32 exec_lo, exec_lo, s21
	v_add_nc_u32_e32 v0, s2, v6
	s_delay_alu instid0(VALU_DEP_1) | instskip(SKIP_1) | instid1(SALU_CYCLE_1)
	v_cmp_le_u64_e32 vcc_lo, s[8:9], v[0:1]
	s_or_b32 s20, vcc_lo, s1
	s_and_saveexec_b32 s21, s20
	s_delay_alu instid0(SALU_CYCLE_1)
	s_xor_b32 s20, exec_lo, s21
; %bb.15:                               ;   in Loop: Header=BB261_10 Depth=2
	v_dual_mov_b32 v0, v1 :: v_dual_mov_b32 v2, v1
	v_mov_b32_e32 v3, v1
	ds_store_b128 v42, v[0:3]
; %bb.16:                               ;   in Loop: Header=BB261_10 Depth=2
	s_and_not1_saveexec_b32 s20, s20
	s_cbranch_execz .LBB261_9
; %bb.17:                               ;   in Loop: Header=BB261_10 Depth=2
	v_lshl_add_u64 v[2:3], v[0:1], 4, v[24:25]
	global_load_b128 v[44:47], v[2:3], off
	s_wait_loadcnt 0x0
	ds_store_2addr_b64 v42, v[44:45], v[46:47] offset1:1
	s_branch .LBB261_9
.LBB261_18:                             ;   in Loop: Header=BB261_10 Depth=2
	v_add_nc_u32_e32 v0, s2, v8
	s_and_not1_b32 s24, s10, exec_lo
	s_mov_b32 s20, exec_lo
	s_delay_alu instid0(VALU_DEP_1) | instskip(SKIP_2) | instid1(SALU_CYCLE_1)
	v_cmp_le_u64_e32 vcc_lo, s[8:9], v[0:1]
	v_mov_b64_e32 v[22:23], v[0:1]
	s_and_b32 s25, vcc_lo, exec_lo
	s_or_b32 s24, s24, s25
	s_or_b32 exec_lo, exec_lo, s21
	s_and_saveexec_b32 s21, s24
	s_delay_alu instid0(SALU_CYCLE_1)
	s_xor_b32 s21, exec_lo, s21
	s_cbranch_execz .LBB261_12
.LBB261_19:                             ;   in Loop: Header=BB261_10 Depth=2
	v_dual_mov_b32 v0, v1 :: v_dual_mov_b32 v2, v1
	v_mov_b32_e32 v3, v1
	s_and_not1_b32 s20, s20, exec_lo
	ds_store_b128 v9, v[0:3]
	s_or_b32 exec_lo, exec_lo, s21
	s_and_saveexec_b32 s21, s20
	s_cbranch_execnz .LBB261_13
	s_branch .LBB261_14
.LBB261_20:                             ;   in Loop: Header=BB261_7 Depth=1
	v_mov_b64_e32 v[36:37], 0
	v_mov_b64_e32 v[26:27], 0
	;; [unrolled: 1-line block ×7, first 2 shown]
.LBB261_21:                             ;   in Loop: Header=BB261_7 Depth=1
	s_mul_u64 s[2:3], s[30:31], s[6:7]
	s_delay_alu instid0(SALU_CYCLE_1) | instskip(NEXT) | instid1(SALU_CYCLE_1)
	s_lshl_b64 s[2:3], s[2:3], 4
	s_add_nc_u64 s[2:3], s[26:27], s[2:3]
	s_delay_alu instid0(SALU_CYCLE_1)
	v_lshl_add_u64 v[24:25], v[12:13], 4, s[2:3]
	s_and_saveexec_b32 s20, s12
	s_cbranch_execz .LBB261_26
; %bb.22:                               ;   in Loop: Header=BB261_7 Depth=1
	v_mul_f64_e32 v[2:3], s[42:43], v[36:37]
	v_mul_f64_e32 v[4:5], s[40:41], v[36:37]
	s_and_b32 vcc_lo, exec_lo, s11
	s_mov_b32 s21, -1
	s_delay_alu instid0(VALU_DEP_2) | instskip(NEXT) | instid1(VALU_DEP_2)
	v_fma_f64 v[2:3], s[40:41], v[34:35], -v[2:3]
	v_fmac_f64_e32 v[4:5], s[42:43], v[34:35]
	v_lshl_add_u64 v[34:35], v[10:11], 4, v[24:25]
	s_cbranch_vccz .LBB261_24
; %bb.23:                               ;   in Loop: Header=BB261_7 Depth=1
	global_load_b128 v[44:47], v[34:35], off
	s_mov_b32 s21, 0
	s_wait_loadcnt 0x0
	v_mul_f64_e32 v[36:37], s[38:39], v[46:47]
	v_mul_f64_e32 v[46:47], s[36:37], v[46:47]
	s_delay_alu instid0(VALU_DEP_2) | instskip(NEXT) | instid1(VALU_DEP_2)
	v_fma_f64 v[36:37], s[36:37], v[44:45], -v[36:37]
	v_fmac_f64_e32 v[46:47], s[38:39], v[44:45]
	s_delay_alu instid0(VALU_DEP_2) | instskip(NEXT) | instid1(VALU_DEP_2)
	v_add_f64_e32 v[44:45], v[2:3], v[36:37]
	v_add_f64_e32 v[46:47], v[4:5], v[46:47]
	global_store_b128 v[34:35], v[44:47], off
.LBB261_24:                             ;   in Loop: Header=BB261_7 Depth=1
	s_and_not1_b32 vcc_lo, exec_lo, s21
	s_cbranch_vccnz .LBB261_26
; %bb.25:                               ;   in Loop: Header=BB261_7 Depth=1
	global_store_b128 v[34:35], v[2:5], off
.LBB261_26:                             ;   in Loop: Header=BB261_7 Depth=1
	s_wait_xcnt 0x0
	s_or_b32 exec_lo, exec_lo, s20
	s_and_saveexec_b32 s20, s13
	s_cbranch_execz .LBB261_31
; %bb.27:                               ;   in Loop: Header=BB261_7 Depth=1
	v_mul_f64_e32 v[2:3], s[42:43], v[28:29]
	v_mul_f64_e32 v[4:5], s[40:41], v[28:29]
	v_lshl_add_u64 v[24:25], v[16:17], 4, v[24:25]
	s_and_not1_b32 vcc_lo, exec_lo, s11
	s_mov_b32 s21, -1
	s_delay_alu instid0(VALU_DEP_3) | instskip(NEXT) | instid1(VALU_DEP_3)
	v_fma_f64 v[2:3], s[40:41], v[26:27], -v[2:3]
	v_fmac_f64_e32 v[4:5], s[42:43], v[26:27]
	s_cbranch_vccnz .LBB261_29
; %bb.28:                               ;   in Loop: Header=BB261_7 Depth=1
	global_load_b128 v[26:29], v[24:25], off
	s_mov_b32 s21, 0
	s_wait_loadcnt 0x0
	v_mul_f64_e32 v[34:35], s[38:39], v[28:29]
	v_mul_f64_e32 v[28:29], s[36:37], v[28:29]
	s_delay_alu instid0(VALU_DEP_2) | instskip(NEXT) | instid1(VALU_DEP_2)
	v_fma_f64 v[34:35], s[36:37], v[26:27], -v[34:35]
	v_fmac_f64_e32 v[28:29], s[38:39], v[26:27]
	s_delay_alu instid0(VALU_DEP_2) | instskip(NEXT) | instid1(VALU_DEP_2)
	v_add_f64_e32 v[26:27], v[2:3], v[34:35]
	v_add_f64_e32 v[28:29], v[4:5], v[28:29]
	global_store_b128 v[24:25], v[26:29], off
.LBB261_29:                             ;   in Loop: Header=BB261_7 Depth=1
	s_and_not1_b32 vcc_lo, exec_lo, s21
	s_cbranch_vccnz .LBB261_31
; %bb.30:                               ;   in Loop: Header=BB261_7 Depth=1
	global_store_b128 v[24:25], v[2:5], off
.LBB261_31:                             ;   in Loop: Header=BB261_7 Depth=1
	s_wait_xcnt 0x0
	s_or_b32 exec_lo, exec_lo, s20
	v_lshl_add_u64 v[24:25], v[14:15], 4, s[2:3]
	s_and_saveexec_b32 s2, s19
	s_cbranch_execz .LBB261_36
; %bb.32:                               ;   in Loop: Header=BB261_7 Depth=1
	v_mul_f64_e32 v[2:3], s[42:43], v[32:33]
	v_mul_f64_e32 v[4:5], s[40:41], v[32:33]
	v_lshl_add_u64 v[26:27], v[10:11], 4, v[24:25]
	s_and_not1_b32 vcc_lo, exec_lo, s11
	s_mov_b32 s3, -1
	s_delay_alu instid0(VALU_DEP_3) | instskip(NEXT) | instid1(VALU_DEP_3)
	v_fma_f64 v[2:3], s[40:41], v[30:31], -v[2:3]
	v_fmac_f64_e32 v[4:5], s[42:43], v[30:31]
	s_cbranch_vccnz .LBB261_34
; %bb.33:                               ;   in Loop: Header=BB261_7 Depth=1
	global_load_b128 v[28:31], v[26:27], off
	s_mov_b32 s3, 0
	s_wait_loadcnt 0x0
	v_mul_f64_e32 v[32:33], s[38:39], v[30:31]
	v_mul_f64_e32 v[30:31], s[36:37], v[30:31]
	s_delay_alu instid0(VALU_DEP_2) | instskip(NEXT) | instid1(VALU_DEP_2)
	v_fma_f64 v[32:33], s[36:37], v[28:29], -v[32:33]
	v_fmac_f64_e32 v[30:31], s[38:39], v[28:29]
	s_delay_alu instid0(VALU_DEP_2) | instskip(NEXT) | instid1(VALU_DEP_2)
	v_add_f64_e32 v[28:29], v[2:3], v[32:33]
	v_add_f64_e32 v[30:31], v[4:5], v[30:31]
	global_store_b128 v[26:27], v[28:31], off
.LBB261_34:                             ;   in Loop: Header=BB261_7 Depth=1
	s_and_not1_b32 vcc_lo, exec_lo, s3
	s_cbranch_vccnz .LBB261_36
; %bb.35:                               ;   in Loop: Header=BB261_7 Depth=1
	global_store_b128 v[26:27], v[2:5], off
.LBB261_36:                             ;   in Loop: Header=BB261_7 Depth=1
	s_wait_xcnt 0x0
	s_or_b32 exec_lo, exec_lo, s2
	s_and_saveexec_b32 s2, s4
	s_cbranch_execz .LBB261_6
; %bb.37:                               ;   in Loop: Header=BB261_7 Depth=1
	s_delay_alu instid0(VALU_DEP_3) | instskip(SKIP_4) | instid1(VALU_DEP_3)
	v_mul_f64_e32 v[2:3], s[42:43], v[38:39]
	v_mul_f64_e32 v[4:5], s[40:41], v[38:39]
	v_lshl_add_u64 v[24:25], v[16:17], 4, v[24:25]
	s_and_not1_b32 vcc_lo, exec_lo, s11
	s_mov_b32 s3, -1
	v_fma_f64 v[2:3], s[40:41], v[40:41], -v[2:3]
	s_delay_alu instid0(VALU_DEP_3)
	v_fmac_f64_e32 v[4:5], s[42:43], v[40:41]
	s_cbranch_vccnz .LBB261_39
; %bb.38:                               ;   in Loop: Header=BB261_7 Depth=1
	global_load_b128 v[26:29], v[24:25], off
	s_mov_b32 s3, 0
	s_wait_loadcnt 0x0
	v_mul_f64_e32 v[30:31], s[38:39], v[28:29]
	v_mul_f64_e32 v[28:29], s[36:37], v[28:29]
	s_delay_alu instid0(VALU_DEP_2) | instskip(NEXT) | instid1(VALU_DEP_2)
	v_fma_f64 v[30:31], s[36:37], v[26:27], -v[30:31]
	v_fmac_f64_e32 v[28:29], s[38:39], v[26:27]
	s_delay_alu instid0(VALU_DEP_2) | instskip(NEXT) | instid1(VALU_DEP_2)
	v_add_f64_e32 v[26:27], v[2:3], v[30:31]
	v_add_f64_e32 v[28:29], v[4:5], v[28:29]
	global_store_b128 v[24:25], v[26:29], off
.LBB261_39:                             ;   in Loop: Header=BB261_7 Depth=1
	s_and_not1_b32 vcc_lo, exec_lo, s3
	s_cbranch_vccnz .LBB261_6
; %bb.40:                               ;   in Loop: Header=BB261_7 Depth=1
	global_store_b128 v[24:25], v[2:5], off
	s_branch .LBB261_6
.LBB261_41:
.LBB261_42:
	s_sendmsg sendmsg(MSG_DEALLOC_VGPRS)
	s_endpgm
	.section	.rodata,"a",@progbits
	.p2align	6, 0x0
	.amdhsa_kernel _ZL29rocblas_internal_gemmt_kernelIlLi16ELi32ELi8ELc78ELc78ELc76ELb0ELb0E19rocblas_complex_numIdEPKS1_S3_PS1_EviT_T9_T10_S5_lS7_S5_lS6_T11_S5_li
		.amdhsa_group_segment_fixed_size 8192
		.amdhsa_private_segment_fixed_size 0
		.amdhsa_kernarg_size 108
		.amdhsa_user_sgpr_count 2
		.amdhsa_user_sgpr_dispatch_ptr 0
		.amdhsa_user_sgpr_queue_ptr 0
		.amdhsa_user_sgpr_kernarg_segment_ptr 1
		.amdhsa_user_sgpr_dispatch_id 0
		.amdhsa_user_sgpr_kernarg_preload_length 0
		.amdhsa_user_sgpr_kernarg_preload_offset 0
		.amdhsa_user_sgpr_private_segment_size 0
		.amdhsa_wavefront_size32 1
		.amdhsa_uses_dynamic_stack 0
		.amdhsa_enable_private_segment 0
		.amdhsa_system_sgpr_workgroup_id_x 1
		.amdhsa_system_sgpr_workgroup_id_y 1
		.amdhsa_system_sgpr_workgroup_id_z 1
		.amdhsa_system_sgpr_workgroup_info 0
		.amdhsa_system_vgpr_workitem_id 1
		.amdhsa_next_free_vgpr 68
		.amdhsa_next_free_sgpr 44
		.amdhsa_named_barrier_count 0
		.amdhsa_reserve_vcc 1
		.amdhsa_float_round_mode_32 0
		.amdhsa_float_round_mode_16_64 0
		.amdhsa_float_denorm_mode_32 3
		.amdhsa_float_denorm_mode_16_64 3
		.amdhsa_fp16_overflow 0
		.amdhsa_memory_ordered 1
		.amdhsa_forward_progress 1
		.amdhsa_inst_pref_size 26
		.amdhsa_round_robin_scheduling 0
		.amdhsa_exception_fp_ieee_invalid_op 0
		.amdhsa_exception_fp_denorm_src 0
		.amdhsa_exception_fp_ieee_div_zero 0
		.amdhsa_exception_fp_ieee_overflow 0
		.amdhsa_exception_fp_ieee_underflow 0
		.amdhsa_exception_fp_ieee_inexact 0
		.amdhsa_exception_int_div_zero 0
	.end_amdhsa_kernel
	.section	.text._ZL29rocblas_internal_gemmt_kernelIlLi16ELi32ELi8ELc78ELc78ELc76ELb0ELb0E19rocblas_complex_numIdEPKS1_S3_PS1_EviT_T9_T10_S5_lS7_S5_lS6_T11_S5_li,"axG",@progbits,_ZL29rocblas_internal_gemmt_kernelIlLi16ELi32ELi8ELc78ELc78ELc76ELb0ELb0E19rocblas_complex_numIdEPKS1_S3_PS1_EviT_T9_T10_S5_lS7_S5_lS6_T11_S5_li,comdat
.Lfunc_end261:
	.size	_ZL29rocblas_internal_gemmt_kernelIlLi16ELi32ELi8ELc78ELc78ELc76ELb0ELb0E19rocblas_complex_numIdEPKS1_S3_PS1_EviT_T9_T10_S5_lS7_S5_lS6_T11_S5_li, .Lfunc_end261-_ZL29rocblas_internal_gemmt_kernelIlLi16ELi32ELi8ELc78ELc78ELc76ELb0ELb0E19rocblas_complex_numIdEPKS1_S3_PS1_EviT_T9_T10_S5_lS7_S5_lS6_T11_S5_li
                                        ; -- End function
	.set _ZL29rocblas_internal_gemmt_kernelIlLi16ELi32ELi8ELc78ELc78ELc76ELb0ELb0E19rocblas_complex_numIdEPKS1_S3_PS1_EviT_T9_T10_S5_lS7_S5_lS6_T11_S5_li.num_vgpr, 68
	.set _ZL29rocblas_internal_gemmt_kernelIlLi16ELi32ELi8ELc78ELc78ELc76ELb0ELb0E19rocblas_complex_numIdEPKS1_S3_PS1_EviT_T9_T10_S5_lS7_S5_lS6_T11_S5_li.num_agpr, 0
	.set _ZL29rocblas_internal_gemmt_kernelIlLi16ELi32ELi8ELc78ELc78ELc76ELb0ELb0E19rocblas_complex_numIdEPKS1_S3_PS1_EviT_T9_T10_S5_lS7_S5_lS6_T11_S5_li.numbered_sgpr, 44
	.set _ZL29rocblas_internal_gemmt_kernelIlLi16ELi32ELi8ELc78ELc78ELc76ELb0ELb0E19rocblas_complex_numIdEPKS1_S3_PS1_EviT_T9_T10_S5_lS7_S5_lS6_T11_S5_li.num_named_barrier, 0
	.set _ZL29rocblas_internal_gemmt_kernelIlLi16ELi32ELi8ELc78ELc78ELc76ELb0ELb0E19rocblas_complex_numIdEPKS1_S3_PS1_EviT_T9_T10_S5_lS7_S5_lS6_T11_S5_li.private_seg_size, 0
	.set _ZL29rocblas_internal_gemmt_kernelIlLi16ELi32ELi8ELc78ELc78ELc76ELb0ELb0E19rocblas_complex_numIdEPKS1_S3_PS1_EviT_T9_T10_S5_lS7_S5_lS6_T11_S5_li.uses_vcc, 1
	.set _ZL29rocblas_internal_gemmt_kernelIlLi16ELi32ELi8ELc78ELc78ELc76ELb0ELb0E19rocblas_complex_numIdEPKS1_S3_PS1_EviT_T9_T10_S5_lS7_S5_lS6_T11_S5_li.uses_flat_scratch, 0
	.set _ZL29rocblas_internal_gemmt_kernelIlLi16ELi32ELi8ELc78ELc78ELc76ELb0ELb0E19rocblas_complex_numIdEPKS1_S3_PS1_EviT_T9_T10_S5_lS7_S5_lS6_T11_S5_li.has_dyn_sized_stack, 0
	.set _ZL29rocblas_internal_gemmt_kernelIlLi16ELi32ELi8ELc78ELc78ELc76ELb0ELb0E19rocblas_complex_numIdEPKS1_S3_PS1_EviT_T9_T10_S5_lS7_S5_lS6_T11_S5_li.has_recursion, 0
	.set _ZL29rocblas_internal_gemmt_kernelIlLi16ELi32ELi8ELc78ELc78ELc76ELb0ELb0E19rocblas_complex_numIdEPKS1_S3_PS1_EviT_T9_T10_S5_lS7_S5_lS6_T11_S5_li.has_indirect_call, 0
	.section	.AMDGPU.csdata,"",@progbits
; Kernel info:
; codeLenInByte = 3224
; TotalNumSgprs: 46
; NumVgprs: 68
; ScratchSize: 0
; MemoryBound: 0
; FloatMode: 240
; IeeeMode: 1
; LDSByteSize: 8192 bytes/workgroup (compile time only)
; SGPRBlocks: 0
; VGPRBlocks: 4
; NumSGPRsForWavesPerEU: 46
; NumVGPRsForWavesPerEU: 68
; NamedBarCnt: 0
; Occupancy: 12
; WaveLimiterHint : 0
; COMPUTE_PGM_RSRC2:SCRATCH_EN: 0
; COMPUTE_PGM_RSRC2:USER_SGPR: 2
; COMPUTE_PGM_RSRC2:TRAP_HANDLER: 0
; COMPUTE_PGM_RSRC2:TGID_X_EN: 1
; COMPUTE_PGM_RSRC2:TGID_Y_EN: 1
; COMPUTE_PGM_RSRC2:TGID_Z_EN: 1
; COMPUTE_PGM_RSRC2:TIDIG_COMP_CNT: 1
	.section	.text._ZL29rocblas_internal_gemmt_kernelIlLi16ELi32ELi8ELc78ELc84ELc76ELb0ELb0E19rocblas_complex_numIdEPKS1_S3_PS1_EviT_T9_T10_S5_lS7_S5_lS6_T11_S5_li,"axG",@progbits,_ZL29rocblas_internal_gemmt_kernelIlLi16ELi32ELi8ELc78ELc84ELc76ELb0ELb0E19rocblas_complex_numIdEPKS1_S3_PS1_EviT_T9_T10_S5_lS7_S5_lS6_T11_S5_li,comdat
	.globl	_ZL29rocblas_internal_gemmt_kernelIlLi16ELi32ELi8ELc78ELc84ELc76ELb0ELb0E19rocblas_complex_numIdEPKS1_S3_PS1_EviT_T9_T10_S5_lS7_S5_lS6_T11_S5_li ; -- Begin function _ZL29rocblas_internal_gemmt_kernelIlLi16ELi32ELi8ELc78ELc84ELc76ELb0ELb0E19rocblas_complex_numIdEPKS1_S3_PS1_EviT_T9_T10_S5_lS7_S5_lS6_T11_S5_li
	.p2align	8
	.type	_ZL29rocblas_internal_gemmt_kernelIlLi16ELi32ELi8ELc78ELc84ELc76ELb0ELb0E19rocblas_complex_numIdEPKS1_S3_PS1_EviT_T9_T10_S5_lS7_S5_lS6_T11_S5_li,@function
_ZL29rocblas_internal_gemmt_kernelIlLi16ELi32ELi8ELc78ELc84ELc76ELb0ELb0E19rocblas_complex_numIdEPKS1_S3_PS1_EviT_T9_T10_S5_lS7_S5_lS6_T11_S5_li: ; @_ZL29rocblas_internal_gemmt_kernelIlLi16ELi32ELi8ELc78ELc84ELc76ELb0ELb0E19rocblas_complex_numIdEPKS1_S3_PS1_EviT_T9_T10_S5_lS7_S5_lS6_T11_S5_li
; %bb.0:
	s_clause 0x1
	s_load_b256 s[24:31], s[0:1], 0x48
	s_load_b512 s[8:23], s[0:1], 0x8
	s_wait_kmcnt 0x0
	s_load_b128 s[36:39], s[24:25], 0x0
	s_load_b128 s[40:43], s[10:11], 0x0
	s_wait_kmcnt 0x0
	v_cmp_eq_f64_e64 s3, s[36:37], 1.0
	v_cmp_eq_f64_e64 s2, s[38:39], 0
	s_and_b32 s3, s3, s2
	s_delay_alu instid0(SALU_CYCLE_1)
	s_and_not1_b32 vcc_lo, exec_lo, s3
	s_mov_b32 s3, -1
	s_cbranch_vccnz .LBB262_3
; %bb.1:
	s_cmp_lg_u64 s[8:9], 0
	s_cbranch_scc0 .LBB262_41
; %bb.2:
	v_cmp_neq_f64_e64 s3, s[40:41], 0
	v_cmp_neq_f64_e64 s4, s[42:43], 0
	s_or_b32 s3, s3, s4
.LBB262_3:
	s_delay_alu instid0(SALU_CYCLE_1)
	s_and_b32 vcc_lo, exec_lo, s3
	s_cbranch_vccz .LBB262_42
; %bb.4:
	s_load_b32 s5, s[0:1], 0x68
	s_bfe_u32 s3, ttmp6, 0x40014
	s_lshr_b32 s4, ttmp7, 16
	s_add_co_i32 s3, s3, 1
	s_bfe_u32 s7, ttmp6, 0x40008
	s_mul_i32 s6, s4, s3
	s_getreg_b32 s3, hwreg(HW_REG_IB_STS2, 6, 4)
	s_add_co_i32 s7, s7, s6
	s_cmp_eq_u32 s3, 0
	s_cselect_b32 s6, s4, s7
	s_mov_b32 s7, 0
	s_wait_kmcnt 0x0
	s_cmp_ge_u32 s6, s5
	s_cbranch_scc1 .LBB262_42
; %bb.5:
	s_load_b32 s11, s[0:1], 0x0
	s_wait_xcnt 0x0
	s_bfe_u32 s1, ttmp6, 0x4000c
	s_bfe_u32 s25, ttmp6, 0x40010
	s_and_b32 s24, ttmp7, 0xffff
	s_add_co_i32 s1, s1, 1
	s_add_co_i32 s25, s25, 1
	v_and_b32_e32 v15, 0x3ff, v0
	v_bfe_u32 v21, v0, 10, 10
	s_and_b32 s0, ttmp6, 15
	s_bfe_u32 s33, ttmp6, 0x40004
	s_mul_i32 s1, ttmp9, s1
	s_mul_i32 s25, s24, s25
	s_add_co_i32 s0, s0, s1
	s_add_co_i32 s33, s33, s25
	s_cmp_eq_u32 s3, 0
	v_lshl_add_u32 v1, v21, 4, v15
	s_cselect_b32 s1, s24, s33
	s_cselect_b32 s0, ttmp9, s0
	s_lshl_b32 s1, s1, 5
	s_delay_alu instid0(VALU_DEP_1)
	v_dual_lshrrev_b32 v9, 3, v1 :: v_dual_bitop2_b32 v6, 7, v0 bitop3:0x40
	v_dual_lshrrev_b32 v8, 5, v1 :: v_dual_bitop2_b32 v3, 31, v1 bitop3:0x40
	s_lshl_b32 s3, s0, 5
	v_add_nc_u32_e32 v0, s1, v21
	v_cmp_neq_f64_e64 s4, s[40:41], 0
	v_cmp_neq_f64_e64 s10, s[42:43], 0
	v_or_b32_e32 v2, s3, v3
	v_cmp_neq_f64_e64 s25, s[36:37], 0
	v_dual_add_nc_u32 v4, 16, v0 :: v_dual_add_nc_u32 v18, s1, v9
	v_dual_ashrrev_i32 v1, 31, v0 :: v_dual_lshlrev_b32 v7, 4, v3
	s_delay_alu instid0(VALU_DEP_2) | instskip(SKIP_1) | instid1(VALU_DEP_3)
	v_dual_lshlrev_b32 v14, 4, v6 :: v_dual_ashrrev_i32 v5, 31, v4
	v_ashrrev_i32_e32 v3, 31, v2
	v_mul_u64_e32 v[10:11], s[28:29], v[0:1]
	v_dual_ashrrev_i32 v19, 31, v18 :: v_dual_lshlrev_b32 v42, 4, v15
	s_delay_alu instid0(VALU_DEP_4)
	v_mul_u64_e32 v[12:13], s[28:29], v[4:5]
	v_lshl_or_b32 v1, v9, 7, v14
	v_add_nc_u32_e32 v14, s3, v15
	v_lshl_add_u64 v[16:17], v[2:3], 4, s[12:13]
	s_xor_b32 s12, s2, -1
	v_cmp_gt_i64_e64 s24, s[8:9], 0
	s_wait_kmcnt 0x0
	v_cmp_gt_i32_e64 s0, s11, v2
	v_dual_add_nc_u32 v20, 16, v14 :: v_dual_ashrrev_i32 v15, 31, v14
	v_cmp_le_i32_e64 s1, v0, v14
	v_cmp_gt_i32_e64 s2, s11, v14
	v_cmp_gt_i32_e32 vcc_lo, s11, v18
	s_delay_alu instid0(VALU_DEP_4)
	v_cmp_le_i32_e64 s3, v0, v20
	v_lshl_or_b32 v7, v8, 9, v7
	v_add_nc_u32_e32 v9, 0x1000, v1
	v_lshl_add_u64 v[18:19], v[18:19], 4, s[18:19]
	v_lshl_add_u32 v43, v21, 7, 0x1000
	v_dual_ashrrev_i32 v21, 31, v20 :: v_dual_mov_b32 v1, 0
	s_or_b32 s33, s4, s10
	v_cmp_gt_i32_e64 s4, s11, v20
	v_cmp_le_i32_e64 s10, s11, v2
	s_or_b32 s11, s25, s12
	s_and_b32 s12, s1, s2
	v_cmp_le_i32_e64 s1, v4, v14
	s_and_b32 s13, s3, s4
	v_cmp_le_i32_e64 s3, v4, v20
	s_and_b32 s18, s33, s24
	s_xor_b32 s19, vcc_lo, -1
	s_and_b32 s1, s1, s2
                                        ; implicit-def: $vgpr22_vgpr23
	s_and_b32 s4, s3, s4
	s_branch .LBB262_7
.LBB262_6:                              ;   in Loop: Header=BB262_7 Depth=1
	s_wait_xcnt 0x0
	s_or_b32 exec_lo, exec_lo, s2
	s_add_co_i32 s6, s6, 0x10000
	s_delay_alu instid0(SALU_CYCLE_1)
	s_cmp_lt_u32 s6, s5
	s_cbranch_scc0 .LBB262_42
.LBB262_7:                              ; =>This Loop Header: Depth=1
                                        ;     Child Loop BB262_10 Depth 2
	v_mov_b64_e32 v[34:35], 0
	s_and_not1_b32 vcc_lo, exec_lo, s18
	s_cbranch_vccnz .LBB262_20
; %bb.8:                                ;   in Loop: Header=BB262_7 Depth=1
	s_mul_u64 s[2:3], s[22:23], s[6:7]
	s_mul_u64 s[24:25], s[16:17], s[6:7]
	v_mov_b64_e32 v[38:39], 0
	v_mov_b64_e32 v[40:41], 0
	;; [unrolled: 1-line block ×8, first 2 shown]
	v_lshl_add_u64 v[4:5], s[24:25], 4, v[16:17]
	v_lshl_add_u64 v[24:25], s[2:3], 4, v[18:19]
	s_mov_b64 s[2:3], 0
	s_branch .LBB262_10
.LBB262_9:                              ;   in Loop: Header=BB262_10 Depth=2
	s_wait_xcnt 0x0
	s_or_b32 exec_lo, exec_lo, s24
	s_wait_dscnt 0x0
	s_barrier_signal -1
	s_barrier_wait -1
	ds_load_b128 v[44:47], v43
	ds_load_b128 v[48:51], v43 offset:16
	ds_load_b128 v[52:55], v43 offset:32
	;; [unrolled: 1-line block ×3, first 2 shown]
	ds_load_b128 v[60:63], v42
	s_add_nc_u64 s[2:3], s[2:3], 8
	s_delay_alu instid0(SALU_CYCLE_1) | instskip(SKIP_4) | instid1(VALU_DEP_2)
	v_cmp_gt_i64_e64 s24, s[8:9], s[2:3]
	s_and_b32 vcc_lo, exec_lo, s24
	s_wait_dscnt 0x0
	v_mul_f64_e32 v[2:3], v[46:47], v[62:63]
	v_mul_f64_e32 v[64:65], v[44:45], v[62:63]
	v_fma_f64 v[2:3], v[44:45], v[60:61], -v[2:3]
	s_delay_alu instid0(VALU_DEP_2) | instskip(NEXT) | instid1(VALU_DEP_2)
	v_fmac_f64_e32 v[64:65], v[46:47], v[60:61]
	v_add_f64_e32 v[2:3], v[34:35], v[2:3]
	s_delay_alu instid0(VALU_DEP_2) | instskip(SKIP_3) | instid1(VALU_DEP_1)
	v_add_f64_e32 v[64:65], v[64:65], v[36:37]
	ds_load_b128 v[34:37], v42 offset:256
	s_wait_dscnt 0x0
	v_mul_f64_e32 v[66:67], v[46:47], v[36:37]
	v_fma_f64 v[66:67], v[44:45], v[34:35], -v[66:67]
	v_mul_f64_e32 v[44:45], v[44:45], v[36:37]
	s_delay_alu instid0(VALU_DEP_1) | instskip(NEXT) | instid1(VALU_DEP_3)
	v_fmac_f64_e32 v[44:45], v[46:47], v[34:35]
	v_add_f64_e32 v[46:47], v[26:27], v[66:67]
	s_delay_alu instid0(VALU_DEP_2) | instskip(SKIP_4) | instid1(VALU_DEP_2)
	v_add_f64_e32 v[44:45], v[44:45], v[28:29]
	ds_load_b128 v[26:29], v43 offset:2048
	s_wait_dscnt 0x0
	v_mul_f64_e32 v[66:67], v[28:29], v[62:63]
	v_mul_f64_e32 v[62:63], v[26:27], v[62:63]
	v_fma_f64 v[66:67], v[26:27], v[60:61], -v[66:67]
	s_delay_alu instid0(VALU_DEP_2) | instskip(NEXT) | instid1(VALU_DEP_2)
	v_fmac_f64_e32 v[62:63], v[28:29], v[60:61]
	v_add_f64_e32 v[60:61], v[30:31], v[66:67]
	v_mul_f64_e32 v[30:31], v[28:29], v[36:37]
	s_delay_alu instid0(VALU_DEP_3) | instskip(NEXT) | instid1(VALU_DEP_2)
	v_add_f64_e32 v[62:63], v[62:63], v[32:33]
	v_fma_f64 v[30:31], v[26:27], v[34:35], -v[30:31]
	v_mul_f64_e32 v[26:27], v[26:27], v[36:37]
	s_delay_alu instid0(VALU_DEP_2) | instskip(NEXT) | instid1(VALU_DEP_2)
	v_add_f64_e32 v[40:41], v[40:41], v[30:31]
	v_fmac_f64_e32 v[26:27], v[28:29], v[34:35]
	s_delay_alu instid0(VALU_DEP_1) | instskip(SKIP_4) | instid1(VALU_DEP_2)
	v_add_f64_e32 v[38:39], v[26:27], v[38:39]
	ds_load_b128 v[26:29], v42 offset:512
	s_wait_dscnt 0x0
	v_mul_f64_e32 v[30:31], v[50:51], v[28:29]
	v_mul_f64_e32 v[32:33], v[48:49], v[28:29]
	v_fma_f64 v[30:31], v[48:49], v[26:27], -v[30:31]
	s_delay_alu instid0(VALU_DEP_2) | instskip(NEXT) | instid1(VALU_DEP_2)
	v_fmac_f64_e32 v[32:33], v[50:51], v[26:27]
	v_add_f64_e32 v[2:3], v[2:3], v[30:31]
	s_delay_alu instid0(VALU_DEP_2) | instskip(SKIP_4) | instid1(VALU_DEP_2)
	v_add_f64_e32 v[64:65], v[32:33], v[64:65]
	ds_load_b128 v[30:33], v42 offset:768
	s_wait_dscnt 0x0
	v_mul_f64_e32 v[34:35], v[50:51], v[32:33]
	v_mul_f64_e32 v[36:37], v[48:49], v[32:33]
	v_fma_f64 v[34:35], v[48:49], v[30:31], -v[34:35]
	s_delay_alu instid0(VALU_DEP_2) | instskip(NEXT) | instid1(VALU_DEP_2)
	v_fmac_f64_e32 v[36:37], v[50:51], v[30:31]
	v_add_f64_e32 v[46:47], v[46:47], v[34:35]
	s_delay_alu instid0(VALU_DEP_2) | instskip(SKIP_4) | instid1(VALU_DEP_2)
	v_add_f64_e32 v[44:45], v[36:37], v[44:45]
	ds_load_b128 v[34:37], v43 offset:2064
	s_wait_dscnt 0x0
	v_mul_f64_e32 v[48:49], v[36:37], v[28:29]
	v_mul_f64_e32 v[28:29], v[34:35], v[28:29]
	v_fma_f64 v[48:49], v[34:35], v[26:27], -v[48:49]
	s_delay_alu instid0(VALU_DEP_2) | instskip(SKIP_1) | instid1(VALU_DEP_3)
	v_fmac_f64_e32 v[28:29], v[36:37], v[26:27]
	v_mul_f64_e32 v[26:27], v[36:37], v[32:33]
	v_add_f64_e32 v[48:49], v[60:61], v[48:49]
	s_delay_alu instid0(VALU_DEP_3) | instskip(SKIP_1) | instid1(VALU_DEP_4)
	v_add_f64_e32 v[50:51], v[28:29], v[62:63]
	v_mul_f64_e32 v[28:29], v[34:35], v[32:33]
	v_fma_f64 v[26:27], v[34:35], v[30:31], -v[26:27]
	s_delay_alu instid0(VALU_DEP_2) | instskip(NEXT) | instid1(VALU_DEP_2)
	v_fmac_f64_e32 v[28:29], v[36:37], v[30:31]
	v_add_f64_e32 v[40:41], v[40:41], v[26:27]
	s_delay_alu instid0(VALU_DEP_2) | instskip(SKIP_4) | instid1(VALU_DEP_2)
	v_add_f64_e32 v[38:39], v[28:29], v[38:39]
	ds_load_b128 v[26:29], v42 offset:1024
	s_wait_dscnt 0x0
	v_mul_f64_e32 v[30:31], v[54:55], v[28:29]
	v_mul_f64_e32 v[32:33], v[52:53], v[28:29]
	v_fma_f64 v[30:31], v[52:53], v[26:27], -v[30:31]
	s_delay_alu instid0(VALU_DEP_2) | instskip(NEXT) | instid1(VALU_DEP_2)
	v_fmac_f64_e32 v[32:33], v[54:55], v[26:27]
	v_add_f64_e32 v[2:3], v[2:3], v[30:31]
	s_delay_alu instid0(VALU_DEP_2) | instskip(SKIP_4) | instid1(VALU_DEP_2)
	v_add_f64_e32 v[60:61], v[32:33], v[64:65]
	ds_load_b128 v[30:33], v42 offset:1280
	s_wait_dscnt 0x0
	v_mul_f64_e32 v[34:35], v[54:55], v[32:33]
	;; [unrolled: 10-line block ×3, first 2 shown]
	v_mul_f64_e32 v[28:29], v[34:35], v[28:29]
	v_fma_f64 v[52:53], v[34:35], v[26:27], -v[52:53]
	s_delay_alu instid0(VALU_DEP_2) | instskip(SKIP_1) | instid1(VALU_DEP_3)
	v_fmac_f64_e32 v[28:29], v[36:37], v[26:27]
	v_mul_f64_e32 v[26:27], v[36:37], v[32:33]
	v_add_f64_e32 v[48:49], v[48:49], v[52:53]
	s_delay_alu instid0(VALU_DEP_3) | instskip(SKIP_1) | instid1(VALU_DEP_4)
	v_add_f64_e32 v[50:51], v[28:29], v[50:51]
	v_mul_f64_e32 v[28:29], v[34:35], v[32:33]
	v_fma_f64 v[26:27], v[34:35], v[30:31], -v[26:27]
	s_delay_alu instid0(VALU_DEP_2) | instskip(NEXT) | instid1(VALU_DEP_2)
	v_fmac_f64_e32 v[28:29], v[36:37], v[30:31]
	v_add_f64_e32 v[40:41], v[40:41], v[26:27]
	s_delay_alu instid0(VALU_DEP_2) | instskip(SKIP_4) | instid1(VALU_DEP_2)
	v_add_f64_e32 v[38:39], v[28:29], v[38:39]
	ds_load_b128 v[26:29], v42 offset:1536
	s_wait_dscnt 0x0
	v_mul_f64_e32 v[30:31], v[58:59], v[28:29]
	v_mul_f64_e32 v[32:33], v[56:57], v[28:29]
	v_fma_f64 v[30:31], v[56:57], v[26:27], -v[30:31]
	s_delay_alu instid0(VALU_DEP_2) | instskip(NEXT) | instid1(VALU_DEP_2)
	v_fmac_f64_e32 v[32:33], v[58:59], v[26:27]
	v_add_f64_e32 v[2:3], v[2:3], v[30:31]
	s_delay_alu instid0(VALU_DEP_2) | instskip(SKIP_4) | instid1(VALU_DEP_2)
	v_add_f64_e32 v[52:53], v[32:33], v[60:61]
	ds_load_b128 v[30:33], v42 offset:1792
	s_wait_dscnt 0x0
	v_mul_f64_e32 v[34:35], v[58:59], v[32:33]
	;; [unrolled: 10-line block ×3, first 2 shown]
	v_mul_f64_e32 v[28:29], v[34:35], v[28:29]
	v_fma_f64 v[54:55], v[34:35], v[26:27], -v[54:55]
	s_delay_alu instid0(VALU_DEP_2) | instskip(SKIP_1) | instid1(VALU_DEP_3)
	v_fmac_f64_e32 v[28:29], v[36:37], v[26:27]
	v_mul_f64_e32 v[26:27], v[36:37], v[32:33]
	v_add_f64_e32 v[48:49], v[48:49], v[54:55]
	s_delay_alu instid0(VALU_DEP_3) | instskip(SKIP_1) | instid1(VALU_DEP_4)
	v_add_f64_e32 v[50:51], v[28:29], v[50:51]
	v_mul_f64_e32 v[28:29], v[34:35], v[32:33]
	v_fma_f64 v[26:27], v[34:35], v[30:31], -v[26:27]
	s_delay_alu instid0(VALU_DEP_2) | instskip(NEXT) | instid1(VALU_DEP_2)
	v_fmac_f64_e32 v[28:29], v[36:37], v[30:31]
	v_add_f64_e32 v[40:41], v[40:41], v[26:27]
	s_delay_alu instid0(VALU_DEP_2)
	v_add_f64_e32 v[38:39], v[28:29], v[38:39]
	ds_load_b128 v[26:29], v43 offset:64
	ds_load_b128 v[30:33], v42 offset:2048
	s_wait_dscnt 0x0
	v_mul_f64_e32 v[34:35], v[28:29], v[32:33]
	v_mul_f64_e32 v[36:37], v[26:27], v[32:33]
	s_delay_alu instid0(VALU_DEP_2) | instskip(NEXT) | instid1(VALU_DEP_2)
	v_fma_f64 v[34:35], v[26:27], v[30:31], -v[34:35]
	v_fmac_f64_e32 v[36:37], v[28:29], v[30:31]
	s_delay_alu instid0(VALU_DEP_2) | instskip(NEXT) | instid1(VALU_DEP_2)
	v_add_f64_e32 v[2:3], v[2:3], v[34:35]
	v_add_f64_e32 v[52:53], v[36:37], v[52:53]
	ds_load_b128 v[34:37], v42 offset:2304
	s_wait_dscnt 0x0
	v_mul_f64_e32 v[54:55], v[28:29], v[36:37]
	s_delay_alu instid0(VALU_DEP_1) | instskip(SKIP_1) | instid1(VALU_DEP_2)
	v_fma_f64 v[54:55], v[26:27], v[34:35], -v[54:55]
	v_mul_f64_e32 v[26:27], v[26:27], v[36:37]
	v_add_f64_e32 v[46:47], v[46:47], v[54:55]
	s_delay_alu instid0(VALU_DEP_2) | instskip(NEXT) | instid1(VALU_DEP_1)
	v_fmac_f64_e32 v[26:27], v[28:29], v[34:35]
	v_add_f64_e32 v[44:45], v[26:27], v[44:45]
	ds_load_b128 v[26:29], v43 offset:2112
	s_wait_dscnt 0x0
	v_mul_f64_e32 v[54:55], v[28:29], v[32:33]
	v_mul_f64_e32 v[32:33], v[26:27], v[32:33]
	s_delay_alu instid0(VALU_DEP_2) | instskip(NEXT) | instid1(VALU_DEP_2)
	v_fma_f64 v[54:55], v[26:27], v[30:31], -v[54:55]
	v_fmac_f64_e32 v[32:33], v[28:29], v[30:31]
	v_mul_f64_e32 v[30:31], v[28:29], v[36:37]
	s_delay_alu instid0(VALU_DEP_3) | instskip(NEXT) | instid1(VALU_DEP_3)
	v_add_f64_e32 v[48:49], v[48:49], v[54:55]
	v_add_f64_e32 v[50:51], v[32:33], v[50:51]
	s_delay_alu instid0(VALU_DEP_3) | instskip(SKIP_1) | instid1(VALU_DEP_2)
	v_fma_f64 v[30:31], v[26:27], v[34:35], -v[30:31]
	v_mul_f64_e32 v[26:27], v[26:27], v[36:37]
	v_add_f64_e32 v[40:41], v[40:41], v[30:31]
	s_delay_alu instid0(VALU_DEP_2) | instskip(NEXT) | instid1(VALU_DEP_1)
	v_fmac_f64_e32 v[26:27], v[28:29], v[34:35]
	v_add_f64_e32 v[38:39], v[26:27], v[38:39]
	ds_load_b128 v[26:29], v43 offset:80
	ds_load_b128 v[30:33], v42 offset:2560
	s_wait_dscnt 0x0
	v_mul_f64_e32 v[34:35], v[28:29], v[32:33]
	v_mul_f64_e32 v[36:37], v[26:27], v[32:33]
	s_delay_alu instid0(VALU_DEP_2) | instskip(NEXT) | instid1(VALU_DEP_2)
	v_fma_f64 v[34:35], v[26:27], v[30:31], -v[34:35]
	v_fmac_f64_e32 v[36:37], v[28:29], v[30:31]
	s_delay_alu instid0(VALU_DEP_2) | instskip(NEXT) | instid1(VALU_DEP_2)
	v_add_f64_e32 v[2:3], v[2:3], v[34:35]
	v_add_f64_e32 v[52:53], v[36:37], v[52:53]
	ds_load_b128 v[34:37], v42 offset:2816
	s_wait_dscnt 0x0
	v_mul_f64_e32 v[54:55], v[28:29], v[36:37]
	s_delay_alu instid0(VALU_DEP_1) | instskip(SKIP_1) | instid1(VALU_DEP_2)
	v_fma_f64 v[54:55], v[26:27], v[34:35], -v[54:55]
	v_mul_f64_e32 v[26:27], v[26:27], v[36:37]
	v_add_f64_e32 v[46:47], v[46:47], v[54:55]
	s_delay_alu instid0(VALU_DEP_2) | instskip(NEXT) | instid1(VALU_DEP_1)
	v_fmac_f64_e32 v[26:27], v[28:29], v[34:35]
	v_add_f64_e32 v[44:45], v[26:27], v[44:45]
	ds_load_b128 v[26:29], v43 offset:2128
	s_wait_dscnt 0x0
	v_mul_f64_e32 v[54:55], v[28:29], v[32:33]
	v_mul_f64_e32 v[32:33], v[26:27], v[32:33]
	s_delay_alu instid0(VALU_DEP_2) | instskip(NEXT) | instid1(VALU_DEP_2)
	v_fma_f64 v[54:55], v[26:27], v[30:31], -v[54:55]
	v_fmac_f64_e32 v[32:33], v[28:29], v[30:31]
	v_mul_f64_e32 v[30:31], v[28:29], v[36:37]
	s_delay_alu instid0(VALU_DEP_3) | instskip(NEXT) | instid1(VALU_DEP_3)
	v_add_f64_e32 v[48:49], v[48:49], v[54:55]
	v_add_f64_e32 v[50:51], v[32:33], v[50:51]
	s_delay_alu instid0(VALU_DEP_3) | instskip(SKIP_1) | instid1(VALU_DEP_2)
	v_fma_f64 v[30:31], v[26:27], v[34:35], -v[30:31]
	v_mul_f64_e32 v[26:27], v[26:27], v[36:37]
	v_add_f64_e32 v[40:41], v[40:41], v[30:31]
	s_delay_alu instid0(VALU_DEP_2) | instskip(NEXT) | instid1(VALU_DEP_1)
	v_fmac_f64_e32 v[26:27], v[28:29], v[34:35]
	;; [unrolled: 39-line block ×3, first 2 shown]
	v_add_f64_e32 v[56:57], v[26:27], v[38:39]
	ds_load_b128 v[26:29], v43 offset:112
	ds_load_b128 v[30:33], v42 offset:3584
	;; [unrolled: 1-line block ×3, first 2 shown]
	s_wait_dscnt 0x1
	v_mul_f64_e32 v[34:35], v[28:29], v[32:33]
	v_mul_f64_e32 v[36:37], v[26:27], v[32:33]
	s_delay_alu instid0(VALU_DEP_2) | instskip(NEXT) | instid1(VALU_DEP_2)
	v_fma_f64 v[34:35], v[26:27], v[30:31], -v[34:35]
	v_fmac_f64_e32 v[36:37], v[28:29], v[30:31]
	s_delay_alu instid0(VALU_DEP_2) | instskip(NEXT) | instid1(VALU_DEP_2)
	v_add_f64_e32 v[34:35], v[2:3], v[34:35]
	v_add_f64_e32 v[36:37], v[36:37], v[52:53]
	s_wait_dscnt 0x0
	v_mul_f64_e32 v[2:3], v[28:29], v[40:41]
	v_mul_f64_e32 v[52:53], v[26:27], v[40:41]
	s_delay_alu instid0(VALU_DEP_2) | instskip(NEXT) | instid1(VALU_DEP_2)
	v_fma_f64 v[2:3], v[26:27], v[38:39], -v[2:3]
	v_fmac_f64_e32 v[52:53], v[28:29], v[38:39]
	s_delay_alu instid0(VALU_DEP_2) | instskip(NEXT) | instid1(VALU_DEP_2)
	v_add_f64_e32 v[26:27], v[46:47], v[2:3]
	v_add_f64_e32 v[28:29], v[52:53], v[44:45]
	ds_load_b128 v[44:47], v43 offset:2160
	s_wait_dscnt 0x0
	s_barrier_signal -1
	s_barrier_wait -1
	v_mul_f64_e32 v[2:3], v[46:47], v[32:33]
	v_mul_f64_e32 v[32:33], v[44:45], v[32:33]
	s_delay_alu instid0(VALU_DEP_2) | instskip(NEXT) | instid1(VALU_DEP_2)
	v_fma_f64 v[2:3], v[44:45], v[30:31], -v[2:3]
	v_fmac_f64_e32 v[32:33], v[46:47], v[30:31]
	s_delay_alu instid0(VALU_DEP_2) | instskip(SKIP_1) | instid1(VALU_DEP_3)
	v_add_f64_e32 v[30:31], v[48:49], v[2:3]
	v_mul_f64_e32 v[2:3], v[46:47], v[40:41]
	v_add_f64_e32 v[32:33], v[32:33], v[50:51]
	s_delay_alu instid0(VALU_DEP_2) | instskip(SKIP_1) | instid1(VALU_DEP_2)
	v_fma_f64 v[2:3], v[44:45], v[38:39], -v[2:3]
	v_mul_f64_e32 v[44:45], v[44:45], v[40:41]
	v_add_f64_e32 v[40:41], v[54:55], v[2:3]
	s_delay_alu instid0(VALU_DEP_2) | instskip(NEXT) | instid1(VALU_DEP_1)
	v_fmac_f64_e32 v[44:45], v[46:47], v[38:39]
	v_add_f64_e32 v[38:39], v[44:45], v[56:57]
	s_cbranch_vccz .LBB262_21
.LBB262_10:                             ;   Parent Loop BB262_7 Depth=1
                                        ; =>  This Inner Loop Header: Depth=2
	s_mov_b32 s24, 0
	s_mov_b32 s28, s10
	s_and_saveexec_b32 s25, s0
	s_cbranch_execnz .LBB262_18
; %bb.11:                               ;   in Loop: Header=BB262_10 Depth=2
	s_or_b32 exec_lo, exec_lo, s25
	s_and_saveexec_b32 s25, s28
	s_delay_alu instid0(SALU_CYCLE_1)
	s_xor_b32 s25, exec_lo, s25
	s_cbranch_execnz .LBB262_19
.LBB262_12:                             ;   in Loop: Header=BB262_10 Depth=2
	s_or_b32 exec_lo, exec_lo, s25
	s_and_saveexec_b32 s25, s24
	s_cbranch_execz .LBB262_14
.LBB262_13:                             ;   in Loop: Header=BB262_10 Depth=2
	v_mul_u64_e32 v[2:3], s[14:15], v[22:23]
	s_delay_alu instid0(VALU_DEP_1)
	v_lshl_add_u64 v[2:3], v[2:3], 4, v[4:5]
	global_load_b128 v[44:47], v[2:3], off
	s_wait_loadcnt 0x0
	ds_store_2addr_b64 v7, v[44:45], v[46:47] offset1:1
.LBB262_14:                             ;   in Loop: Header=BB262_10 Depth=2
	s_wait_xcnt 0x0
	s_or_b32 exec_lo, exec_lo, s25
	v_add_nc_u32_e32 v0, s2, v6
	s_delay_alu instid0(VALU_DEP_1) | instskip(SKIP_1) | instid1(SALU_CYCLE_1)
	v_cmp_le_u64_e32 vcc_lo, s[8:9], v[0:1]
	s_or_b32 s24, vcc_lo, s19
	s_and_saveexec_b32 s25, s24
	s_delay_alu instid0(SALU_CYCLE_1)
	s_xor_b32 s24, exec_lo, s25
; %bb.15:                               ;   in Loop: Header=BB262_10 Depth=2
	v_dual_mov_b32 v0, v1 :: v_dual_mov_b32 v2, v1
	v_mov_b32_e32 v3, v1
	ds_store_b128 v9, v[0:3]
; %bb.16:                               ;   in Loop: Header=BB262_10 Depth=2
	s_and_not1_saveexec_b32 s24, s24
	s_cbranch_execz .LBB262_9
; %bb.17:                               ;   in Loop: Header=BB262_10 Depth=2
	v_mul_u64_e32 v[2:3], s[20:21], v[0:1]
	s_delay_alu instid0(VALU_DEP_1)
	v_lshl_add_u64 v[2:3], v[2:3], 4, v[24:25]
	global_load_b128 v[44:47], v[2:3], off
	s_wait_loadcnt 0x0
	ds_store_2addr_b64 v9, v[44:45], v[46:47] offset1:1
	s_branch .LBB262_9
.LBB262_18:                             ;   in Loop: Header=BB262_10 Depth=2
	v_add_nc_u32_e32 v0, s2, v8
	s_and_not1_b32 s28, s10, exec_lo
	s_mov_b32 s24, exec_lo
	s_delay_alu instid0(VALU_DEP_1) | instskip(SKIP_2) | instid1(SALU_CYCLE_1)
	v_cmp_le_u64_e32 vcc_lo, s[8:9], v[0:1]
	v_mov_b64_e32 v[22:23], v[0:1]
	s_and_b32 s29, vcc_lo, exec_lo
	s_or_b32 s28, s28, s29
	s_or_b32 exec_lo, exec_lo, s25
	s_and_saveexec_b32 s25, s28
	s_delay_alu instid0(SALU_CYCLE_1)
	s_xor_b32 s25, exec_lo, s25
	s_cbranch_execz .LBB262_12
.LBB262_19:                             ;   in Loop: Header=BB262_10 Depth=2
	v_dual_mov_b32 v0, v1 :: v_dual_mov_b32 v2, v1
	v_mov_b32_e32 v3, v1
	s_and_not1_b32 s24, s24, exec_lo
	ds_store_b128 v7, v[0:3]
	s_or_b32 exec_lo, exec_lo, s25
	s_and_saveexec_b32 s25, s24
	s_cbranch_execnz .LBB262_13
	s_branch .LBB262_14
.LBB262_20:                             ;   in Loop: Header=BB262_7 Depth=1
	v_mov_b64_e32 v[36:37], 0
	v_mov_b64_e32 v[26:27], 0
	;; [unrolled: 1-line block ×7, first 2 shown]
.LBB262_21:                             ;   in Loop: Header=BB262_7 Depth=1
	s_mul_u64 s[2:3], s[30:31], s[6:7]
	s_delay_alu instid0(SALU_CYCLE_1) | instskip(NEXT) | instid1(SALU_CYCLE_1)
	s_lshl_b64 s[2:3], s[2:3], 4
	s_add_nc_u64 s[2:3], s[26:27], s[2:3]
	s_delay_alu instid0(SALU_CYCLE_1)
	v_lshl_add_u64 v[24:25], v[10:11], 4, s[2:3]
	s_and_saveexec_b32 s24, s12
	s_cbranch_execz .LBB262_26
; %bb.22:                               ;   in Loop: Header=BB262_7 Depth=1
	v_mul_f64_e32 v[2:3], s[42:43], v[36:37]
	v_mul_f64_e32 v[4:5], s[40:41], v[36:37]
	s_and_b32 vcc_lo, exec_lo, s11
	s_mov_b32 s25, -1
	s_delay_alu instid0(VALU_DEP_2) | instskip(NEXT) | instid1(VALU_DEP_2)
	v_fma_f64 v[2:3], s[40:41], v[34:35], -v[2:3]
	v_fmac_f64_e32 v[4:5], s[42:43], v[34:35]
	v_lshl_add_u64 v[34:35], v[14:15], 4, v[24:25]
	s_cbranch_vccz .LBB262_24
; %bb.23:                               ;   in Loop: Header=BB262_7 Depth=1
	global_load_b128 v[44:47], v[34:35], off
	s_mov_b32 s25, 0
	s_wait_loadcnt 0x0
	v_mul_f64_e32 v[36:37], s[38:39], v[46:47]
	v_mul_f64_e32 v[46:47], s[36:37], v[46:47]
	s_delay_alu instid0(VALU_DEP_2) | instskip(NEXT) | instid1(VALU_DEP_2)
	v_fma_f64 v[36:37], s[36:37], v[44:45], -v[36:37]
	v_fmac_f64_e32 v[46:47], s[38:39], v[44:45]
	s_delay_alu instid0(VALU_DEP_2) | instskip(NEXT) | instid1(VALU_DEP_2)
	v_add_f64_e32 v[44:45], v[2:3], v[36:37]
	v_add_f64_e32 v[46:47], v[4:5], v[46:47]
	global_store_b128 v[34:35], v[44:47], off
.LBB262_24:                             ;   in Loop: Header=BB262_7 Depth=1
	s_and_not1_b32 vcc_lo, exec_lo, s25
	s_cbranch_vccnz .LBB262_26
; %bb.25:                               ;   in Loop: Header=BB262_7 Depth=1
	global_store_b128 v[34:35], v[2:5], off
.LBB262_26:                             ;   in Loop: Header=BB262_7 Depth=1
	s_wait_xcnt 0x0
	s_or_b32 exec_lo, exec_lo, s24
	s_and_saveexec_b32 s24, s13
	s_cbranch_execz .LBB262_31
; %bb.27:                               ;   in Loop: Header=BB262_7 Depth=1
	v_mul_f64_e32 v[2:3], s[42:43], v[28:29]
	v_mul_f64_e32 v[4:5], s[40:41], v[28:29]
	v_lshl_add_u64 v[24:25], v[20:21], 4, v[24:25]
	s_and_not1_b32 vcc_lo, exec_lo, s11
	s_mov_b32 s25, -1
	s_delay_alu instid0(VALU_DEP_3) | instskip(NEXT) | instid1(VALU_DEP_3)
	v_fma_f64 v[2:3], s[40:41], v[26:27], -v[2:3]
	v_fmac_f64_e32 v[4:5], s[42:43], v[26:27]
	s_cbranch_vccnz .LBB262_29
; %bb.28:                               ;   in Loop: Header=BB262_7 Depth=1
	global_load_b128 v[26:29], v[24:25], off
	s_mov_b32 s25, 0
	s_wait_loadcnt 0x0
	v_mul_f64_e32 v[34:35], s[38:39], v[28:29]
	v_mul_f64_e32 v[28:29], s[36:37], v[28:29]
	s_delay_alu instid0(VALU_DEP_2) | instskip(NEXT) | instid1(VALU_DEP_2)
	v_fma_f64 v[34:35], s[36:37], v[26:27], -v[34:35]
	v_fmac_f64_e32 v[28:29], s[38:39], v[26:27]
	s_delay_alu instid0(VALU_DEP_2) | instskip(NEXT) | instid1(VALU_DEP_2)
	v_add_f64_e32 v[26:27], v[2:3], v[34:35]
	v_add_f64_e32 v[28:29], v[4:5], v[28:29]
	global_store_b128 v[24:25], v[26:29], off
.LBB262_29:                             ;   in Loop: Header=BB262_7 Depth=1
	s_and_not1_b32 vcc_lo, exec_lo, s25
	s_cbranch_vccnz .LBB262_31
; %bb.30:                               ;   in Loop: Header=BB262_7 Depth=1
	global_store_b128 v[24:25], v[2:5], off
.LBB262_31:                             ;   in Loop: Header=BB262_7 Depth=1
	s_wait_xcnt 0x0
	s_or_b32 exec_lo, exec_lo, s24
	v_lshl_add_u64 v[24:25], v[12:13], 4, s[2:3]
	s_and_saveexec_b32 s2, s1
	s_cbranch_execz .LBB262_36
; %bb.32:                               ;   in Loop: Header=BB262_7 Depth=1
	v_mul_f64_e32 v[2:3], s[42:43], v[32:33]
	v_mul_f64_e32 v[4:5], s[40:41], v[32:33]
	v_lshl_add_u64 v[26:27], v[14:15], 4, v[24:25]
	s_and_not1_b32 vcc_lo, exec_lo, s11
	s_mov_b32 s3, -1
	s_delay_alu instid0(VALU_DEP_3) | instskip(NEXT) | instid1(VALU_DEP_3)
	v_fma_f64 v[2:3], s[40:41], v[30:31], -v[2:3]
	v_fmac_f64_e32 v[4:5], s[42:43], v[30:31]
	s_cbranch_vccnz .LBB262_34
; %bb.33:                               ;   in Loop: Header=BB262_7 Depth=1
	global_load_b128 v[28:31], v[26:27], off
	s_mov_b32 s3, 0
	s_wait_loadcnt 0x0
	v_mul_f64_e32 v[32:33], s[38:39], v[30:31]
	v_mul_f64_e32 v[30:31], s[36:37], v[30:31]
	s_delay_alu instid0(VALU_DEP_2) | instskip(NEXT) | instid1(VALU_DEP_2)
	v_fma_f64 v[32:33], s[36:37], v[28:29], -v[32:33]
	v_fmac_f64_e32 v[30:31], s[38:39], v[28:29]
	s_delay_alu instid0(VALU_DEP_2) | instskip(NEXT) | instid1(VALU_DEP_2)
	v_add_f64_e32 v[28:29], v[2:3], v[32:33]
	v_add_f64_e32 v[30:31], v[4:5], v[30:31]
	global_store_b128 v[26:27], v[28:31], off
.LBB262_34:                             ;   in Loop: Header=BB262_7 Depth=1
	s_and_not1_b32 vcc_lo, exec_lo, s3
	s_cbranch_vccnz .LBB262_36
; %bb.35:                               ;   in Loop: Header=BB262_7 Depth=1
	global_store_b128 v[26:27], v[2:5], off
.LBB262_36:                             ;   in Loop: Header=BB262_7 Depth=1
	s_wait_xcnt 0x0
	s_or_b32 exec_lo, exec_lo, s2
	s_and_saveexec_b32 s2, s4
	s_cbranch_execz .LBB262_6
; %bb.37:                               ;   in Loop: Header=BB262_7 Depth=1
	s_delay_alu instid0(VALU_DEP_3) | instskip(SKIP_4) | instid1(VALU_DEP_3)
	v_mul_f64_e32 v[2:3], s[42:43], v[38:39]
	v_mul_f64_e32 v[4:5], s[40:41], v[38:39]
	v_lshl_add_u64 v[24:25], v[20:21], 4, v[24:25]
	s_and_not1_b32 vcc_lo, exec_lo, s11
	s_mov_b32 s3, -1
	v_fma_f64 v[2:3], s[40:41], v[40:41], -v[2:3]
	s_delay_alu instid0(VALU_DEP_3)
	v_fmac_f64_e32 v[4:5], s[42:43], v[40:41]
	s_cbranch_vccnz .LBB262_39
; %bb.38:                               ;   in Loop: Header=BB262_7 Depth=1
	global_load_b128 v[26:29], v[24:25], off
	s_mov_b32 s3, 0
	s_wait_loadcnt 0x0
	v_mul_f64_e32 v[30:31], s[38:39], v[28:29]
	v_mul_f64_e32 v[28:29], s[36:37], v[28:29]
	s_delay_alu instid0(VALU_DEP_2) | instskip(NEXT) | instid1(VALU_DEP_2)
	v_fma_f64 v[30:31], s[36:37], v[26:27], -v[30:31]
	v_fmac_f64_e32 v[28:29], s[38:39], v[26:27]
	s_delay_alu instid0(VALU_DEP_2) | instskip(NEXT) | instid1(VALU_DEP_2)
	v_add_f64_e32 v[26:27], v[2:3], v[30:31]
	v_add_f64_e32 v[28:29], v[4:5], v[28:29]
	global_store_b128 v[24:25], v[26:29], off
.LBB262_39:                             ;   in Loop: Header=BB262_7 Depth=1
	s_and_not1_b32 vcc_lo, exec_lo, s3
	s_cbranch_vccnz .LBB262_6
; %bb.40:                               ;   in Loop: Header=BB262_7 Depth=1
	global_store_b128 v[24:25], v[2:5], off
	s_branch .LBB262_6
.LBB262_41:
.LBB262_42:
	s_sendmsg sendmsg(MSG_DEALLOC_VGPRS)
	s_endpgm
	.section	.rodata,"a",@progbits
	.p2align	6, 0x0
	.amdhsa_kernel _ZL29rocblas_internal_gemmt_kernelIlLi16ELi32ELi8ELc78ELc84ELc76ELb0ELb0E19rocblas_complex_numIdEPKS1_S3_PS1_EviT_T9_T10_S5_lS7_S5_lS6_T11_S5_li
		.amdhsa_group_segment_fixed_size 8192
		.amdhsa_private_segment_fixed_size 0
		.amdhsa_kernarg_size 108
		.amdhsa_user_sgpr_count 2
		.amdhsa_user_sgpr_dispatch_ptr 0
		.amdhsa_user_sgpr_queue_ptr 0
		.amdhsa_user_sgpr_kernarg_segment_ptr 1
		.amdhsa_user_sgpr_dispatch_id 0
		.amdhsa_user_sgpr_kernarg_preload_length 0
		.amdhsa_user_sgpr_kernarg_preload_offset 0
		.amdhsa_user_sgpr_private_segment_size 0
		.amdhsa_wavefront_size32 1
		.amdhsa_uses_dynamic_stack 0
		.amdhsa_enable_private_segment 0
		.amdhsa_system_sgpr_workgroup_id_x 1
		.amdhsa_system_sgpr_workgroup_id_y 1
		.amdhsa_system_sgpr_workgroup_id_z 1
		.amdhsa_system_sgpr_workgroup_info 0
		.amdhsa_system_vgpr_workitem_id 1
		.amdhsa_next_free_vgpr 68
		.amdhsa_next_free_sgpr 44
		.amdhsa_named_barrier_count 0
		.amdhsa_reserve_vcc 1
		.amdhsa_float_round_mode_32 0
		.amdhsa_float_round_mode_16_64 0
		.amdhsa_float_denorm_mode_32 3
		.amdhsa_float_denorm_mode_16_64 3
		.amdhsa_fp16_overflow 0
		.amdhsa_memory_ordered 1
		.amdhsa_forward_progress 1
		.amdhsa_inst_pref_size 26
		.amdhsa_round_robin_scheduling 0
		.amdhsa_exception_fp_ieee_invalid_op 0
		.amdhsa_exception_fp_denorm_src 0
		.amdhsa_exception_fp_ieee_div_zero 0
		.amdhsa_exception_fp_ieee_overflow 0
		.amdhsa_exception_fp_ieee_underflow 0
		.amdhsa_exception_fp_ieee_inexact 0
		.amdhsa_exception_int_div_zero 0
	.end_amdhsa_kernel
	.section	.text._ZL29rocblas_internal_gemmt_kernelIlLi16ELi32ELi8ELc78ELc84ELc76ELb0ELb0E19rocblas_complex_numIdEPKS1_S3_PS1_EviT_T9_T10_S5_lS7_S5_lS6_T11_S5_li,"axG",@progbits,_ZL29rocblas_internal_gemmt_kernelIlLi16ELi32ELi8ELc78ELc84ELc76ELb0ELb0E19rocblas_complex_numIdEPKS1_S3_PS1_EviT_T9_T10_S5_lS7_S5_lS6_T11_S5_li,comdat
.Lfunc_end262:
	.size	_ZL29rocblas_internal_gemmt_kernelIlLi16ELi32ELi8ELc78ELc84ELc76ELb0ELb0E19rocblas_complex_numIdEPKS1_S3_PS1_EviT_T9_T10_S5_lS7_S5_lS6_T11_S5_li, .Lfunc_end262-_ZL29rocblas_internal_gemmt_kernelIlLi16ELi32ELi8ELc78ELc84ELc76ELb0ELb0E19rocblas_complex_numIdEPKS1_S3_PS1_EviT_T9_T10_S5_lS7_S5_lS6_T11_S5_li
                                        ; -- End function
	.set _ZL29rocblas_internal_gemmt_kernelIlLi16ELi32ELi8ELc78ELc84ELc76ELb0ELb0E19rocblas_complex_numIdEPKS1_S3_PS1_EviT_T9_T10_S5_lS7_S5_lS6_T11_S5_li.num_vgpr, 68
	.set _ZL29rocblas_internal_gemmt_kernelIlLi16ELi32ELi8ELc78ELc84ELc76ELb0ELb0E19rocblas_complex_numIdEPKS1_S3_PS1_EviT_T9_T10_S5_lS7_S5_lS6_T11_S5_li.num_agpr, 0
	.set _ZL29rocblas_internal_gemmt_kernelIlLi16ELi32ELi8ELc78ELc84ELc76ELb0ELb0E19rocblas_complex_numIdEPKS1_S3_PS1_EviT_T9_T10_S5_lS7_S5_lS6_T11_S5_li.numbered_sgpr, 44
	.set _ZL29rocblas_internal_gemmt_kernelIlLi16ELi32ELi8ELc78ELc84ELc76ELb0ELb0E19rocblas_complex_numIdEPKS1_S3_PS1_EviT_T9_T10_S5_lS7_S5_lS6_T11_S5_li.num_named_barrier, 0
	.set _ZL29rocblas_internal_gemmt_kernelIlLi16ELi32ELi8ELc78ELc84ELc76ELb0ELb0E19rocblas_complex_numIdEPKS1_S3_PS1_EviT_T9_T10_S5_lS7_S5_lS6_T11_S5_li.private_seg_size, 0
	.set _ZL29rocblas_internal_gemmt_kernelIlLi16ELi32ELi8ELc78ELc84ELc76ELb0ELb0E19rocblas_complex_numIdEPKS1_S3_PS1_EviT_T9_T10_S5_lS7_S5_lS6_T11_S5_li.uses_vcc, 1
	.set _ZL29rocblas_internal_gemmt_kernelIlLi16ELi32ELi8ELc78ELc84ELc76ELb0ELb0E19rocblas_complex_numIdEPKS1_S3_PS1_EviT_T9_T10_S5_lS7_S5_lS6_T11_S5_li.uses_flat_scratch, 0
	.set _ZL29rocblas_internal_gemmt_kernelIlLi16ELi32ELi8ELc78ELc84ELc76ELb0ELb0E19rocblas_complex_numIdEPKS1_S3_PS1_EviT_T9_T10_S5_lS7_S5_lS6_T11_S5_li.has_dyn_sized_stack, 0
	.set _ZL29rocblas_internal_gemmt_kernelIlLi16ELi32ELi8ELc78ELc84ELc76ELb0ELb0E19rocblas_complex_numIdEPKS1_S3_PS1_EviT_T9_T10_S5_lS7_S5_lS6_T11_S5_li.has_recursion, 0
	.set _ZL29rocblas_internal_gemmt_kernelIlLi16ELi32ELi8ELc78ELc84ELc76ELb0ELb0E19rocblas_complex_numIdEPKS1_S3_PS1_EviT_T9_T10_S5_lS7_S5_lS6_T11_S5_li.has_indirect_call, 0
	.section	.AMDGPU.csdata,"",@progbits
; Kernel info:
; codeLenInByte = 3256
; TotalNumSgprs: 46
; NumVgprs: 68
; ScratchSize: 0
; MemoryBound: 0
; FloatMode: 240
; IeeeMode: 1
; LDSByteSize: 8192 bytes/workgroup (compile time only)
; SGPRBlocks: 0
; VGPRBlocks: 4
; NumSGPRsForWavesPerEU: 46
; NumVGPRsForWavesPerEU: 68
; NamedBarCnt: 0
; Occupancy: 12
; WaveLimiterHint : 0
; COMPUTE_PGM_RSRC2:SCRATCH_EN: 0
; COMPUTE_PGM_RSRC2:USER_SGPR: 2
; COMPUTE_PGM_RSRC2:TRAP_HANDLER: 0
; COMPUTE_PGM_RSRC2:TGID_X_EN: 1
; COMPUTE_PGM_RSRC2:TGID_Y_EN: 1
; COMPUTE_PGM_RSRC2:TGID_Z_EN: 1
; COMPUTE_PGM_RSRC2:TIDIG_COMP_CNT: 1
	.section	.text._ZL29rocblas_internal_gemmt_kernelIlLi16ELi32ELi8ELc78ELc67ELc76ELb0ELb1E19rocblas_complex_numIdEPKS1_S3_PS1_EviT_T9_T10_S5_lS7_S5_lS6_T11_S5_li,"axG",@progbits,_ZL29rocblas_internal_gemmt_kernelIlLi16ELi32ELi8ELc78ELc67ELc76ELb0ELb1E19rocblas_complex_numIdEPKS1_S3_PS1_EviT_T9_T10_S5_lS7_S5_lS6_T11_S5_li,comdat
	.globl	_ZL29rocblas_internal_gemmt_kernelIlLi16ELi32ELi8ELc78ELc67ELc76ELb0ELb1E19rocblas_complex_numIdEPKS1_S3_PS1_EviT_T9_T10_S5_lS7_S5_lS6_T11_S5_li ; -- Begin function _ZL29rocblas_internal_gemmt_kernelIlLi16ELi32ELi8ELc78ELc67ELc76ELb0ELb1E19rocblas_complex_numIdEPKS1_S3_PS1_EviT_T9_T10_S5_lS7_S5_lS6_T11_S5_li
	.p2align	8
	.type	_ZL29rocblas_internal_gemmt_kernelIlLi16ELi32ELi8ELc78ELc67ELc76ELb0ELb1E19rocblas_complex_numIdEPKS1_S3_PS1_EviT_T9_T10_S5_lS7_S5_lS6_T11_S5_li,@function
_ZL29rocblas_internal_gemmt_kernelIlLi16ELi32ELi8ELc78ELc67ELc76ELb0ELb1E19rocblas_complex_numIdEPKS1_S3_PS1_EviT_T9_T10_S5_lS7_S5_lS6_T11_S5_li: ; @_ZL29rocblas_internal_gemmt_kernelIlLi16ELi32ELi8ELc78ELc67ELc76ELb0ELb1E19rocblas_complex_numIdEPKS1_S3_PS1_EviT_T9_T10_S5_lS7_S5_lS6_T11_S5_li
; %bb.0:
	s_clause 0x1
	s_load_b256 s[24:31], s[0:1], 0x48
	s_load_b512 s[8:23], s[0:1], 0x8
	s_wait_kmcnt 0x0
	s_load_b128 s[36:39], s[24:25], 0x0
	s_load_b128 s[40:43], s[10:11], 0x0
	s_wait_kmcnt 0x0
	v_cmp_eq_f64_e64 s2, s[36:37], 1.0
	v_cmp_eq_f64_e64 s3, s[38:39], 0
	s_and_b32 s2, s2, s3
	s_delay_alu instid0(SALU_CYCLE_1)
	s_and_not1_b32 vcc_lo, exec_lo, s2
	s_mov_b32 s2, -1
	s_cbranch_vccnz .LBB263_3
; %bb.1:
	s_cmp_lg_u64 s[8:9], 0
	s_cbranch_scc0 .LBB263_39
; %bb.2:
	v_cmp_neq_f64_e64 s2, s[40:41], 0
	v_cmp_neq_f64_e64 s4, s[42:43], 0
	s_or_b32 s2, s2, s4
.LBB263_3:
	s_delay_alu instid0(SALU_CYCLE_1)
	s_and_b32 vcc_lo, exec_lo, s2
	s_cbranch_vccz .LBB263_40
; %bb.4:
	s_load_b32 s10, s[0:1], 0x68
	s_bfe_u32 s2, ttmp6, 0x40014
	s_lshr_b32 s4, ttmp7, 16
	s_add_co_i32 s2, s2, 1
	s_bfe_u32 s6, ttmp6, 0x40008
	s_mul_i32 s5, s4, s2
	s_getreg_b32 s2, hwreg(HW_REG_IB_STS2, 6, 4)
	s_add_co_i32 s6, s6, s5
	s_cmp_eq_u32 s2, 0
	s_mov_b32 s7, 0
	s_cselect_b32 s6, s4, s6
	s_wait_kmcnt 0x0
	s_cmp_ge_u32 s6, s10
	s_cbranch_scc1 .LBB263_40
; %bb.5:
	s_load_b32 s24, s[0:1], 0x0
	s_wait_xcnt 0x0
	s_bfe_u32 s1, ttmp6, 0x4000c
	s_bfe_u32 s25, ttmp6, 0x40010
	s_and_b32 s11, ttmp7, 0xffff
	s_add_co_i32 s1, s1, 1
	s_add_co_i32 s25, s25, 1
	s_and_b32 s0, ttmp6, 15
	s_bfe_u32 s33, ttmp6, 0x40004
	s_mul_i32 s1, ttmp9, s1
	s_mul_i32 s25, s11, s25
	s_add_co_i32 s0, s0, s1
	s_add_co_i32 s33, s33, s25
	s_cmp_eq_u32 s2, 0
	v_and_b32_e32 v17, 0x3ff, v0
	v_bfe_u32 v21, v0, 10, 10
	s_cselect_b32 s1, s11, s33
	s_cselect_b32 s0, ttmp9, s0
	s_lshl_b32 s1, s1, 5
	s_delay_alu instid0(VALU_DEP_1) | instid1(SALU_CYCLE_1)
	v_dual_add_nc_u32 v0, s1, v21 :: v_dual_bitop2_b32 v6, 7, v0 bitop3:0x40
	v_lshl_add_u32 v1, v21, 4, v17
	v_cmp_neq_f64_e64 s4, s[40:41], 0
	v_cmp_neq_f64_e64 s5, s[42:43], 0
	;; [unrolled: 1-line block ×3, first 2 shown]
	s_delay_alu instid0(VALU_DEP_4) | instskip(SKIP_2) | instid1(VALU_DEP_2)
	v_dual_add_nc_u32 v2, 16, v0 :: v_dual_lshrrev_b32 v8, 5, v1
	v_dual_lshrrev_b32 v9, 3, v1 :: v_dual_bitop2_b32 v5, 31, v1 bitop3:0x40
	s_lshl_b32 s2, s0, 5
	v_dual_ashrrev_i32 v1, 31, v0 :: v_dual_ashrrev_i32 v3, 31, v2
	s_delay_alu instid0(VALU_DEP_2) | instskip(NEXT) | instid1(VALU_DEP_3)
	v_or_b32_e32 v4, s2, v5
	v_add_nc_u32_e32 v18, s1, v9
	v_dual_add_nc_u32 v16, s2, v17 :: v_dual_lshlrev_b32 v44, 4, v17
	s_delay_alu instid0(VALU_DEP_4)
	v_mul_u64_e32 v[10:11], s[28:29], v[0:1]
	v_mul_u64_e32 v[12:13], s[28:29], v[2:3]
	v_dual_lshlrev_b32 v7, 4, v5 :: v_dual_lshlrev_b32 v14, 4, v6
	v_dual_ashrrev_i32 v5, 31, v4 :: v_dual_ashrrev_i32 v19, 31, v18
	v_cmp_le_i32_e32 vcc_lo, v0, v16
	s_wait_kmcnt 0x0
	v_cmp_gt_i32_e64 s2, s24, v16
	v_dual_add_nc_u32 v20, 16, v16 :: v_dual_ashrrev_i32 v17, 31, v16
	v_lshl_or_b32 v1, v9, 7, v14
	v_cmp_gt_i64_e64 s34, s[8:9], 0
	s_xor_b32 s3, s3, -1
	v_lshl_add_u64 v[14:15], v[4:5], 4, s[12:13]
	s_and_b32 s13, vcc_lo, s2
	v_cmp_le_i32_e32 vcc_lo, v0, v20
	v_cmp_gt_i32_e64 s0, s24, v4
	v_cmp_le_i32_e64 s11, s24, v4
	v_lshl_or_b32 v7, v8, 9, v7
	s_or_b32 s33, s4, s5
	s_or_b32 s12, s25, s3
	v_cmp_gt_i32_e64 s3, s24, v20
	v_cmp_le_i32_e64 s4, v2, v16
	v_cmp_le_i32_e64 s5, v2, v20
	v_cmp_gt_i32_e64 s1, s24, v18
	v_add_nc_u32_e32 v9, 0x1000, v1
	v_lshl_add_u64 v[18:19], v[18:19], 4, s[18:19]
	v_lshl_add_u32 v45, v21, 7, 0x1000
	v_dual_ashrrev_i32 v21, 31, v20 :: v_dual_mov_b32 v1, 0
	s_and_b32 s18, s33, s34
	s_and_b32 s19, vcc_lo, s3
	s_and_b32 s4, s4, s2
	s_and_b32 s5, s5, s3
                                        ; implicit-def: $vgpr22_vgpr23
	s_branch .LBB263_7
.LBB263_6:                              ;   in Loop: Header=BB263_7 Depth=1
	s_wait_xcnt 0x0
	s_or_b32 exec_lo, exec_lo, s2
	s_add_co_i32 s6, s6, 0x10000
	s_delay_alu instid0(SALU_CYCLE_1)
	s_cmp_lt_u32 s6, s10
	s_cbranch_scc0 .LBB263_40
.LBB263_7:                              ; =>This Loop Header: Depth=1
                                        ;     Child Loop BB263_10 Depth 2
	v_mov_b64_e32 v[40:41], 0
	s_and_not1_b32 vcc_lo, exec_lo, s18
	s_cbranch_vccnz .LBB263_18
; %bb.8:                                ;   in Loop: Header=BB263_7 Depth=1
	s_mul_u64 s[2:3], s[22:23], s[6:7]
	s_mul_u64 s[24:25], s[16:17], s[6:7]
	v_mov_b64_e32 v[24:25], 0
	v_mov_b64_e32 v[26:27], 0
	;; [unrolled: 1-line block ×8, first 2 shown]
	v_lshl_add_u64 v[28:29], s[24:25], 4, v[14:15]
	v_lshl_add_u64 v[30:31], s[2:3], 4, v[18:19]
	s_mov_b64 s[2:3], 0
	s_branch .LBB263_10
.LBB263_9:                              ;   in Loop: Header=BB263_10 Depth=2
	s_wait_xcnt 0x0
	s_or_b32 exec_lo, exec_lo, s24
	ds_store_b128 v9, v[2:5]
	s_wait_dscnt 0x0
	s_barrier_signal -1
	s_barrier_wait -1
	ds_load_b128 v[2:5], v45
	ds_load_b128 v[46:49], v44
	ds_load_b128 v[50:53], v44 offset:256
	ds_load_b128 v[54:57], v45 offset:2048
	;; [unrolled: 1-line block ×10, first 2 shown]
	s_add_nc_u64 s[2:3], s[2:3], 8
	s_delay_alu instid0(SALU_CYCLE_1)
	v_cmp_gt_i64_e64 s24, s[8:9], s[2:3]
	s_and_b32 vcc_lo, exec_lo, s24
	s_wait_dscnt 0xa
	v_mul_f64_e32 v[90:91], v[4:5], v[48:49]
	v_mul_f64_e32 v[92:93], v[2:3], v[48:49]
	s_wait_dscnt 0x9
	v_mul_f64_e32 v[94:95], v[4:5], v[52:53]
	v_mul_f64_e32 v[96:97], v[2:3], v[52:53]
	s_wait_dscnt 0x8
	v_mul_f64_e32 v[98:99], v[56:57], v[48:49]
	v_mul_f64_e32 v[100:101], v[54:55], v[48:49]
	v_mul_f64_e32 v[48:49], v[56:57], v[52:53]
	v_mul_f64_e32 v[102:103], v[54:55], v[52:53]
	s_wait_dscnt 0x6
	v_mul_f64_e32 v[104:105], v[60:61], v[64:65]
	v_mul_f64_e32 v[106:107], v[58:59], v[64:65]
	s_wait_dscnt 0x5
	v_mul_f64_e32 v[108:109], v[60:61], v[68:69]
	v_mul_f64_e32 v[110:111], v[58:59], v[68:69]
	s_wait_dscnt 0x4
	v_mul_f64_e32 v[112:113], v[72:73], v[64:65]
	v_mul_f64_e32 v[64:65], v[70:71], v[64:65]
	v_mul_f64_e32 v[114:115], v[72:73], v[68:69]
	v_mul_f64_e32 v[68:69], v[70:71], v[68:69]
	;; [unrolled: 11-line block ×3, first 2 shown]
	v_fma_f64 v[90:91], v[2:3], v[46:47], -v[90:91]
	v_fmac_f64_e32 v[92:93], v[4:5], v[46:47]
	v_fma_f64 v[94:95], v[2:3], v[50:51], -v[94:95]
	v_fmac_f64_e32 v[96:97], v[4:5], v[50:51]
	;; [unrolled: 2-line block ×8, first 2 shown]
	ds_load_b128 v[2:5], v45 offset:48
	ds_load_b128 v[46:49], v45 offset:2096
	;; [unrolled: 1-line block ×4, first 2 shown]
	v_fma_f64 v[118:119], v[74:75], v[78:79], -v[118:119]
	v_fmac_f64_e32 v[120:121], v[76:77], v[78:79]
	v_fma_f64 v[74:75], v[74:75], v[82:83], -v[122:123]
	v_fmac_f64_e32 v[124:125], v[76:77], v[82:83]
	;; [unrolled: 2-line block ×4, first 2 shown]
	v_add_f64_e32 v[66:67], v[40:41], v[90:91]
	v_add_f64_e32 v[70:71], v[92:93], v[42:43]
	;; [unrolled: 1-line block ×8, first 2 shown]
	s_wait_dscnt 0x1
	v_mul_f64_e32 v[100:101], v[4:5], v[52:53]
	v_mul_f64_e32 v[102:103], v[2:3], v[52:53]
	s_wait_dscnt 0x0
	v_mul_f64_e32 v[108:109], v[4:5], v[56:57]
	v_mul_f64_e32 v[112:113], v[2:3], v[56:57]
	;; [unrolled: 1-line block ×6, first 2 shown]
	ds_load_b128 v[24:27], v45 offset:64
	ds_load_b128 v[32:35], v44 offset:2048
	;; [unrolled: 1-line block ×4, first 2 shown]
	v_add_f64_e32 v[82:83], v[66:67], v[104:105]
	v_add_f64_e32 v[86:87], v[106:107], v[70:71]
	;; [unrolled: 1-line block ×8, first 2 shown]
	s_wait_dscnt 0x2
	v_mul_f64_e32 v[98:99], v[26:27], v[34:35]
	v_mul_f64_e32 v[104:105], v[24:25], v[34:35]
	s_wait_dscnt 0x1
	v_mul_f64_e32 v[106:107], v[26:27], v[38:39]
	v_mul_f64_e32 v[110:111], v[24:25], v[38:39]
	;; [unrolled: 3-line block ×3, first 2 shown]
	v_mul_f64_e32 v[34:35], v[42:43], v[38:39]
	v_mul_f64_e32 v[128:129], v[40:41], v[38:39]
	v_fma_f64 v[38:39], v[2:3], v[50:51], -v[100:101]
	v_fmac_f64_e32 v[102:103], v[4:5], v[50:51]
	v_fma_f64 v[100:101], v[2:3], v[54:55], -v[108:109]
	v_fmac_f64_e32 v[112:113], v[4:5], v[54:55]
	;; [unrolled: 2-line block ×4, first 2 shown]
	ds_load_b128 v[56:59], v45 offset:80
	ds_load_b128 v[60:63], v45 offset:2128
	;; [unrolled: 1-line block ×4, first 2 shown]
	v_add_f64_e32 v[54:55], v[82:83], v[118:119]
	v_add_f64_e32 v[82:83], v[120:121], v[86:87]
	;; [unrolled: 1-line block ×8, first 2 shown]
	v_fma_f64 v[98:99], v[24:25], v[32:33], -v[98:99]
	v_fmac_f64_e32 v[104:105], v[26:27], v[32:33]
	v_fma_f64 v[106:107], v[24:25], v[36:37], -v[106:107]
	s_wait_dscnt 0x1
	v_mul_f64_e32 v[90:91], v[58:59], v[66:67]
	v_mul_f64_e32 v[92:93], v[56:57], v[66:67]
	s_wait_dscnt 0x0
	v_mul_f64_e32 v[94:95], v[58:59], v[70:71]
	v_mul_f64_e32 v[96:97], v[56:57], v[70:71]
	v_mul_f64_e32 v[118:119], v[62:63], v[66:67]
	v_mul_f64_e32 v[66:67], v[60:61], v[66:67]
	v_mul_f64_e32 v[120:121], v[62:63], v[70:71]
	v_mul_f64_e32 v[70:71], v[60:61], v[70:71]
	v_fmac_f64_e32 v[110:111], v[26:27], v[36:37]
	v_fma_f64 v[122:123], v[40:41], v[32:33], -v[122:123]
	v_fmac_f64_e32 v[126:127], v[42:43], v[32:33]
	v_fma_f64 v[124:125], v[40:41], v[36:37], -v[34:35]
	v_fmac_f64_e32 v[128:129], v[42:43], v[36:37]
	ds_load_b128 v[2:5], v45 offset:96
	ds_load_b128 v[46:49], v44 offset:3072
	;; [unrolled: 1-line block ×4, first 2 shown]
	v_add_f64_e32 v[54:55], v[54:55], v[38:39]
	v_add_f64_e32 v[82:83], v[102:103], v[82:83]
	;; [unrolled: 1-line block ×8, first 2 shown]
	ds_load_b128 v[24:27], v45 offset:112
	ds_load_b128 v[32:35], v45 offset:2160
	;; [unrolled: 1-line block ×4, first 2 shown]
	s_wait_dscnt 0x0
	v_mul_f64_e32 v[100:101], v[4:5], v[48:49]
	v_mul_f64_e32 v[102:103], v[2:3], v[48:49]
	;; [unrolled: 1-line block ×8, first 2 shown]
	v_fma_f64 v[90:91], v[56:57], v[64:65], -v[90:91]
	v_fmac_f64_e32 v[92:93], v[58:59], v[64:65]
	v_fma_f64 v[56:57], v[56:57], v[68:69], -v[94:95]
	v_fmac_f64_e32 v[96:97], v[58:59], v[68:69]
	;; [unrolled: 2-line block ×4, first 2 shown]
	s_barrier_signal -1
	s_barrier_wait -1
	v_mul_f64_e32 v[94:95], v[24:25], v[42:43]
	v_add_f64_e32 v[54:55], v[54:55], v[98:99]
	v_add_f64_e32 v[62:63], v[104:105], v[82:83]
	;; [unrolled: 1-line block ×8, first 2 shown]
	v_mul_f64_e32 v[84:85], v[26:27], v[38:39]
	v_mul_f64_e32 v[86:87], v[24:25], v[38:39]
	v_mul_f64_e32 v[88:89], v[26:27], v[42:43]
	v_mul_f64_e32 v[98:99], v[34:35], v[38:39]
	v_mul_f64_e32 v[104:105], v[32:33], v[38:39]
	v_mul_f64_e32 v[38:39], v[34:35], v[42:43]
	v_mul_f64_e32 v[106:107], v[32:33], v[42:43]
	v_fma_f64 v[42:43], v[2:3], v[46:47], -v[100:101]
	v_fmac_f64_e32 v[102:103], v[4:5], v[46:47]
	v_fma_f64 v[2:3], v[2:3], v[50:51], -v[108:109]
	v_fmac_f64_e32 v[112:113], v[4:5], v[50:51]
	;; [unrolled: 2-line block ×4, first 2 shown]
	v_fmac_f64_e32 v[94:95], v[26:27], v[40:41]
	v_add_f64_e32 v[50:51], v[54:55], v[90:91]
	v_add_f64_e32 v[54:55], v[92:93], v[62:63]
	;; [unrolled: 1-line block ×8, first 2 shown]
	v_fma_f64 v[68:69], v[24:25], v[36:37], -v[84:85]
	v_fmac_f64_e32 v[86:87], v[26:27], v[36:37]
	v_fma_f64 v[24:25], v[24:25], v[40:41], -v[88:89]
	v_fma_f64 v[26:27], v[32:33], v[36:37], -v[98:99]
	v_fmac_f64_e32 v[104:105], v[34:35], v[36:37]
	v_fma_f64 v[70:71], v[32:33], v[40:41], -v[38:39]
	v_fmac_f64_e32 v[106:107], v[34:35], v[40:41]
	v_add_f64_e32 v[32:33], v[50:51], v[42:43]
	v_add_f64_e32 v[34:35], v[102:103], v[54:55]
	;; [unrolled: 1-line block ×16, first 2 shown]
	s_cbranch_vccz .LBB263_19
.LBB263_10:                             ;   Parent Loop BB263_7 Depth=1
                                        ; =>  This Inner Loop Header: Depth=2
	s_mov_b32 s24, 0
	s_mov_b32 s28, s11
	s_and_saveexec_b32 s25, s0
	s_cbranch_execnz .LBB263_16
; %bb.11:                               ;   in Loop: Header=BB263_10 Depth=2
	s_or_b32 exec_lo, exec_lo, s25
	s_and_saveexec_b32 s25, s28
	s_delay_alu instid0(SALU_CYCLE_1)
	s_xor_b32 s25, exec_lo, s25
	s_cbranch_execnz .LBB263_17
.LBB263_12:                             ;   in Loop: Header=BB263_10 Depth=2
	s_or_b32 exec_lo, exec_lo, s25
	s_and_saveexec_b32 s25, s24
	s_cbranch_execz .LBB263_14
.LBB263_13:                             ;   in Loop: Header=BB263_10 Depth=2
	v_mul_u64_e32 v[2:3], s[14:15], v[22:23]
	s_delay_alu instid0(VALU_DEP_1)
	v_lshl_add_u64 v[2:3], v[2:3], 4, v[28:29]
	global_load_b128 v[2:5], v[2:3], off
	s_wait_loadcnt 0x0
	ds_store_2addr_b64 v7, v[2:3], v[4:5] offset1:1
.LBB263_14:                             ;   in Loop: Header=BB263_10 Depth=2
	s_wait_xcnt 0x0
	s_or_b32 exec_lo, exec_lo, s25
	v_add_nc_u32_e32 v0, s2, v6
	v_mov_b64_e32 v[2:3], 0
	v_mov_b64_e32 v[4:5], 0
	s_delay_alu instid0(VALU_DEP_3) | instskip(SKIP_1) | instid1(SALU_CYCLE_1)
	v_cmp_gt_u64_e32 vcc_lo, s[8:9], v[0:1]
	s_and_b32 s25, vcc_lo, s1
	s_and_saveexec_b32 s24, s25
	s_cbranch_execz .LBB263_9
; %bb.15:                               ;   in Loop: Header=BB263_10 Depth=2
	v_mul_u64_e32 v[2:3], s[20:21], v[0:1]
	s_delay_alu instid0(VALU_DEP_1)
	v_lshl_add_u64 v[2:3], v[2:3], 4, v[30:31]
	global_load_b128 v[2:5], v[2:3], off
	s_wait_loadcnt 0x0
	v_xor_b32_e32 v5, 0x80000000, v5
	s_branch .LBB263_9
.LBB263_16:                             ;   in Loop: Header=BB263_10 Depth=2
	v_add_nc_u32_e32 v0, s2, v8
	s_and_not1_b32 s28, s11, exec_lo
	s_mov_b32 s24, exec_lo
	s_delay_alu instid0(VALU_DEP_1) | instskip(SKIP_2) | instid1(SALU_CYCLE_1)
	v_cmp_le_u64_e32 vcc_lo, s[8:9], v[0:1]
	v_mov_b64_e32 v[22:23], v[0:1]
	s_and_b32 s29, vcc_lo, exec_lo
	s_or_b32 s28, s28, s29
	s_or_b32 exec_lo, exec_lo, s25
	s_and_saveexec_b32 s25, s28
	s_delay_alu instid0(SALU_CYCLE_1)
	s_xor_b32 s25, exec_lo, s25
	s_cbranch_execz .LBB263_12
.LBB263_17:                             ;   in Loop: Header=BB263_10 Depth=2
	v_dual_mov_b32 v0, v1 :: v_dual_mov_b32 v2, v1
	v_mov_b32_e32 v3, v1
	s_and_not1_b32 s24, s24, exec_lo
	ds_store_b128 v7, v[0:3]
	s_or_b32 exec_lo, exec_lo, s25
	s_and_saveexec_b32 s25, s24
	s_cbranch_execnz .LBB263_13
	s_branch .LBB263_14
.LBB263_18:                             ;   in Loop: Header=BB263_7 Depth=1
	v_mov_b64_e32 v[42:43], 0
	v_mov_b64_e32 v[36:37], 0
	;; [unrolled: 1-line block ×7, first 2 shown]
.LBB263_19:                             ;   in Loop: Header=BB263_7 Depth=1
	s_mul_u64 s[2:3], s[30:31], s[6:7]
	s_delay_alu instid0(SALU_CYCLE_1) | instskip(NEXT) | instid1(SALU_CYCLE_1)
	s_lshl_b64 s[2:3], s[2:3], 4
	s_add_nc_u64 s[2:3], s[26:27], s[2:3]
	s_delay_alu instid0(SALU_CYCLE_1)
	v_lshl_add_u64 v[28:29], v[10:11], 4, s[2:3]
	s_and_saveexec_b32 s24, s13
	s_cbranch_execz .LBB263_24
; %bb.20:                               ;   in Loop: Header=BB263_7 Depth=1
	v_mul_f64_e32 v[2:3], s[42:43], v[42:43]
	v_mul_f64_e32 v[4:5], s[40:41], v[42:43]
	v_lshl_add_u64 v[30:31], v[16:17], 4, v[28:29]
	s_and_b32 vcc_lo, exec_lo, s12
	s_mov_b32 s25, -1
	s_delay_alu instid0(VALU_DEP_3) | instskip(NEXT) | instid1(VALU_DEP_3)
	v_fma_f64 v[2:3], s[40:41], v[40:41], -v[2:3]
	v_fmac_f64_e32 v[4:5], s[42:43], v[40:41]
	s_cbranch_vccz .LBB263_22
; %bb.21:                               ;   in Loop: Header=BB263_7 Depth=1
	global_load_b128 v[40:43], v[30:31], off
	s_mov_b32 s25, 0
	s_wait_loadcnt 0x0
	v_mul_f64_e32 v[46:47], s[38:39], v[42:43]
	v_mul_f64_e32 v[42:43], s[36:37], v[42:43]
	s_delay_alu instid0(VALU_DEP_2) | instskip(NEXT) | instid1(VALU_DEP_2)
	v_fma_f64 v[46:47], s[36:37], v[40:41], -v[46:47]
	v_fmac_f64_e32 v[42:43], s[38:39], v[40:41]
	s_delay_alu instid0(VALU_DEP_2) | instskip(NEXT) | instid1(VALU_DEP_2)
	v_add_f64_e32 v[40:41], v[2:3], v[46:47]
	v_add_f64_e32 v[42:43], v[4:5], v[42:43]
	global_store_b128 v[30:31], v[40:43], off
.LBB263_22:                             ;   in Loop: Header=BB263_7 Depth=1
	s_and_not1_b32 vcc_lo, exec_lo, s25
	s_cbranch_vccnz .LBB263_24
; %bb.23:                               ;   in Loop: Header=BB263_7 Depth=1
	global_store_b128 v[30:31], v[2:5], off
.LBB263_24:                             ;   in Loop: Header=BB263_7 Depth=1
	s_wait_xcnt 0x0
	s_or_b32 exec_lo, exec_lo, s24
	s_and_saveexec_b32 s24, s19
	s_cbranch_execz .LBB263_29
; %bb.25:                               ;   in Loop: Header=BB263_7 Depth=1
	v_mul_f64_e32 v[2:3], s[42:43], v[38:39]
	v_mul_f64_e32 v[4:5], s[40:41], v[38:39]
	v_lshl_add_u64 v[28:29], v[20:21], 4, v[28:29]
	s_and_not1_b32 vcc_lo, exec_lo, s12
	s_mov_b32 s25, -1
	s_delay_alu instid0(VALU_DEP_3) | instskip(NEXT) | instid1(VALU_DEP_3)
	v_fma_f64 v[2:3], s[40:41], v[36:37], -v[2:3]
	v_fmac_f64_e32 v[4:5], s[42:43], v[36:37]
	s_cbranch_vccnz .LBB263_27
; %bb.26:                               ;   in Loop: Header=BB263_7 Depth=1
	global_load_b128 v[36:39], v[28:29], off
	s_mov_b32 s25, 0
	s_wait_loadcnt 0x0
	v_mul_f64_e32 v[30:31], s[38:39], v[38:39]
	v_mul_f64_e32 v[38:39], s[36:37], v[38:39]
	s_delay_alu instid0(VALU_DEP_2) | instskip(NEXT) | instid1(VALU_DEP_2)
	v_fma_f64 v[30:31], s[36:37], v[36:37], -v[30:31]
	v_fmac_f64_e32 v[38:39], s[38:39], v[36:37]
	s_delay_alu instid0(VALU_DEP_2) | instskip(NEXT) | instid1(VALU_DEP_2)
	v_add_f64_e32 v[36:37], v[2:3], v[30:31]
	v_add_f64_e32 v[38:39], v[4:5], v[38:39]
	global_store_b128 v[28:29], v[36:39], off
.LBB263_27:                             ;   in Loop: Header=BB263_7 Depth=1
	s_and_not1_b32 vcc_lo, exec_lo, s25
	s_cbranch_vccnz .LBB263_29
; %bb.28:                               ;   in Loop: Header=BB263_7 Depth=1
	global_store_b128 v[28:29], v[2:5], off
.LBB263_29:                             ;   in Loop: Header=BB263_7 Depth=1
	s_wait_xcnt 0x0
	s_or_b32 exec_lo, exec_lo, s24
	v_lshl_add_u64 v[28:29], v[12:13], 4, s[2:3]
	s_and_saveexec_b32 s2, s4
	s_cbranch_execz .LBB263_34
; %bb.30:                               ;   in Loop: Header=BB263_7 Depth=1
	v_mul_f64_e32 v[2:3], s[42:43], v[34:35]
	v_mul_f64_e32 v[4:5], s[40:41], v[34:35]
	v_lshl_add_u64 v[30:31], v[16:17], 4, v[28:29]
	s_and_not1_b32 vcc_lo, exec_lo, s12
	s_mov_b32 s3, -1
	s_delay_alu instid0(VALU_DEP_3) | instskip(NEXT) | instid1(VALU_DEP_3)
	v_fma_f64 v[2:3], s[40:41], v[32:33], -v[2:3]
	v_fmac_f64_e32 v[4:5], s[42:43], v[32:33]
	s_cbranch_vccnz .LBB263_32
; %bb.31:                               ;   in Loop: Header=BB263_7 Depth=1
	global_load_b128 v[32:35], v[30:31], off
	s_mov_b32 s3, 0
	s_wait_loadcnt 0x0
	v_mul_f64_e32 v[36:37], s[38:39], v[34:35]
	v_mul_f64_e32 v[34:35], s[36:37], v[34:35]
	s_delay_alu instid0(VALU_DEP_2) | instskip(NEXT) | instid1(VALU_DEP_2)
	v_fma_f64 v[36:37], s[36:37], v[32:33], -v[36:37]
	v_fmac_f64_e32 v[34:35], s[38:39], v[32:33]
	s_delay_alu instid0(VALU_DEP_2) | instskip(NEXT) | instid1(VALU_DEP_2)
	v_add_f64_e32 v[32:33], v[2:3], v[36:37]
	v_add_f64_e32 v[34:35], v[4:5], v[34:35]
	global_store_b128 v[30:31], v[32:35], off
.LBB263_32:                             ;   in Loop: Header=BB263_7 Depth=1
	s_and_not1_b32 vcc_lo, exec_lo, s3
	s_cbranch_vccnz .LBB263_34
; %bb.33:                               ;   in Loop: Header=BB263_7 Depth=1
	global_store_b128 v[30:31], v[2:5], off
.LBB263_34:                             ;   in Loop: Header=BB263_7 Depth=1
	s_wait_xcnt 0x0
	s_or_b32 exec_lo, exec_lo, s2
	s_and_saveexec_b32 s2, s5
	s_cbranch_execz .LBB263_6
; %bb.35:                               ;   in Loop: Header=BB263_7 Depth=1
	s_delay_alu instid0(VALU_DEP_3) | instskip(SKIP_4) | instid1(VALU_DEP_3)
	v_mul_f64_e32 v[2:3], s[42:43], v[24:25]
	v_mul_f64_e32 v[4:5], s[40:41], v[24:25]
	v_lshl_add_u64 v[24:25], v[20:21], 4, v[28:29]
	s_and_not1_b32 vcc_lo, exec_lo, s12
	s_mov_b32 s3, -1
	v_fma_f64 v[2:3], s[40:41], v[26:27], -v[2:3]
	s_delay_alu instid0(VALU_DEP_3)
	v_fmac_f64_e32 v[4:5], s[42:43], v[26:27]
	s_cbranch_vccnz .LBB263_37
; %bb.36:                               ;   in Loop: Header=BB263_7 Depth=1
	global_load_b128 v[26:29], v[24:25], off
	s_mov_b32 s3, 0
	s_wait_loadcnt 0x0
	v_mul_f64_e32 v[30:31], s[38:39], v[28:29]
	v_mul_f64_e32 v[28:29], s[36:37], v[28:29]
	s_delay_alu instid0(VALU_DEP_2) | instskip(NEXT) | instid1(VALU_DEP_2)
	v_fma_f64 v[30:31], s[36:37], v[26:27], -v[30:31]
	v_fmac_f64_e32 v[28:29], s[38:39], v[26:27]
	s_delay_alu instid0(VALU_DEP_2) | instskip(NEXT) | instid1(VALU_DEP_2)
	v_add_f64_e32 v[26:27], v[2:3], v[30:31]
	v_add_f64_e32 v[28:29], v[4:5], v[28:29]
	global_store_b128 v[24:25], v[26:29], off
.LBB263_37:                             ;   in Loop: Header=BB263_7 Depth=1
	s_and_not1_b32 vcc_lo, exec_lo, s3
	s_cbranch_vccnz .LBB263_6
; %bb.38:                               ;   in Loop: Header=BB263_7 Depth=1
	global_store_b128 v[24:25], v[2:5], off
	s_branch .LBB263_6
.LBB263_39:
.LBB263_40:
	s_sendmsg sendmsg(MSG_DEALLOC_VGPRS)
	s_endpgm
	.section	.rodata,"a",@progbits
	.p2align	6, 0x0
	.amdhsa_kernel _ZL29rocblas_internal_gemmt_kernelIlLi16ELi32ELi8ELc78ELc67ELc76ELb0ELb1E19rocblas_complex_numIdEPKS1_S3_PS1_EviT_T9_T10_S5_lS7_S5_lS6_T11_S5_li
		.amdhsa_group_segment_fixed_size 8192
		.amdhsa_private_segment_fixed_size 0
		.amdhsa_kernarg_size 108
		.amdhsa_user_sgpr_count 2
		.amdhsa_user_sgpr_dispatch_ptr 0
		.amdhsa_user_sgpr_queue_ptr 0
		.amdhsa_user_sgpr_kernarg_segment_ptr 1
		.amdhsa_user_sgpr_dispatch_id 0
		.amdhsa_user_sgpr_kernarg_preload_length 0
		.amdhsa_user_sgpr_kernarg_preload_offset 0
		.amdhsa_user_sgpr_private_segment_size 0
		.amdhsa_wavefront_size32 1
		.amdhsa_uses_dynamic_stack 0
		.amdhsa_enable_private_segment 0
		.amdhsa_system_sgpr_workgroup_id_x 1
		.amdhsa_system_sgpr_workgroup_id_y 1
		.amdhsa_system_sgpr_workgroup_id_z 1
		.amdhsa_system_sgpr_workgroup_info 0
		.amdhsa_system_vgpr_workitem_id 1
		.amdhsa_next_free_vgpr 132
		.amdhsa_next_free_sgpr 44
		.amdhsa_named_barrier_count 0
		.amdhsa_reserve_vcc 1
		.amdhsa_float_round_mode_32 0
		.amdhsa_float_round_mode_16_64 0
		.amdhsa_float_denorm_mode_32 3
		.amdhsa_float_denorm_mode_16_64 3
		.amdhsa_fp16_overflow 0
		.amdhsa_memory_ordered 1
		.amdhsa_forward_progress 1
		.amdhsa_inst_pref_size 24
		.amdhsa_round_robin_scheduling 0
		.amdhsa_exception_fp_ieee_invalid_op 0
		.amdhsa_exception_fp_denorm_src 0
		.amdhsa_exception_fp_ieee_div_zero 0
		.amdhsa_exception_fp_ieee_overflow 0
		.amdhsa_exception_fp_ieee_underflow 0
		.amdhsa_exception_fp_ieee_inexact 0
		.amdhsa_exception_int_div_zero 0
	.end_amdhsa_kernel
	.section	.text._ZL29rocblas_internal_gemmt_kernelIlLi16ELi32ELi8ELc78ELc67ELc76ELb0ELb1E19rocblas_complex_numIdEPKS1_S3_PS1_EviT_T9_T10_S5_lS7_S5_lS6_T11_S5_li,"axG",@progbits,_ZL29rocblas_internal_gemmt_kernelIlLi16ELi32ELi8ELc78ELc67ELc76ELb0ELb1E19rocblas_complex_numIdEPKS1_S3_PS1_EviT_T9_T10_S5_lS7_S5_lS6_T11_S5_li,comdat
.Lfunc_end263:
	.size	_ZL29rocblas_internal_gemmt_kernelIlLi16ELi32ELi8ELc78ELc67ELc76ELb0ELb1E19rocblas_complex_numIdEPKS1_S3_PS1_EviT_T9_T10_S5_lS7_S5_lS6_T11_S5_li, .Lfunc_end263-_ZL29rocblas_internal_gemmt_kernelIlLi16ELi32ELi8ELc78ELc67ELc76ELb0ELb1E19rocblas_complex_numIdEPKS1_S3_PS1_EviT_T9_T10_S5_lS7_S5_lS6_T11_S5_li
                                        ; -- End function
	.set _ZL29rocblas_internal_gemmt_kernelIlLi16ELi32ELi8ELc78ELc67ELc76ELb0ELb1E19rocblas_complex_numIdEPKS1_S3_PS1_EviT_T9_T10_S5_lS7_S5_lS6_T11_S5_li.num_vgpr, 132
	.set _ZL29rocblas_internal_gemmt_kernelIlLi16ELi32ELi8ELc78ELc67ELc76ELb0ELb1E19rocblas_complex_numIdEPKS1_S3_PS1_EviT_T9_T10_S5_lS7_S5_lS6_T11_S5_li.num_agpr, 0
	.set _ZL29rocblas_internal_gemmt_kernelIlLi16ELi32ELi8ELc78ELc67ELc76ELb0ELb1E19rocblas_complex_numIdEPKS1_S3_PS1_EviT_T9_T10_S5_lS7_S5_lS6_T11_S5_li.numbered_sgpr, 44
	.set _ZL29rocblas_internal_gemmt_kernelIlLi16ELi32ELi8ELc78ELc67ELc76ELb0ELb1E19rocblas_complex_numIdEPKS1_S3_PS1_EviT_T9_T10_S5_lS7_S5_lS6_T11_S5_li.num_named_barrier, 0
	.set _ZL29rocblas_internal_gemmt_kernelIlLi16ELi32ELi8ELc78ELc67ELc76ELb0ELb1E19rocblas_complex_numIdEPKS1_S3_PS1_EviT_T9_T10_S5_lS7_S5_lS6_T11_S5_li.private_seg_size, 0
	.set _ZL29rocblas_internal_gemmt_kernelIlLi16ELi32ELi8ELc78ELc67ELc76ELb0ELb1E19rocblas_complex_numIdEPKS1_S3_PS1_EviT_T9_T10_S5_lS7_S5_lS6_T11_S5_li.uses_vcc, 1
	.set _ZL29rocblas_internal_gemmt_kernelIlLi16ELi32ELi8ELc78ELc67ELc76ELb0ELb1E19rocblas_complex_numIdEPKS1_S3_PS1_EviT_T9_T10_S5_lS7_S5_lS6_T11_S5_li.uses_flat_scratch, 0
	.set _ZL29rocblas_internal_gemmt_kernelIlLi16ELi32ELi8ELc78ELc67ELc76ELb0ELb1E19rocblas_complex_numIdEPKS1_S3_PS1_EviT_T9_T10_S5_lS7_S5_lS6_T11_S5_li.has_dyn_sized_stack, 0
	.set _ZL29rocblas_internal_gemmt_kernelIlLi16ELi32ELi8ELc78ELc67ELc76ELb0ELb1E19rocblas_complex_numIdEPKS1_S3_PS1_EviT_T9_T10_S5_lS7_S5_lS6_T11_S5_li.has_recursion, 0
	.set _ZL29rocblas_internal_gemmt_kernelIlLi16ELi32ELi8ELc78ELc67ELc76ELb0ELb1E19rocblas_complex_numIdEPKS1_S3_PS1_EviT_T9_T10_S5_lS7_S5_lS6_T11_S5_li.has_indirect_call, 0
	.section	.AMDGPU.csdata,"",@progbits
; Kernel info:
; codeLenInByte = 2948
; TotalNumSgprs: 46
; NumVgprs: 132
; ScratchSize: 0
; MemoryBound: 1
; FloatMode: 240
; IeeeMode: 1
; LDSByteSize: 8192 bytes/workgroup (compile time only)
; SGPRBlocks: 0
; VGPRBlocks: 8
; NumSGPRsForWavesPerEU: 46
; NumVGPRsForWavesPerEU: 132
; NamedBarCnt: 0
; Occupancy: 7
; WaveLimiterHint : 0
; COMPUTE_PGM_RSRC2:SCRATCH_EN: 0
; COMPUTE_PGM_RSRC2:USER_SGPR: 2
; COMPUTE_PGM_RSRC2:TRAP_HANDLER: 0
; COMPUTE_PGM_RSRC2:TGID_X_EN: 1
; COMPUTE_PGM_RSRC2:TGID_Y_EN: 1
; COMPUTE_PGM_RSRC2:TGID_Z_EN: 1
; COMPUTE_PGM_RSRC2:TIDIG_COMP_CNT: 1
	.section	.text._ZL29rocblas_internal_gemmt_kernelIlLi16ELi32ELi8ELc84ELc78ELc76ELb0ELb0E19rocblas_complex_numIdEPKS1_S3_PS1_EviT_T9_T10_S5_lS7_S5_lS6_T11_S5_li,"axG",@progbits,_ZL29rocblas_internal_gemmt_kernelIlLi16ELi32ELi8ELc84ELc78ELc76ELb0ELb0E19rocblas_complex_numIdEPKS1_S3_PS1_EviT_T9_T10_S5_lS7_S5_lS6_T11_S5_li,comdat
	.globl	_ZL29rocblas_internal_gemmt_kernelIlLi16ELi32ELi8ELc84ELc78ELc76ELb0ELb0E19rocblas_complex_numIdEPKS1_S3_PS1_EviT_T9_T10_S5_lS7_S5_lS6_T11_S5_li ; -- Begin function _ZL29rocblas_internal_gemmt_kernelIlLi16ELi32ELi8ELc84ELc78ELc76ELb0ELb0E19rocblas_complex_numIdEPKS1_S3_PS1_EviT_T9_T10_S5_lS7_S5_lS6_T11_S5_li
	.p2align	8
	.type	_ZL29rocblas_internal_gemmt_kernelIlLi16ELi32ELi8ELc84ELc78ELc76ELb0ELb0E19rocblas_complex_numIdEPKS1_S3_PS1_EviT_T9_T10_S5_lS7_S5_lS6_T11_S5_li,@function
_ZL29rocblas_internal_gemmt_kernelIlLi16ELi32ELi8ELc84ELc78ELc76ELb0ELb0E19rocblas_complex_numIdEPKS1_S3_PS1_EviT_T9_T10_S5_lS7_S5_lS6_T11_S5_li: ; @_ZL29rocblas_internal_gemmt_kernelIlLi16ELi32ELi8ELc84ELc78ELc76ELb0ELb0E19rocblas_complex_numIdEPKS1_S3_PS1_EviT_T9_T10_S5_lS7_S5_lS6_T11_S5_li
; %bb.0:
	s_clause 0x1
	s_load_b256 s[24:31], s[0:1], 0x48
	s_load_b512 s[8:23], s[0:1], 0x8
	s_wait_kmcnt 0x0
	s_load_b128 s[36:39], s[24:25], 0x0
	s_load_b128 s[40:43], s[10:11], 0x0
	s_wait_kmcnt 0x0
	v_cmp_eq_f64_e64 s3, s[36:37], 1.0
	v_cmp_eq_f64_e64 s2, s[38:39], 0
	s_and_b32 s3, s3, s2
	s_delay_alu instid0(SALU_CYCLE_1)
	s_and_not1_b32 vcc_lo, exec_lo, s3
	s_mov_b32 s3, -1
	s_cbranch_vccnz .LBB264_3
; %bb.1:
	s_cmp_lg_u64 s[8:9], 0
	s_cbranch_scc0 .LBB264_41
; %bb.2:
	v_cmp_neq_f64_e64 s3, s[40:41], 0
	v_cmp_neq_f64_e64 s4, s[42:43], 0
	s_or_b32 s3, s3, s4
.LBB264_3:
	s_delay_alu instid0(SALU_CYCLE_1)
	s_and_b32 vcc_lo, exec_lo, s3
	s_cbranch_vccz .LBB264_42
; %bb.4:
	s_load_b32 s5, s[0:1], 0x68
	s_bfe_u32 s3, ttmp6, 0x40014
	s_lshr_b32 s4, ttmp7, 16
	s_add_co_i32 s3, s3, 1
	s_bfe_u32 s7, ttmp6, 0x40008
	s_mul_i32 s6, s4, s3
	s_getreg_b32 s3, hwreg(HW_REG_IB_STS2, 6, 4)
	s_add_co_i32 s7, s7, s6
	s_cmp_eq_u32 s3, 0
	s_cselect_b32 s6, s4, s7
	s_mov_b32 s7, 0
	s_wait_kmcnt 0x0
	s_cmp_ge_u32 s6, s5
	s_cbranch_scc1 .LBB264_42
; %bb.5:
	v_and_b32_e32 v8, 0x3ff, v0
	v_bfe_u32 v9, v0, 10, 10
	s_bfe_u32 s10, ttmp6, 0x4000c
	s_bfe_u32 s24, ttmp6, 0x40010
	s_and_b32 s11, ttmp7, 0xffff
	s_add_co_i32 s10, s10, 1
	s_add_co_i32 s24, s24, 1
	v_lshl_add_u32 v14, v9, 4, v8
	s_and_b32 s4, ttmp6, 15
	s_mul_i32 s10, ttmp9, s10
	s_mul_i32 s24, s11, s24
	s_bfe_u32 s25, ttmp6, 0x40004
	s_add_co_i32 s4, s4, s10
	s_add_co_i32 s25, s25, s24
	s_cmp_eq_u32 s3, 0
	v_dual_lshrrev_b32 v15, 3, v14 :: v_dual_bitop2_b32 v16, 31, v14 bitop3:0x40
	s_cselect_b32 s3, ttmp9, s4
	s_cselect_b32 s4, s11, s25
	s_lshl_b32 s3, s3, 5
	s_lshl_b32 s4, s4, 5
	s_delay_alu instid0(SALU_CYCLE_1) | instskip(SKIP_2) | instid1(VALU_DEP_3)
	v_dual_add_nc_u32 v4, s4, v15 :: v_dual_bitop2_b32 v2, s3, v16 bitop3:0x54
	v_dual_add_nc_u32 v22, s4, v9 :: v_dual_bitop2_b32 v6, 7, v0 bitop3:0x40
	v_cmp_neq_f64_e64 s11, s[40:41], 0
	v_dual_ashrrev_i32 v3, 31, v2 :: v_dual_ashrrev_i32 v5, 31, v4
	s_delay_alu instid0(VALU_DEP_3) | instskip(SKIP_1) | instid1(VALU_DEP_3)
	v_dual_add_nc_u32 v0, 16, v22 :: v_dual_ashrrev_i32 v23, 31, v22
	v_cmp_neq_f64_e64 s24, s[42:43], 0
	v_mul_u64_e32 v[18:19], s[14:15], v[2:3]
	s_delay_alu instid0(VALU_DEP_4) | instskip(NEXT) | instid1(VALU_DEP_4)
	v_mul_u64_e32 v[20:21], s[20:21], v[4:5]
	v_dual_lshlrev_b32 v3, 4, v6 :: v_dual_ashrrev_i32 v1, 31, v0
	v_cmp_neq_f64_e64 s15, s[36:37], 0
	s_load_b32 s14, s[0:1], 0x0
	v_mul_u64_e32 v[10:11], s[28:29], v[22:23]
	v_dual_lshlrev_b32 v7, 4, v8 :: v_dual_add_nc_u32 v8, s3, v8
	v_mul_u64_e32 v[12:13], s[28:29], v[0:1]
	v_dual_lshrrev_b32 v14, 5, v14 :: v_dual_lshlrev_b32 v1, 4, v16
	s_xor_b32 s21, s2, -1
	s_delay_alu instid0(VALU_DEP_3)
	v_add_nc_u32_e32 v16, 16, v8
	v_cmp_le_i32_e32 vcc_lo, v22, v8
	v_lshl_add_u32 v43, v9, 7, 0x1000
	v_ashrrev_i32_e32 v9, 31, v8
	v_lshl_or_b32 v3, v15, 7, v3
	v_cmp_le_i32_e64 s3, v22, v16
	v_cmp_gt_i64_e64 s20, s[8:9], 0
	v_lshl_or_b32 v15, v14, 9, v1
	v_ashrrev_i32_e32 v17, 31, v16
	v_dual_mov_b32 v1, 0 :: v_dual_add_nc_u32 v42, 0x1000, v3
                                        ; implicit-def: $vgpr22_vgpr23
	s_wait_kmcnt 0x0
	v_cmp_gt_i32_e64 s2, s14, v8
	v_cmp_gt_i32_e64 s4, s14, v16
	;; [unrolled: 1-line block ×4, first 2 shown]
	v_cmp_le_i32_e64 s10, s14, v2
	s_or_b32 s24, s11, s24
	v_lshl_add_u64 v[18:19], v[18:19], 4, s[12:13]
	s_and_b32 s12, vcc_lo, s2
	s_and_b32 s13, s3, s4
	v_cmp_le_i32_e32 vcc_lo, v0, v8
	v_cmp_le_i32_e64 s3, v0, v16
	v_lshl_add_u64 v[20:21], v[20:21], 4, s[18:19]
	s_or_b32 s11, s15, s21
	s_and_b32 s14, s24, s20
	s_and_b32 s15, vcc_lo, s2
	s_and_b32 s4, s3, s4
	s_xor_b32 s1, s1, -1
	s_branch .LBB264_7
.LBB264_6:                              ;   in Loop: Header=BB264_7 Depth=1
	s_wait_xcnt 0x0
	s_or_b32 exec_lo, exec_lo, s2
	s_add_co_i32 s6, s6, 0x10000
	s_delay_alu instid0(SALU_CYCLE_1)
	s_cmp_lt_u32 s6, s5
	s_cbranch_scc0 .LBB264_42
.LBB264_7:                              ; =>This Loop Header: Depth=1
                                        ;     Child Loop BB264_10 Depth 2
	v_mov_b64_e32 v[34:35], 0
	s_and_not1_b32 vcc_lo, exec_lo, s14
	s_cbranch_vccnz .LBB264_20
; %bb.8:                                ;   in Loop: Header=BB264_7 Depth=1
	s_mul_u64 s[2:3], s[22:23], s[6:7]
	s_mul_u64 s[18:19], s[16:17], s[6:7]
	v_mov_b64_e32 v[38:39], 0
	v_mov_b64_e32 v[40:41], 0
	;; [unrolled: 1-line block ×8, first 2 shown]
	v_lshl_add_u64 v[4:5], s[18:19], 4, v[18:19]
	v_lshl_add_u64 v[24:25], s[2:3], 4, v[20:21]
	s_mov_b64 s[2:3], 0
	s_branch .LBB264_10
.LBB264_9:                              ;   in Loop: Header=BB264_10 Depth=2
	s_wait_xcnt 0x0
	s_or_b32 exec_lo, exec_lo, s18
	s_wait_dscnt 0x0
	s_barrier_signal -1
	s_barrier_wait -1
	ds_load_b128 v[44:47], v43
	ds_load_b128 v[48:51], v43 offset:16
	ds_load_b128 v[52:55], v43 offset:32
	;; [unrolled: 1-line block ×3, first 2 shown]
	ds_load_b128 v[60:63], v7
	s_add_nc_u64 s[2:3], s[2:3], 8
	s_delay_alu instid0(SALU_CYCLE_1) | instskip(SKIP_4) | instid1(VALU_DEP_2)
	v_cmp_gt_i64_e64 s18, s[8:9], s[2:3]
	s_and_b32 vcc_lo, exec_lo, s18
	s_wait_dscnt 0x0
	v_mul_f64_e32 v[2:3], v[46:47], v[62:63]
	v_mul_f64_e32 v[64:65], v[44:45], v[62:63]
	v_fma_f64 v[2:3], v[44:45], v[60:61], -v[2:3]
	s_delay_alu instid0(VALU_DEP_2) | instskip(NEXT) | instid1(VALU_DEP_2)
	v_fmac_f64_e32 v[64:65], v[46:47], v[60:61]
	v_add_f64_e32 v[2:3], v[34:35], v[2:3]
	s_delay_alu instid0(VALU_DEP_2) | instskip(SKIP_3) | instid1(VALU_DEP_1)
	v_add_f64_e32 v[64:65], v[64:65], v[36:37]
	ds_load_b128 v[34:37], v7 offset:256
	s_wait_dscnt 0x0
	v_mul_f64_e32 v[66:67], v[46:47], v[36:37]
	v_fma_f64 v[66:67], v[44:45], v[34:35], -v[66:67]
	v_mul_f64_e32 v[44:45], v[44:45], v[36:37]
	s_delay_alu instid0(VALU_DEP_1) | instskip(NEXT) | instid1(VALU_DEP_3)
	v_fmac_f64_e32 v[44:45], v[46:47], v[34:35]
	v_add_f64_e32 v[46:47], v[26:27], v[66:67]
	s_delay_alu instid0(VALU_DEP_2) | instskip(SKIP_4) | instid1(VALU_DEP_2)
	v_add_f64_e32 v[44:45], v[44:45], v[28:29]
	ds_load_b128 v[26:29], v43 offset:2048
	s_wait_dscnt 0x0
	v_mul_f64_e32 v[66:67], v[28:29], v[62:63]
	v_mul_f64_e32 v[62:63], v[26:27], v[62:63]
	v_fma_f64 v[66:67], v[26:27], v[60:61], -v[66:67]
	s_delay_alu instid0(VALU_DEP_2) | instskip(NEXT) | instid1(VALU_DEP_2)
	v_fmac_f64_e32 v[62:63], v[28:29], v[60:61]
	v_add_f64_e32 v[60:61], v[30:31], v[66:67]
	v_mul_f64_e32 v[30:31], v[28:29], v[36:37]
	s_delay_alu instid0(VALU_DEP_3) | instskip(NEXT) | instid1(VALU_DEP_2)
	v_add_f64_e32 v[62:63], v[62:63], v[32:33]
	v_fma_f64 v[30:31], v[26:27], v[34:35], -v[30:31]
	v_mul_f64_e32 v[26:27], v[26:27], v[36:37]
	s_delay_alu instid0(VALU_DEP_2) | instskip(NEXT) | instid1(VALU_DEP_2)
	v_add_f64_e32 v[40:41], v[40:41], v[30:31]
	v_fmac_f64_e32 v[26:27], v[28:29], v[34:35]
	s_delay_alu instid0(VALU_DEP_1) | instskip(SKIP_4) | instid1(VALU_DEP_2)
	v_add_f64_e32 v[38:39], v[26:27], v[38:39]
	ds_load_b128 v[26:29], v7 offset:512
	s_wait_dscnt 0x0
	v_mul_f64_e32 v[30:31], v[50:51], v[28:29]
	v_mul_f64_e32 v[32:33], v[48:49], v[28:29]
	v_fma_f64 v[30:31], v[48:49], v[26:27], -v[30:31]
	s_delay_alu instid0(VALU_DEP_2) | instskip(NEXT) | instid1(VALU_DEP_2)
	v_fmac_f64_e32 v[32:33], v[50:51], v[26:27]
	v_add_f64_e32 v[2:3], v[2:3], v[30:31]
	s_delay_alu instid0(VALU_DEP_2) | instskip(SKIP_4) | instid1(VALU_DEP_2)
	v_add_f64_e32 v[64:65], v[32:33], v[64:65]
	ds_load_b128 v[30:33], v7 offset:768
	s_wait_dscnt 0x0
	v_mul_f64_e32 v[34:35], v[50:51], v[32:33]
	v_mul_f64_e32 v[36:37], v[48:49], v[32:33]
	v_fma_f64 v[34:35], v[48:49], v[30:31], -v[34:35]
	s_delay_alu instid0(VALU_DEP_2) | instskip(NEXT) | instid1(VALU_DEP_2)
	v_fmac_f64_e32 v[36:37], v[50:51], v[30:31]
	v_add_f64_e32 v[46:47], v[46:47], v[34:35]
	s_delay_alu instid0(VALU_DEP_2) | instskip(SKIP_4) | instid1(VALU_DEP_2)
	v_add_f64_e32 v[44:45], v[36:37], v[44:45]
	ds_load_b128 v[34:37], v43 offset:2064
	s_wait_dscnt 0x0
	v_mul_f64_e32 v[48:49], v[36:37], v[28:29]
	v_mul_f64_e32 v[28:29], v[34:35], v[28:29]
	v_fma_f64 v[48:49], v[34:35], v[26:27], -v[48:49]
	s_delay_alu instid0(VALU_DEP_2) | instskip(SKIP_1) | instid1(VALU_DEP_3)
	v_fmac_f64_e32 v[28:29], v[36:37], v[26:27]
	v_mul_f64_e32 v[26:27], v[36:37], v[32:33]
	v_add_f64_e32 v[48:49], v[60:61], v[48:49]
	s_delay_alu instid0(VALU_DEP_3) | instskip(SKIP_1) | instid1(VALU_DEP_4)
	v_add_f64_e32 v[50:51], v[28:29], v[62:63]
	v_mul_f64_e32 v[28:29], v[34:35], v[32:33]
	v_fma_f64 v[26:27], v[34:35], v[30:31], -v[26:27]
	s_delay_alu instid0(VALU_DEP_2) | instskip(NEXT) | instid1(VALU_DEP_2)
	v_fmac_f64_e32 v[28:29], v[36:37], v[30:31]
	v_add_f64_e32 v[40:41], v[40:41], v[26:27]
	s_delay_alu instid0(VALU_DEP_2) | instskip(SKIP_4) | instid1(VALU_DEP_2)
	v_add_f64_e32 v[38:39], v[28:29], v[38:39]
	ds_load_b128 v[26:29], v7 offset:1024
	s_wait_dscnt 0x0
	v_mul_f64_e32 v[30:31], v[54:55], v[28:29]
	v_mul_f64_e32 v[32:33], v[52:53], v[28:29]
	v_fma_f64 v[30:31], v[52:53], v[26:27], -v[30:31]
	s_delay_alu instid0(VALU_DEP_2) | instskip(NEXT) | instid1(VALU_DEP_2)
	v_fmac_f64_e32 v[32:33], v[54:55], v[26:27]
	v_add_f64_e32 v[2:3], v[2:3], v[30:31]
	s_delay_alu instid0(VALU_DEP_2) | instskip(SKIP_4) | instid1(VALU_DEP_2)
	v_add_f64_e32 v[60:61], v[32:33], v[64:65]
	ds_load_b128 v[30:33], v7 offset:1280
	s_wait_dscnt 0x0
	v_mul_f64_e32 v[34:35], v[54:55], v[32:33]
	;; [unrolled: 10-line block ×3, first 2 shown]
	v_mul_f64_e32 v[28:29], v[34:35], v[28:29]
	v_fma_f64 v[52:53], v[34:35], v[26:27], -v[52:53]
	s_delay_alu instid0(VALU_DEP_2) | instskip(SKIP_1) | instid1(VALU_DEP_3)
	v_fmac_f64_e32 v[28:29], v[36:37], v[26:27]
	v_mul_f64_e32 v[26:27], v[36:37], v[32:33]
	v_add_f64_e32 v[48:49], v[48:49], v[52:53]
	s_delay_alu instid0(VALU_DEP_3) | instskip(SKIP_1) | instid1(VALU_DEP_4)
	v_add_f64_e32 v[50:51], v[28:29], v[50:51]
	v_mul_f64_e32 v[28:29], v[34:35], v[32:33]
	v_fma_f64 v[26:27], v[34:35], v[30:31], -v[26:27]
	s_delay_alu instid0(VALU_DEP_2) | instskip(NEXT) | instid1(VALU_DEP_2)
	v_fmac_f64_e32 v[28:29], v[36:37], v[30:31]
	v_add_f64_e32 v[40:41], v[40:41], v[26:27]
	s_delay_alu instid0(VALU_DEP_2) | instskip(SKIP_4) | instid1(VALU_DEP_2)
	v_add_f64_e32 v[38:39], v[28:29], v[38:39]
	ds_load_b128 v[26:29], v7 offset:1536
	s_wait_dscnt 0x0
	v_mul_f64_e32 v[30:31], v[58:59], v[28:29]
	v_mul_f64_e32 v[32:33], v[56:57], v[28:29]
	v_fma_f64 v[30:31], v[56:57], v[26:27], -v[30:31]
	s_delay_alu instid0(VALU_DEP_2) | instskip(NEXT) | instid1(VALU_DEP_2)
	v_fmac_f64_e32 v[32:33], v[58:59], v[26:27]
	v_add_f64_e32 v[2:3], v[2:3], v[30:31]
	s_delay_alu instid0(VALU_DEP_2) | instskip(SKIP_4) | instid1(VALU_DEP_2)
	v_add_f64_e32 v[52:53], v[32:33], v[60:61]
	ds_load_b128 v[30:33], v7 offset:1792
	s_wait_dscnt 0x0
	v_mul_f64_e32 v[34:35], v[58:59], v[32:33]
	;; [unrolled: 10-line block ×3, first 2 shown]
	v_mul_f64_e32 v[28:29], v[34:35], v[28:29]
	v_fma_f64 v[54:55], v[34:35], v[26:27], -v[54:55]
	s_delay_alu instid0(VALU_DEP_2) | instskip(SKIP_1) | instid1(VALU_DEP_3)
	v_fmac_f64_e32 v[28:29], v[36:37], v[26:27]
	v_mul_f64_e32 v[26:27], v[36:37], v[32:33]
	v_add_f64_e32 v[48:49], v[48:49], v[54:55]
	s_delay_alu instid0(VALU_DEP_3) | instskip(SKIP_1) | instid1(VALU_DEP_4)
	v_add_f64_e32 v[50:51], v[28:29], v[50:51]
	v_mul_f64_e32 v[28:29], v[34:35], v[32:33]
	v_fma_f64 v[26:27], v[34:35], v[30:31], -v[26:27]
	s_delay_alu instid0(VALU_DEP_2) | instskip(NEXT) | instid1(VALU_DEP_2)
	v_fmac_f64_e32 v[28:29], v[36:37], v[30:31]
	v_add_f64_e32 v[40:41], v[40:41], v[26:27]
	s_delay_alu instid0(VALU_DEP_2)
	v_add_f64_e32 v[38:39], v[28:29], v[38:39]
	ds_load_b128 v[26:29], v43 offset:64
	ds_load_b128 v[30:33], v7 offset:2048
	s_wait_dscnt 0x0
	v_mul_f64_e32 v[34:35], v[28:29], v[32:33]
	v_mul_f64_e32 v[36:37], v[26:27], v[32:33]
	s_delay_alu instid0(VALU_DEP_2) | instskip(NEXT) | instid1(VALU_DEP_2)
	v_fma_f64 v[34:35], v[26:27], v[30:31], -v[34:35]
	v_fmac_f64_e32 v[36:37], v[28:29], v[30:31]
	s_delay_alu instid0(VALU_DEP_2) | instskip(NEXT) | instid1(VALU_DEP_2)
	v_add_f64_e32 v[2:3], v[2:3], v[34:35]
	v_add_f64_e32 v[52:53], v[36:37], v[52:53]
	ds_load_b128 v[34:37], v7 offset:2304
	s_wait_dscnt 0x0
	v_mul_f64_e32 v[54:55], v[28:29], v[36:37]
	s_delay_alu instid0(VALU_DEP_1) | instskip(SKIP_1) | instid1(VALU_DEP_2)
	v_fma_f64 v[54:55], v[26:27], v[34:35], -v[54:55]
	v_mul_f64_e32 v[26:27], v[26:27], v[36:37]
	v_add_f64_e32 v[46:47], v[46:47], v[54:55]
	s_delay_alu instid0(VALU_DEP_2) | instskip(NEXT) | instid1(VALU_DEP_1)
	v_fmac_f64_e32 v[26:27], v[28:29], v[34:35]
	v_add_f64_e32 v[44:45], v[26:27], v[44:45]
	ds_load_b128 v[26:29], v43 offset:2112
	s_wait_dscnt 0x0
	v_mul_f64_e32 v[54:55], v[28:29], v[32:33]
	v_mul_f64_e32 v[32:33], v[26:27], v[32:33]
	s_delay_alu instid0(VALU_DEP_2) | instskip(NEXT) | instid1(VALU_DEP_2)
	v_fma_f64 v[54:55], v[26:27], v[30:31], -v[54:55]
	v_fmac_f64_e32 v[32:33], v[28:29], v[30:31]
	v_mul_f64_e32 v[30:31], v[28:29], v[36:37]
	s_delay_alu instid0(VALU_DEP_3) | instskip(NEXT) | instid1(VALU_DEP_3)
	v_add_f64_e32 v[48:49], v[48:49], v[54:55]
	v_add_f64_e32 v[50:51], v[32:33], v[50:51]
	s_delay_alu instid0(VALU_DEP_3) | instskip(SKIP_1) | instid1(VALU_DEP_2)
	v_fma_f64 v[30:31], v[26:27], v[34:35], -v[30:31]
	v_mul_f64_e32 v[26:27], v[26:27], v[36:37]
	v_add_f64_e32 v[40:41], v[40:41], v[30:31]
	s_delay_alu instid0(VALU_DEP_2) | instskip(NEXT) | instid1(VALU_DEP_1)
	v_fmac_f64_e32 v[26:27], v[28:29], v[34:35]
	v_add_f64_e32 v[38:39], v[26:27], v[38:39]
	ds_load_b128 v[26:29], v43 offset:80
	ds_load_b128 v[30:33], v7 offset:2560
	s_wait_dscnt 0x0
	v_mul_f64_e32 v[34:35], v[28:29], v[32:33]
	v_mul_f64_e32 v[36:37], v[26:27], v[32:33]
	s_delay_alu instid0(VALU_DEP_2) | instskip(NEXT) | instid1(VALU_DEP_2)
	v_fma_f64 v[34:35], v[26:27], v[30:31], -v[34:35]
	v_fmac_f64_e32 v[36:37], v[28:29], v[30:31]
	s_delay_alu instid0(VALU_DEP_2) | instskip(NEXT) | instid1(VALU_DEP_2)
	v_add_f64_e32 v[2:3], v[2:3], v[34:35]
	v_add_f64_e32 v[52:53], v[36:37], v[52:53]
	ds_load_b128 v[34:37], v7 offset:2816
	s_wait_dscnt 0x0
	v_mul_f64_e32 v[54:55], v[28:29], v[36:37]
	s_delay_alu instid0(VALU_DEP_1) | instskip(SKIP_1) | instid1(VALU_DEP_2)
	v_fma_f64 v[54:55], v[26:27], v[34:35], -v[54:55]
	v_mul_f64_e32 v[26:27], v[26:27], v[36:37]
	v_add_f64_e32 v[46:47], v[46:47], v[54:55]
	s_delay_alu instid0(VALU_DEP_2) | instskip(NEXT) | instid1(VALU_DEP_1)
	v_fmac_f64_e32 v[26:27], v[28:29], v[34:35]
	v_add_f64_e32 v[44:45], v[26:27], v[44:45]
	ds_load_b128 v[26:29], v43 offset:2128
	s_wait_dscnt 0x0
	v_mul_f64_e32 v[54:55], v[28:29], v[32:33]
	v_mul_f64_e32 v[32:33], v[26:27], v[32:33]
	s_delay_alu instid0(VALU_DEP_2) | instskip(NEXT) | instid1(VALU_DEP_2)
	v_fma_f64 v[54:55], v[26:27], v[30:31], -v[54:55]
	v_fmac_f64_e32 v[32:33], v[28:29], v[30:31]
	v_mul_f64_e32 v[30:31], v[28:29], v[36:37]
	s_delay_alu instid0(VALU_DEP_3) | instskip(NEXT) | instid1(VALU_DEP_3)
	v_add_f64_e32 v[48:49], v[48:49], v[54:55]
	v_add_f64_e32 v[50:51], v[32:33], v[50:51]
	s_delay_alu instid0(VALU_DEP_3) | instskip(SKIP_1) | instid1(VALU_DEP_2)
	v_fma_f64 v[30:31], v[26:27], v[34:35], -v[30:31]
	v_mul_f64_e32 v[26:27], v[26:27], v[36:37]
	v_add_f64_e32 v[40:41], v[40:41], v[30:31]
	s_delay_alu instid0(VALU_DEP_2) | instskip(NEXT) | instid1(VALU_DEP_1)
	v_fmac_f64_e32 v[26:27], v[28:29], v[34:35]
	;; [unrolled: 39-line block ×3, first 2 shown]
	v_add_f64_e32 v[56:57], v[26:27], v[38:39]
	ds_load_b128 v[26:29], v43 offset:112
	ds_load_b128 v[30:33], v7 offset:3584
	;; [unrolled: 1-line block ×3, first 2 shown]
	s_wait_dscnt 0x1
	v_mul_f64_e32 v[34:35], v[28:29], v[32:33]
	v_mul_f64_e32 v[36:37], v[26:27], v[32:33]
	s_delay_alu instid0(VALU_DEP_2) | instskip(NEXT) | instid1(VALU_DEP_2)
	v_fma_f64 v[34:35], v[26:27], v[30:31], -v[34:35]
	v_fmac_f64_e32 v[36:37], v[28:29], v[30:31]
	s_delay_alu instid0(VALU_DEP_2) | instskip(NEXT) | instid1(VALU_DEP_2)
	v_add_f64_e32 v[34:35], v[2:3], v[34:35]
	v_add_f64_e32 v[36:37], v[36:37], v[52:53]
	s_wait_dscnt 0x0
	v_mul_f64_e32 v[2:3], v[28:29], v[40:41]
	v_mul_f64_e32 v[52:53], v[26:27], v[40:41]
	s_delay_alu instid0(VALU_DEP_2) | instskip(NEXT) | instid1(VALU_DEP_2)
	v_fma_f64 v[2:3], v[26:27], v[38:39], -v[2:3]
	v_fmac_f64_e32 v[52:53], v[28:29], v[38:39]
	s_delay_alu instid0(VALU_DEP_2) | instskip(NEXT) | instid1(VALU_DEP_2)
	v_add_f64_e32 v[26:27], v[46:47], v[2:3]
	v_add_f64_e32 v[28:29], v[52:53], v[44:45]
	ds_load_b128 v[44:47], v43 offset:2160
	s_wait_dscnt 0x0
	s_barrier_signal -1
	s_barrier_wait -1
	v_mul_f64_e32 v[2:3], v[46:47], v[32:33]
	v_mul_f64_e32 v[32:33], v[44:45], v[32:33]
	s_delay_alu instid0(VALU_DEP_2) | instskip(NEXT) | instid1(VALU_DEP_2)
	v_fma_f64 v[2:3], v[44:45], v[30:31], -v[2:3]
	v_fmac_f64_e32 v[32:33], v[46:47], v[30:31]
	s_delay_alu instid0(VALU_DEP_2) | instskip(SKIP_1) | instid1(VALU_DEP_3)
	v_add_f64_e32 v[30:31], v[48:49], v[2:3]
	v_mul_f64_e32 v[2:3], v[46:47], v[40:41]
	v_add_f64_e32 v[32:33], v[32:33], v[50:51]
	s_delay_alu instid0(VALU_DEP_2) | instskip(SKIP_1) | instid1(VALU_DEP_2)
	v_fma_f64 v[2:3], v[44:45], v[38:39], -v[2:3]
	v_mul_f64_e32 v[44:45], v[44:45], v[40:41]
	v_add_f64_e32 v[40:41], v[54:55], v[2:3]
	s_delay_alu instid0(VALU_DEP_2) | instskip(NEXT) | instid1(VALU_DEP_1)
	v_fmac_f64_e32 v[44:45], v[46:47], v[38:39]
	v_add_f64_e32 v[38:39], v[44:45], v[56:57]
	s_cbranch_vccz .LBB264_21
.LBB264_10:                             ;   Parent Loop BB264_7 Depth=1
                                        ; =>  This Inner Loop Header: Depth=2
	s_mov_b32 s18, 0
	s_mov_b32 s20, s10
	s_and_saveexec_b32 s19, s0
	s_cbranch_execnz .LBB264_18
; %bb.11:                               ;   in Loop: Header=BB264_10 Depth=2
	s_or_b32 exec_lo, exec_lo, s19
	s_and_saveexec_b32 s19, s20
	s_delay_alu instid0(SALU_CYCLE_1)
	s_xor_b32 s19, exec_lo, s19
	s_cbranch_execnz .LBB264_19
.LBB264_12:                             ;   in Loop: Header=BB264_10 Depth=2
	s_or_b32 exec_lo, exec_lo, s19
	s_and_saveexec_b32 s19, s18
	s_cbranch_execz .LBB264_14
.LBB264_13:                             ;   in Loop: Header=BB264_10 Depth=2
	v_lshl_add_u64 v[2:3], v[22:23], 4, v[4:5]
	global_load_b128 v[44:47], v[2:3], off
	s_wait_loadcnt 0x0
	ds_store_2addr_b64 v15, v[44:45], v[46:47] offset1:1
.LBB264_14:                             ;   in Loop: Header=BB264_10 Depth=2
	s_wait_xcnt 0x0
	s_or_b32 exec_lo, exec_lo, s19
	v_add_nc_u32_e32 v0, s2, v6
	s_delay_alu instid0(VALU_DEP_1) | instskip(SKIP_1) | instid1(SALU_CYCLE_1)
	v_cmp_le_u64_e32 vcc_lo, s[8:9], v[0:1]
	s_or_b32 s18, vcc_lo, s1
	s_and_saveexec_b32 s19, s18
	s_delay_alu instid0(SALU_CYCLE_1)
	s_xor_b32 s18, exec_lo, s19
; %bb.15:                               ;   in Loop: Header=BB264_10 Depth=2
	v_dual_mov_b32 v0, v1 :: v_dual_mov_b32 v2, v1
	v_mov_b32_e32 v3, v1
	ds_store_b128 v42, v[0:3]
; %bb.16:                               ;   in Loop: Header=BB264_10 Depth=2
	s_and_not1_saveexec_b32 s18, s18
	s_cbranch_execz .LBB264_9
; %bb.17:                               ;   in Loop: Header=BB264_10 Depth=2
	v_lshl_add_u64 v[2:3], v[0:1], 4, v[24:25]
	global_load_b128 v[44:47], v[2:3], off
	s_wait_loadcnt 0x0
	ds_store_2addr_b64 v42, v[44:45], v[46:47] offset1:1
	s_branch .LBB264_9
.LBB264_18:                             ;   in Loop: Header=BB264_10 Depth=2
	v_add_nc_u32_e32 v0, s2, v14
	s_and_not1_b32 s20, s10, exec_lo
	s_mov_b32 s18, exec_lo
	s_delay_alu instid0(VALU_DEP_1) | instskip(SKIP_2) | instid1(SALU_CYCLE_1)
	v_cmp_le_u64_e32 vcc_lo, s[8:9], v[0:1]
	v_mov_b64_e32 v[22:23], v[0:1]
	s_and_b32 s21, vcc_lo, exec_lo
	s_or_b32 s20, s20, s21
	s_or_b32 exec_lo, exec_lo, s19
	s_and_saveexec_b32 s19, s20
	s_delay_alu instid0(SALU_CYCLE_1)
	s_xor_b32 s19, exec_lo, s19
	s_cbranch_execz .LBB264_12
.LBB264_19:                             ;   in Loop: Header=BB264_10 Depth=2
	v_dual_mov_b32 v0, v1 :: v_dual_mov_b32 v2, v1
	v_mov_b32_e32 v3, v1
	s_and_not1_b32 s18, s18, exec_lo
	ds_store_b128 v15, v[0:3]
	s_or_b32 exec_lo, exec_lo, s19
	s_and_saveexec_b32 s19, s18
	s_cbranch_execnz .LBB264_13
	s_branch .LBB264_14
.LBB264_20:                             ;   in Loop: Header=BB264_7 Depth=1
	v_mov_b64_e32 v[36:37], 0
	v_mov_b64_e32 v[26:27], 0
	;; [unrolled: 1-line block ×7, first 2 shown]
.LBB264_21:                             ;   in Loop: Header=BB264_7 Depth=1
	s_mul_u64 s[2:3], s[30:31], s[6:7]
	s_delay_alu instid0(SALU_CYCLE_1) | instskip(NEXT) | instid1(SALU_CYCLE_1)
	s_lshl_b64 s[2:3], s[2:3], 4
	s_add_nc_u64 s[2:3], s[26:27], s[2:3]
	s_delay_alu instid0(SALU_CYCLE_1)
	v_lshl_add_u64 v[24:25], v[10:11], 4, s[2:3]
	s_and_saveexec_b32 s18, s12
	s_cbranch_execz .LBB264_26
; %bb.22:                               ;   in Loop: Header=BB264_7 Depth=1
	v_mul_f64_e32 v[2:3], s[42:43], v[36:37]
	v_mul_f64_e32 v[4:5], s[40:41], v[36:37]
	s_and_b32 vcc_lo, exec_lo, s11
	s_mov_b32 s19, -1
	s_delay_alu instid0(VALU_DEP_2) | instskip(NEXT) | instid1(VALU_DEP_2)
	v_fma_f64 v[2:3], s[40:41], v[34:35], -v[2:3]
	v_fmac_f64_e32 v[4:5], s[42:43], v[34:35]
	v_lshl_add_u64 v[34:35], v[8:9], 4, v[24:25]
	s_cbranch_vccz .LBB264_24
; %bb.23:                               ;   in Loop: Header=BB264_7 Depth=1
	global_load_b128 v[44:47], v[34:35], off
	s_mov_b32 s19, 0
	s_wait_loadcnt 0x0
	v_mul_f64_e32 v[36:37], s[38:39], v[46:47]
	v_mul_f64_e32 v[46:47], s[36:37], v[46:47]
	s_delay_alu instid0(VALU_DEP_2) | instskip(NEXT) | instid1(VALU_DEP_2)
	v_fma_f64 v[36:37], s[36:37], v[44:45], -v[36:37]
	v_fmac_f64_e32 v[46:47], s[38:39], v[44:45]
	s_delay_alu instid0(VALU_DEP_2) | instskip(NEXT) | instid1(VALU_DEP_2)
	v_add_f64_e32 v[44:45], v[2:3], v[36:37]
	v_add_f64_e32 v[46:47], v[4:5], v[46:47]
	global_store_b128 v[34:35], v[44:47], off
.LBB264_24:                             ;   in Loop: Header=BB264_7 Depth=1
	s_and_not1_b32 vcc_lo, exec_lo, s19
	s_cbranch_vccnz .LBB264_26
; %bb.25:                               ;   in Loop: Header=BB264_7 Depth=1
	global_store_b128 v[34:35], v[2:5], off
.LBB264_26:                             ;   in Loop: Header=BB264_7 Depth=1
	s_wait_xcnt 0x0
	s_or_b32 exec_lo, exec_lo, s18
	s_and_saveexec_b32 s18, s13
	s_cbranch_execz .LBB264_31
; %bb.27:                               ;   in Loop: Header=BB264_7 Depth=1
	v_mul_f64_e32 v[2:3], s[42:43], v[28:29]
	v_mul_f64_e32 v[4:5], s[40:41], v[28:29]
	v_lshl_add_u64 v[24:25], v[16:17], 4, v[24:25]
	s_and_not1_b32 vcc_lo, exec_lo, s11
	s_mov_b32 s19, -1
	s_delay_alu instid0(VALU_DEP_3) | instskip(NEXT) | instid1(VALU_DEP_3)
	v_fma_f64 v[2:3], s[40:41], v[26:27], -v[2:3]
	v_fmac_f64_e32 v[4:5], s[42:43], v[26:27]
	s_cbranch_vccnz .LBB264_29
; %bb.28:                               ;   in Loop: Header=BB264_7 Depth=1
	global_load_b128 v[26:29], v[24:25], off
	s_mov_b32 s19, 0
	s_wait_loadcnt 0x0
	v_mul_f64_e32 v[34:35], s[38:39], v[28:29]
	v_mul_f64_e32 v[28:29], s[36:37], v[28:29]
	s_delay_alu instid0(VALU_DEP_2) | instskip(NEXT) | instid1(VALU_DEP_2)
	v_fma_f64 v[34:35], s[36:37], v[26:27], -v[34:35]
	v_fmac_f64_e32 v[28:29], s[38:39], v[26:27]
	s_delay_alu instid0(VALU_DEP_2) | instskip(NEXT) | instid1(VALU_DEP_2)
	v_add_f64_e32 v[26:27], v[2:3], v[34:35]
	v_add_f64_e32 v[28:29], v[4:5], v[28:29]
	global_store_b128 v[24:25], v[26:29], off
.LBB264_29:                             ;   in Loop: Header=BB264_7 Depth=1
	s_and_not1_b32 vcc_lo, exec_lo, s19
	s_cbranch_vccnz .LBB264_31
; %bb.30:                               ;   in Loop: Header=BB264_7 Depth=1
	global_store_b128 v[24:25], v[2:5], off
.LBB264_31:                             ;   in Loop: Header=BB264_7 Depth=1
	s_wait_xcnt 0x0
	s_or_b32 exec_lo, exec_lo, s18
	v_lshl_add_u64 v[24:25], v[12:13], 4, s[2:3]
	s_and_saveexec_b32 s2, s15
	s_cbranch_execz .LBB264_36
; %bb.32:                               ;   in Loop: Header=BB264_7 Depth=1
	v_mul_f64_e32 v[2:3], s[42:43], v[32:33]
	v_mul_f64_e32 v[4:5], s[40:41], v[32:33]
	v_lshl_add_u64 v[26:27], v[8:9], 4, v[24:25]
	s_and_not1_b32 vcc_lo, exec_lo, s11
	s_mov_b32 s3, -1
	s_delay_alu instid0(VALU_DEP_3) | instskip(NEXT) | instid1(VALU_DEP_3)
	v_fma_f64 v[2:3], s[40:41], v[30:31], -v[2:3]
	v_fmac_f64_e32 v[4:5], s[42:43], v[30:31]
	s_cbranch_vccnz .LBB264_34
; %bb.33:                               ;   in Loop: Header=BB264_7 Depth=1
	global_load_b128 v[28:31], v[26:27], off
	s_mov_b32 s3, 0
	s_wait_loadcnt 0x0
	v_mul_f64_e32 v[32:33], s[38:39], v[30:31]
	v_mul_f64_e32 v[30:31], s[36:37], v[30:31]
	s_delay_alu instid0(VALU_DEP_2) | instskip(NEXT) | instid1(VALU_DEP_2)
	v_fma_f64 v[32:33], s[36:37], v[28:29], -v[32:33]
	v_fmac_f64_e32 v[30:31], s[38:39], v[28:29]
	s_delay_alu instid0(VALU_DEP_2) | instskip(NEXT) | instid1(VALU_DEP_2)
	v_add_f64_e32 v[28:29], v[2:3], v[32:33]
	v_add_f64_e32 v[30:31], v[4:5], v[30:31]
	global_store_b128 v[26:27], v[28:31], off
.LBB264_34:                             ;   in Loop: Header=BB264_7 Depth=1
	s_and_not1_b32 vcc_lo, exec_lo, s3
	s_cbranch_vccnz .LBB264_36
; %bb.35:                               ;   in Loop: Header=BB264_7 Depth=1
	global_store_b128 v[26:27], v[2:5], off
.LBB264_36:                             ;   in Loop: Header=BB264_7 Depth=1
	s_wait_xcnt 0x0
	s_or_b32 exec_lo, exec_lo, s2
	s_and_saveexec_b32 s2, s4
	s_cbranch_execz .LBB264_6
; %bb.37:                               ;   in Loop: Header=BB264_7 Depth=1
	s_delay_alu instid0(VALU_DEP_3) | instskip(SKIP_4) | instid1(VALU_DEP_3)
	v_mul_f64_e32 v[2:3], s[42:43], v[38:39]
	v_mul_f64_e32 v[4:5], s[40:41], v[38:39]
	v_lshl_add_u64 v[24:25], v[16:17], 4, v[24:25]
	s_and_not1_b32 vcc_lo, exec_lo, s11
	s_mov_b32 s3, -1
	v_fma_f64 v[2:3], s[40:41], v[40:41], -v[2:3]
	s_delay_alu instid0(VALU_DEP_3)
	v_fmac_f64_e32 v[4:5], s[42:43], v[40:41]
	s_cbranch_vccnz .LBB264_39
; %bb.38:                               ;   in Loop: Header=BB264_7 Depth=1
	global_load_b128 v[26:29], v[24:25], off
	s_mov_b32 s3, 0
	s_wait_loadcnt 0x0
	v_mul_f64_e32 v[30:31], s[38:39], v[28:29]
	v_mul_f64_e32 v[28:29], s[36:37], v[28:29]
	s_delay_alu instid0(VALU_DEP_2) | instskip(NEXT) | instid1(VALU_DEP_2)
	v_fma_f64 v[30:31], s[36:37], v[26:27], -v[30:31]
	v_fmac_f64_e32 v[28:29], s[38:39], v[26:27]
	s_delay_alu instid0(VALU_DEP_2) | instskip(NEXT) | instid1(VALU_DEP_2)
	v_add_f64_e32 v[26:27], v[2:3], v[30:31]
	v_add_f64_e32 v[28:29], v[4:5], v[28:29]
	global_store_b128 v[24:25], v[26:29], off
.LBB264_39:                             ;   in Loop: Header=BB264_7 Depth=1
	s_and_not1_b32 vcc_lo, exec_lo, s3
	s_cbranch_vccnz .LBB264_6
; %bb.40:                               ;   in Loop: Header=BB264_7 Depth=1
	global_store_b128 v[24:25], v[2:5], off
	s_branch .LBB264_6
.LBB264_41:
.LBB264_42:
	s_sendmsg sendmsg(MSG_DEALLOC_VGPRS)
	s_endpgm
	.section	.rodata,"a",@progbits
	.p2align	6, 0x0
	.amdhsa_kernel _ZL29rocblas_internal_gemmt_kernelIlLi16ELi32ELi8ELc84ELc78ELc76ELb0ELb0E19rocblas_complex_numIdEPKS1_S3_PS1_EviT_T9_T10_S5_lS7_S5_lS6_T11_S5_li
		.amdhsa_group_segment_fixed_size 8192
		.amdhsa_private_segment_fixed_size 0
		.amdhsa_kernarg_size 108
		.amdhsa_user_sgpr_count 2
		.amdhsa_user_sgpr_dispatch_ptr 0
		.amdhsa_user_sgpr_queue_ptr 0
		.amdhsa_user_sgpr_kernarg_segment_ptr 1
		.amdhsa_user_sgpr_dispatch_id 0
		.amdhsa_user_sgpr_kernarg_preload_length 0
		.amdhsa_user_sgpr_kernarg_preload_offset 0
		.amdhsa_user_sgpr_private_segment_size 0
		.amdhsa_wavefront_size32 1
		.amdhsa_uses_dynamic_stack 0
		.amdhsa_enable_private_segment 0
		.amdhsa_system_sgpr_workgroup_id_x 1
		.amdhsa_system_sgpr_workgroup_id_y 1
		.amdhsa_system_sgpr_workgroup_id_z 1
		.amdhsa_system_sgpr_workgroup_info 0
		.amdhsa_system_vgpr_workitem_id 1
		.amdhsa_next_free_vgpr 68
		.amdhsa_next_free_sgpr 44
		.amdhsa_named_barrier_count 0
		.amdhsa_reserve_vcc 1
		.amdhsa_float_round_mode_32 0
		.amdhsa_float_round_mode_16_64 0
		.amdhsa_float_denorm_mode_32 3
		.amdhsa_float_denorm_mode_16_64 3
		.amdhsa_fp16_overflow 0
		.amdhsa_memory_ordered 1
		.amdhsa_forward_progress 1
		.amdhsa_inst_pref_size 26
		.amdhsa_round_robin_scheduling 0
		.amdhsa_exception_fp_ieee_invalid_op 0
		.amdhsa_exception_fp_denorm_src 0
		.amdhsa_exception_fp_ieee_div_zero 0
		.amdhsa_exception_fp_ieee_overflow 0
		.amdhsa_exception_fp_ieee_underflow 0
		.amdhsa_exception_fp_ieee_inexact 0
		.amdhsa_exception_int_div_zero 0
	.end_amdhsa_kernel
	.section	.text._ZL29rocblas_internal_gemmt_kernelIlLi16ELi32ELi8ELc84ELc78ELc76ELb0ELb0E19rocblas_complex_numIdEPKS1_S3_PS1_EviT_T9_T10_S5_lS7_S5_lS6_T11_S5_li,"axG",@progbits,_ZL29rocblas_internal_gemmt_kernelIlLi16ELi32ELi8ELc84ELc78ELc76ELb0ELb0E19rocblas_complex_numIdEPKS1_S3_PS1_EviT_T9_T10_S5_lS7_S5_lS6_T11_S5_li,comdat
.Lfunc_end264:
	.size	_ZL29rocblas_internal_gemmt_kernelIlLi16ELi32ELi8ELc84ELc78ELc76ELb0ELb0E19rocblas_complex_numIdEPKS1_S3_PS1_EviT_T9_T10_S5_lS7_S5_lS6_T11_S5_li, .Lfunc_end264-_ZL29rocblas_internal_gemmt_kernelIlLi16ELi32ELi8ELc84ELc78ELc76ELb0ELb0E19rocblas_complex_numIdEPKS1_S3_PS1_EviT_T9_T10_S5_lS7_S5_lS6_T11_S5_li
                                        ; -- End function
	.set _ZL29rocblas_internal_gemmt_kernelIlLi16ELi32ELi8ELc84ELc78ELc76ELb0ELb0E19rocblas_complex_numIdEPKS1_S3_PS1_EviT_T9_T10_S5_lS7_S5_lS6_T11_S5_li.num_vgpr, 68
	.set _ZL29rocblas_internal_gemmt_kernelIlLi16ELi32ELi8ELc84ELc78ELc76ELb0ELb0E19rocblas_complex_numIdEPKS1_S3_PS1_EviT_T9_T10_S5_lS7_S5_lS6_T11_S5_li.num_agpr, 0
	.set _ZL29rocblas_internal_gemmt_kernelIlLi16ELi32ELi8ELc84ELc78ELc76ELb0ELb0E19rocblas_complex_numIdEPKS1_S3_PS1_EviT_T9_T10_S5_lS7_S5_lS6_T11_S5_li.numbered_sgpr, 44
	.set _ZL29rocblas_internal_gemmt_kernelIlLi16ELi32ELi8ELc84ELc78ELc76ELb0ELb0E19rocblas_complex_numIdEPKS1_S3_PS1_EviT_T9_T10_S5_lS7_S5_lS6_T11_S5_li.num_named_barrier, 0
	.set _ZL29rocblas_internal_gemmt_kernelIlLi16ELi32ELi8ELc84ELc78ELc76ELb0ELb0E19rocblas_complex_numIdEPKS1_S3_PS1_EviT_T9_T10_S5_lS7_S5_lS6_T11_S5_li.private_seg_size, 0
	.set _ZL29rocblas_internal_gemmt_kernelIlLi16ELi32ELi8ELc84ELc78ELc76ELb0ELb0E19rocblas_complex_numIdEPKS1_S3_PS1_EviT_T9_T10_S5_lS7_S5_lS6_T11_S5_li.uses_vcc, 1
	.set _ZL29rocblas_internal_gemmt_kernelIlLi16ELi32ELi8ELc84ELc78ELc76ELb0ELb0E19rocblas_complex_numIdEPKS1_S3_PS1_EviT_T9_T10_S5_lS7_S5_lS6_T11_S5_li.uses_flat_scratch, 0
	.set _ZL29rocblas_internal_gemmt_kernelIlLi16ELi32ELi8ELc84ELc78ELc76ELb0ELb0E19rocblas_complex_numIdEPKS1_S3_PS1_EviT_T9_T10_S5_lS7_S5_lS6_T11_S5_li.has_dyn_sized_stack, 0
	.set _ZL29rocblas_internal_gemmt_kernelIlLi16ELi32ELi8ELc84ELc78ELc76ELb0ELb0E19rocblas_complex_numIdEPKS1_S3_PS1_EviT_T9_T10_S5_lS7_S5_lS6_T11_S5_li.has_recursion, 0
	.set _ZL29rocblas_internal_gemmt_kernelIlLi16ELi32ELi8ELc84ELc78ELc76ELb0ELb0E19rocblas_complex_numIdEPKS1_S3_PS1_EviT_T9_T10_S5_lS7_S5_lS6_T11_S5_li.has_indirect_call, 0
	.section	.AMDGPU.csdata,"",@progbits
; Kernel info:
; codeLenInByte = 3240
; TotalNumSgprs: 46
; NumVgprs: 68
; ScratchSize: 0
; MemoryBound: 0
; FloatMode: 240
; IeeeMode: 1
; LDSByteSize: 8192 bytes/workgroup (compile time only)
; SGPRBlocks: 0
; VGPRBlocks: 4
; NumSGPRsForWavesPerEU: 46
; NumVGPRsForWavesPerEU: 68
; NamedBarCnt: 0
; Occupancy: 12
; WaveLimiterHint : 0
; COMPUTE_PGM_RSRC2:SCRATCH_EN: 0
; COMPUTE_PGM_RSRC2:USER_SGPR: 2
; COMPUTE_PGM_RSRC2:TRAP_HANDLER: 0
; COMPUTE_PGM_RSRC2:TGID_X_EN: 1
; COMPUTE_PGM_RSRC2:TGID_Y_EN: 1
; COMPUTE_PGM_RSRC2:TGID_Z_EN: 1
; COMPUTE_PGM_RSRC2:TIDIG_COMP_CNT: 1
	.section	.text._ZL29rocblas_internal_gemmt_kernelIlLi16ELi32ELi8ELc84ELc84ELc76ELb0ELb0E19rocblas_complex_numIdEPKS1_S3_PS1_EviT_T9_T10_S5_lS7_S5_lS6_T11_S5_li,"axG",@progbits,_ZL29rocblas_internal_gemmt_kernelIlLi16ELi32ELi8ELc84ELc84ELc76ELb0ELb0E19rocblas_complex_numIdEPKS1_S3_PS1_EviT_T9_T10_S5_lS7_S5_lS6_T11_S5_li,comdat
	.globl	_ZL29rocblas_internal_gemmt_kernelIlLi16ELi32ELi8ELc84ELc84ELc76ELb0ELb0E19rocblas_complex_numIdEPKS1_S3_PS1_EviT_T9_T10_S5_lS7_S5_lS6_T11_S5_li ; -- Begin function _ZL29rocblas_internal_gemmt_kernelIlLi16ELi32ELi8ELc84ELc84ELc76ELb0ELb0E19rocblas_complex_numIdEPKS1_S3_PS1_EviT_T9_T10_S5_lS7_S5_lS6_T11_S5_li
	.p2align	8
	.type	_ZL29rocblas_internal_gemmt_kernelIlLi16ELi32ELi8ELc84ELc84ELc76ELb0ELb0E19rocblas_complex_numIdEPKS1_S3_PS1_EviT_T9_T10_S5_lS7_S5_lS6_T11_S5_li,@function
_ZL29rocblas_internal_gemmt_kernelIlLi16ELi32ELi8ELc84ELc84ELc76ELb0ELb0E19rocblas_complex_numIdEPKS1_S3_PS1_EviT_T9_T10_S5_lS7_S5_lS6_T11_S5_li: ; @_ZL29rocblas_internal_gemmt_kernelIlLi16ELi32ELi8ELc84ELc84ELc76ELb0ELb0E19rocblas_complex_numIdEPKS1_S3_PS1_EviT_T9_T10_S5_lS7_S5_lS6_T11_S5_li
; %bb.0:
	s_clause 0x1
	s_load_b256 s[24:31], s[0:1], 0x48
	s_load_b512 s[8:23], s[0:1], 0x8
	s_wait_kmcnt 0x0
	s_load_b128 s[36:39], s[24:25], 0x0
	s_load_b128 s[40:43], s[10:11], 0x0
	s_wait_kmcnt 0x0
	v_cmp_eq_f64_e64 s3, s[36:37], 1.0
	v_cmp_eq_f64_e64 s2, s[38:39], 0
	s_and_b32 s3, s3, s2
	s_delay_alu instid0(SALU_CYCLE_1)
	s_and_not1_b32 vcc_lo, exec_lo, s3
	s_mov_b32 s3, -1
	s_cbranch_vccnz .LBB265_3
; %bb.1:
	s_cmp_lg_u64 s[8:9], 0
	s_cbranch_scc0 .LBB265_41
; %bb.2:
	v_cmp_neq_f64_e64 s3, s[40:41], 0
	v_cmp_neq_f64_e64 s4, s[42:43], 0
	s_or_b32 s3, s3, s4
.LBB265_3:
	s_delay_alu instid0(SALU_CYCLE_1)
	s_and_b32 vcc_lo, exec_lo, s3
	s_cbranch_vccz .LBB265_42
; %bb.4:
	s_load_b32 s5, s[0:1], 0x68
	s_bfe_u32 s3, ttmp6, 0x40014
	s_lshr_b32 s4, ttmp7, 16
	s_add_co_i32 s3, s3, 1
	s_bfe_u32 s7, ttmp6, 0x40008
	s_mul_i32 s6, s4, s3
	s_getreg_b32 s3, hwreg(HW_REG_IB_STS2, 6, 4)
	s_add_co_i32 s7, s7, s6
	s_cmp_eq_u32 s3, 0
	s_cselect_b32 s6, s4, s7
	s_mov_b32 s7, 0
	s_wait_kmcnt 0x0
	s_cmp_ge_u32 s6, s5
	s_cbranch_scc1 .LBB265_42
; %bb.5:
	v_and_b32_e32 v9, 0x3ff, v0
	v_bfe_u32 v11, v0, 10, 10
	s_bfe_u32 s4, ttmp6, 0x4000c
	s_bfe_u32 s11, ttmp6, 0x40010
	s_add_co_i32 s4, s4, 1
	s_and_b32 s24, ttmp7, 0xffff
	s_add_co_i32 s11, s11, 1
	v_lshl_add_u32 v8, v11, 4, v9
	s_and_b32 s10, ttmp6, 15
	s_mul_i32 s4, ttmp9, s4
	s_mul_i32 s11, s24, s11
	s_bfe_u32 s25, ttmp6, 0x40004
	s_add_co_i32 s10, s10, s4
	s_add_co_i32 s25, s25, s11
	s_cmp_eq_u32 s3, 0
	v_and_b32_e32 v16, 31, v8
	s_cselect_b32 s3, ttmp9, s10
	s_cselect_b32 s4, s24, s25
	s_lshl_b32 s3, s3, 5
	s_load_b32 s11, s[0:1], 0x0
	s_wait_xcnt 0x0
	s_lshl_b32 s0, s4, 5
	s_delay_alu instid0(SALU_CYCLE_1) | instskip(SKIP_2) | instid1(VALU_DEP_3)
	v_dual_add_nc_u32 v4, s0, v11 :: v_dual_bitop2_b32 v2, s3, v16 bitop3:0x54
	v_dual_lshlrev_b32 v7, 4, v9 :: v_dual_bitop2_b32 v6, 7, v0 bitop3:0x40
	v_cmp_neq_f64_e64 s24, s[40:41], 0
	v_dual_ashrrev_i32 v3, 31, v2 :: v_dual_add_nc_u32 v22, 16, v4
	v_lshrrev_b32_e32 v17, 3, v8
	v_dual_ashrrev_i32 v5, 31, v4 :: v_dual_add_nc_u32 v10, s3, v9
	s_delay_alu instid0(VALU_DEP_3)
	v_mul_u64_e32 v[0:1], s[14:15], v[2:3]
	v_lshlrev_b32_e32 v3, 4, v6
	v_ashrrev_i32_e32 v23, 31, v22
	v_cmp_neq_f64_e64 s25, s[42:43], 0
	v_cmp_neq_f64_e64 s14, s[36:37], 0
	v_mul_u64_e32 v[12:13], s[28:29], v[4:5]
	v_dual_lshlrev_b32 v5, 4, v16 :: v_dual_add_nc_u32 v16, 16, v10
	v_mul_u64_e32 v[14:15], s[28:29], v[22:23]
	v_dual_lshrrev_b32 v8, 5, v8 :: v_dual_add_nc_u32 v18, s0, v17
	s_xor_b32 s33, s2, -1
	v_cmp_le_i32_e32 vcc_lo, v4, v10
	s_wait_kmcnt 0x0
	v_cmp_gt_i32_e64 s2, s11, v10
	v_cmp_le_i32_e64 s3, v4, v16
	v_cmp_gt_i32_e64 s4, s11, v16
	v_lshl_or_b32 v3, v17, 7, v3
	v_dual_ashrrev_i32 v19, 31, v18 :: v_dual_ashrrev_i32 v17, 31, v16
	v_cmp_gt_i64_e64 s15, s[8:9], 0
	v_cmp_gt_i32_e64 s1, s11, v18
	v_cmp_gt_i32_e64 s0, s11, v2
	v_cmp_le_i32_e64 s10, s11, v2
	v_lshl_or_b32 v9, v8, 9, v5
	v_add_nc_u32_e32 v42, 0x1000, v3
	v_lshl_add_u64 v[18:19], v[18:19], 4, s[18:19]
	v_lshl_add_u32 v43, v11, 7, 0x1000
	v_ashrrev_i32_e32 v11, 31, v10
	s_xor_b32 s1, s1, -1
	v_lshl_add_u64 v[20:21], v[0:1], 4, s[12:13]
	s_and_b32 s12, vcc_lo, s2
	s_and_b32 s13, s3, s4
	v_cmp_le_i32_e32 vcc_lo, v22, v10
	v_cmp_le_i32_e64 s3, v22, v16
	v_mov_b32_e32 v1, 0
	s_or_b32 s18, s24, s25
	s_or_b32 s11, s14, s33
	s_and_b32 s14, s18, s15
	s_and_b32 s15, vcc_lo, s2
	s_and_b32 s4, s3, s4
                                        ; implicit-def: $vgpr22_vgpr23
	s_branch .LBB265_7
.LBB265_6:                              ;   in Loop: Header=BB265_7 Depth=1
	s_wait_xcnt 0x0
	s_or_b32 exec_lo, exec_lo, s2
	s_add_co_i32 s6, s6, 0x10000
	s_delay_alu instid0(SALU_CYCLE_1)
	s_cmp_lt_u32 s6, s5
	s_cbranch_scc0 .LBB265_42
.LBB265_7:                              ; =>This Loop Header: Depth=1
                                        ;     Child Loop BB265_10 Depth 2
	v_mov_b64_e32 v[34:35], 0
	s_and_not1_b32 vcc_lo, exec_lo, s14
	s_cbranch_vccnz .LBB265_20
; %bb.8:                                ;   in Loop: Header=BB265_7 Depth=1
	s_mul_u64 s[2:3], s[22:23], s[6:7]
	s_mul_u64 s[18:19], s[16:17], s[6:7]
	v_mov_b64_e32 v[38:39], 0
	v_mov_b64_e32 v[40:41], 0
	;; [unrolled: 1-line block ×8, first 2 shown]
	v_lshl_add_u64 v[4:5], s[18:19], 4, v[20:21]
	v_lshl_add_u64 v[24:25], s[2:3], 4, v[18:19]
	s_mov_b64 s[2:3], 0
	s_branch .LBB265_10
.LBB265_9:                              ;   in Loop: Header=BB265_10 Depth=2
	s_wait_xcnt 0x0
	s_or_b32 exec_lo, exec_lo, s18
	s_wait_dscnt 0x0
	s_barrier_signal -1
	s_barrier_wait -1
	ds_load_b128 v[44:47], v43
	ds_load_b128 v[48:51], v43 offset:16
	ds_load_b128 v[52:55], v43 offset:32
	;; [unrolled: 1-line block ×3, first 2 shown]
	ds_load_b128 v[60:63], v7
	s_add_nc_u64 s[2:3], s[2:3], 8
	s_delay_alu instid0(SALU_CYCLE_1) | instskip(SKIP_4) | instid1(VALU_DEP_2)
	v_cmp_gt_i64_e64 s18, s[8:9], s[2:3]
	s_and_b32 vcc_lo, exec_lo, s18
	s_wait_dscnt 0x0
	v_mul_f64_e32 v[2:3], v[46:47], v[62:63]
	v_mul_f64_e32 v[64:65], v[44:45], v[62:63]
	v_fma_f64 v[2:3], v[44:45], v[60:61], -v[2:3]
	s_delay_alu instid0(VALU_DEP_2) | instskip(NEXT) | instid1(VALU_DEP_2)
	v_fmac_f64_e32 v[64:65], v[46:47], v[60:61]
	v_add_f64_e32 v[2:3], v[34:35], v[2:3]
	s_delay_alu instid0(VALU_DEP_2) | instskip(SKIP_3) | instid1(VALU_DEP_1)
	v_add_f64_e32 v[64:65], v[64:65], v[36:37]
	ds_load_b128 v[34:37], v7 offset:256
	s_wait_dscnt 0x0
	v_mul_f64_e32 v[66:67], v[46:47], v[36:37]
	v_fma_f64 v[66:67], v[44:45], v[34:35], -v[66:67]
	v_mul_f64_e32 v[44:45], v[44:45], v[36:37]
	s_delay_alu instid0(VALU_DEP_1) | instskip(NEXT) | instid1(VALU_DEP_3)
	v_fmac_f64_e32 v[44:45], v[46:47], v[34:35]
	v_add_f64_e32 v[46:47], v[26:27], v[66:67]
	s_delay_alu instid0(VALU_DEP_2) | instskip(SKIP_4) | instid1(VALU_DEP_2)
	v_add_f64_e32 v[44:45], v[44:45], v[28:29]
	ds_load_b128 v[26:29], v43 offset:2048
	s_wait_dscnt 0x0
	v_mul_f64_e32 v[66:67], v[28:29], v[62:63]
	v_mul_f64_e32 v[62:63], v[26:27], v[62:63]
	v_fma_f64 v[66:67], v[26:27], v[60:61], -v[66:67]
	s_delay_alu instid0(VALU_DEP_2) | instskip(NEXT) | instid1(VALU_DEP_2)
	v_fmac_f64_e32 v[62:63], v[28:29], v[60:61]
	v_add_f64_e32 v[60:61], v[30:31], v[66:67]
	v_mul_f64_e32 v[30:31], v[28:29], v[36:37]
	s_delay_alu instid0(VALU_DEP_3) | instskip(NEXT) | instid1(VALU_DEP_2)
	v_add_f64_e32 v[62:63], v[62:63], v[32:33]
	v_fma_f64 v[30:31], v[26:27], v[34:35], -v[30:31]
	v_mul_f64_e32 v[26:27], v[26:27], v[36:37]
	s_delay_alu instid0(VALU_DEP_2) | instskip(NEXT) | instid1(VALU_DEP_2)
	v_add_f64_e32 v[40:41], v[40:41], v[30:31]
	v_fmac_f64_e32 v[26:27], v[28:29], v[34:35]
	s_delay_alu instid0(VALU_DEP_1) | instskip(SKIP_4) | instid1(VALU_DEP_2)
	v_add_f64_e32 v[38:39], v[26:27], v[38:39]
	ds_load_b128 v[26:29], v7 offset:512
	s_wait_dscnt 0x0
	v_mul_f64_e32 v[30:31], v[50:51], v[28:29]
	v_mul_f64_e32 v[32:33], v[48:49], v[28:29]
	v_fma_f64 v[30:31], v[48:49], v[26:27], -v[30:31]
	s_delay_alu instid0(VALU_DEP_2) | instskip(NEXT) | instid1(VALU_DEP_2)
	v_fmac_f64_e32 v[32:33], v[50:51], v[26:27]
	v_add_f64_e32 v[2:3], v[2:3], v[30:31]
	s_delay_alu instid0(VALU_DEP_2) | instskip(SKIP_4) | instid1(VALU_DEP_2)
	v_add_f64_e32 v[64:65], v[32:33], v[64:65]
	ds_load_b128 v[30:33], v7 offset:768
	s_wait_dscnt 0x0
	v_mul_f64_e32 v[34:35], v[50:51], v[32:33]
	v_mul_f64_e32 v[36:37], v[48:49], v[32:33]
	v_fma_f64 v[34:35], v[48:49], v[30:31], -v[34:35]
	s_delay_alu instid0(VALU_DEP_2) | instskip(NEXT) | instid1(VALU_DEP_2)
	v_fmac_f64_e32 v[36:37], v[50:51], v[30:31]
	v_add_f64_e32 v[46:47], v[46:47], v[34:35]
	s_delay_alu instid0(VALU_DEP_2) | instskip(SKIP_4) | instid1(VALU_DEP_2)
	v_add_f64_e32 v[44:45], v[36:37], v[44:45]
	ds_load_b128 v[34:37], v43 offset:2064
	s_wait_dscnt 0x0
	v_mul_f64_e32 v[48:49], v[36:37], v[28:29]
	v_mul_f64_e32 v[28:29], v[34:35], v[28:29]
	v_fma_f64 v[48:49], v[34:35], v[26:27], -v[48:49]
	s_delay_alu instid0(VALU_DEP_2) | instskip(SKIP_1) | instid1(VALU_DEP_3)
	v_fmac_f64_e32 v[28:29], v[36:37], v[26:27]
	v_mul_f64_e32 v[26:27], v[36:37], v[32:33]
	v_add_f64_e32 v[48:49], v[60:61], v[48:49]
	s_delay_alu instid0(VALU_DEP_3) | instskip(SKIP_1) | instid1(VALU_DEP_4)
	v_add_f64_e32 v[50:51], v[28:29], v[62:63]
	v_mul_f64_e32 v[28:29], v[34:35], v[32:33]
	v_fma_f64 v[26:27], v[34:35], v[30:31], -v[26:27]
	s_delay_alu instid0(VALU_DEP_2) | instskip(NEXT) | instid1(VALU_DEP_2)
	v_fmac_f64_e32 v[28:29], v[36:37], v[30:31]
	v_add_f64_e32 v[40:41], v[40:41], v[26:27]
	s_delay_alu instid0(VALU_DEP_2) | instskip(SKIP_4) | instid1(VALU_DEP_2)
	v_add_f64_e32 v[38:39], v[28:29], v[38:39]
	ds_load_b128 v[26:29], v7 offset:1024
	s_wait_dscnt 0x0
	v_mul_f64_e32 v[30:31], v[54:55], v[28:29]
	v_mul_f64_e32 v[32:33], v[52:53], v[28:29]
	v_fma_f64 v[30:31], v[52:53], v[26:27], -v[30:31]
	s_delay_alu instid0(VALU_DEP_2) | instskip(NEXT) | instid1(VALU_DEP_2)
	v_fmac_f64_e32 v[32:33], v[54:55], v[26:27]
	v_add_f64_e32 v[2:3], v[2:3], v[30:31]
	s_delay_alu instid0(VALU_DEP_2) | instskip(SKIP_4) | instid1(VALU_DEP_2)
	v_add_f64_e32 v[60:61], v[32:33], v[64:65]
	ds_load_b128 v[30:33], v7 offset:1280
	s_wait_dscnt 0x0
	v_mul_f64_e32 v[34:35], v[54:55], v[32:33]
	v_mul_f64_e32 v[36:37], v[52:53], v[32:33]
	v_fma_f64 v[34:35], v[52:53], v[30:31], -v[34:35]
	s_delay_alu instid0(VALU_DEP_2) | instskip(NEXT) | instid1(VALU_DEP_2)
	v_fmac_f64_e32 v[36:37], v[54:55], v[30:31]
	v_add_f64_e32 v[46:47], v[46:47], v[34:35]
	s_delay_alu instid0(VALU_DEP_2) | instskip(SKIP_4) | instid1(VALU_DEP_2)
	v_add_f64_e32 v[44:45], v[36:37], v[44:45]
	ds_load_b128 v[34:37], v43 offset:2080
	s_wait_dscnt 0x0
	v_mul_f64_e32 v[52:53], v[36:37], v[28:29]
	v_mul_f64_e32 v[28:29], v[34:35], v[28:29]
	v_fma_f64 v[52:53], v[34:35], v[26:27], -v[52:53]
	s_delay_alu instid0(VALU_DEP_2) | instskip(SKIP_1) | instid1(VALU_DEP_3)
	v_fmac_f64_e32 v[28:29], v[36:37], v[26:27]
	v_mul_f64_e32 v[26:27], v[36:37], v[32:33]
	v_add_f64_e32 v[48:49], v[48:49], v[52:53]
	s_delay_alu instid0(VALU_DEP_3) | instskip(SKIP_1) | instid1(VALU_DEP_4)
	v_add_f64_e32 v[50:51], v[28:29], v[50:51]
	v_mul_f64_e32 v[28:29], v[34:35], v[32:33]
	v_fma_f64 v[26:27], v[34:35], v[30:31], -v[26:27]
	s_delay_alu instid0(VALU_DEP_2) | instskip(NEXT) | instid1(VALU_DEP_2)
	v_fmac_f64_e32 v[28:29], v[36:37], v[30:31]
	v_add_f64_e32 v[40:41], v[40:41], v[26:27]
	s_delay_alu instid0(VALU_DEP_2) | instskip(SKIP_4) | instid1(VALU_DEP_2)
	v_add_f64_e32 v[38:39], v[28:29], v[38:39]
	ds_load_b128 v[26:29], v7 offset:1536
	s_wait_dscnt 0x0
	v_mul_f64_e32 v[30:31], v[58:59], v[28:29]
	v_mul_f64_e32 v[32:33], v[56:57], v[28:29]
	v_fma_f64 v[30:31], v[56:57], v[26:27], -v[30:31]
	s_delay_alu instid0(VALU_DEP_2) | instskip(NEXT) | instid1(VALU_DEP_2)
	v_fmac_f64_e32 v[32:33], v[58:59], v[26:27]
	v_add_f64_e32 v[2:3], v[2:3], v[30:31]
	s_delay_alu instid0(VALU_DEP_2) | instskip(SKIP_4) | instid1(VALU_DEP_2)
	v_add_f64_e32 v[52:53], v[32:33], v[60:61]
	ds_load_b128 v[30:33], v7 offset:1792
	s_wait_dscnt 0x0
	v_mul_f64_e32 v[34:35], v[58:59], v[32:33]
	;; [unrolled: 10-line block ×3, first 2 shown]
	v_mul_f64_e32 v[28:29], v[34:35], v[28:29]
	v_fma_f64 v[54:55], v[34:35], v[26:27], -v[54:55]
	s_delay_alu instid0(VALU_DEP_2) | instskip(SKIP_1) | instid1(VALU_DEP_3)
	v_fmac_f64_e32 v[28:29], v[36:37], v[26:27]
	v_mul_f64_e32 v[26:27], v[36:37], v[32:33]
	v_add_f64_e32 v[48:49], v[48:49], v[54:55]
	s_delay_alu instid0(VALU_DEP_3) | instskip(SKIP_1) | instid1(VALU_DEP_4)
	v_add_f64_e32 v[50:51], v[28:29], v[50:51]
	v_mul_f64_e32 v[28:29], v[34:35], v[32:33]
	v_fma_f64 v[26:27], v[34:35], v[30:31], -v[26:27]
	s_delay_alu instid0(VALU_DEP_2) | instskip(NEXT) | instid1(VALU_DEP_2)
	v_fmac_f64_e32 v[28:29], v[36:37], v[30:31]
	v_add_f64_e32 v[40:41], v[40:41], v[26:27]
	s_delay_alu instid0(VALU_DEP_2)
	v_add_f64_e32 v[38:39], v[28:29], v[38:39]
	ds_load_b128 v[26:29], v43 offset:64
	ds_load_b128 v[30:33], v7 offset:2048
	s_wait_dscnt 0x0
	v_mul_f64_e32 v[34:35], v[28:29], v[32:33]
	v_mul_f64_e32 v[36:37], v[26:27], v[32:33]
	s_delay_alu instid0(VALU_DEP_2) | instskip(NEXT) | instid1(VALU_DEP_2)
	v_fma_f64 v[34:35], v[26:27], v[30:31], -v[34:35]
	v_fmac_f64_e32 v[36:37], v[28:29], v[30:31]
	s_delay_alu instid0(VALU_DEP_2) | instskip(NEXT) | instid1(VALU_DEP_2)
	v_add_f64_e32 v[2:3], v[2:3], v[34:35]
	v_add_f64_e32 v[52:53], v[36:37], v[52:53]
	ds_load_b128 v[34:37], v7 offset:2304
	s_wait_dscnt 0x0
	v_mul_f64_e32 v[54:55], v[28:29], v[36:37]
	s_delay_alu instid0(VALU_DEP_1) | instskip(SKIP_1) | instid1(VALU_DEP_2)
	v_fma_f64 v[54:55], v[26:27], v[34:35], -v[54:55]
	v_mul_f64_e32 v[26:27], v[26:27], v[36:37]
	v_add_f64_e32 v[46:47], v[46:47], v[54:55]
	s_delay_alu instid0(VALU_DEP_2) | instskip(NEXT) | instid1(VALU_DEP_1)
	v_fmac_f64_e32 v[26:27], v[28:29], v[34:35]
	v_add_f64_e32 v[44:45], v[26:27], v[44:45]
	ds_load_b128 v[26:29], v43 offset:2112
	s_wait_dscnt 0x0
	v_mul_f64_e32 v[54:55], v[28:29], v[32:33]
	v_mul_f64_e32 v[32:33], v[26:27], v[32:33]
	s_delay_alu instid0(VALU_DEP_2) | instskip(NEXT) | instid1(VALU_DEP_2)
	v_fma_f64 v[54:55], v[26:27], v[30:31], -v[54:55]
	v_fmac_f64_e32 v[32:33], v[28:29], v[30:31]
	v_mul_f64_e32 v[30:31], v[28:29], v[36:37]
	s_delay_alu instid0(VALU_DEP_3) | instskip(NEXT) | instid1(VALU_DEP_3)
	v_add_f64_e32 v[48:49], v[48:49], v[54:55]
	v_add_f64_e32 v[50:51], v[32:33], v[50:51]
	s_delay_alu instid0(VALU_DEP_3) | instskip(SKIP_1) | instid1(VALU_DEP_2)
	v_fma_f64 v[30:31], v[26:27], v[34:35], -v[30:31]
	v_mul_f64_e32 v[26:27], v[26:27], v[36:37]
	v_add_f64_e32 v[40:41], v[40:41], v[30:31]
	s_delay_alu instid0(VALU_DEP_2) | instskip(NEXT) | instid1(VALU_DEP_1)
	v_fmac_f64_e32 v[26:27], v[28:29], v[34:35]
	v_add_f64_e32 v[38:39], v[26:27], v[38:39]
	ds_load_b128 v[26:29], v43 offset:80
	ds_load_b128 v[30:33], v7 offset:2560
	s_wait_dscnt 0x0
	v_mul_f64_e32 v[34:35], v[28:29], v[32:33]
	v_mul_f64_e32 v[36:37], v[26:27], v[32:33]
	s_delay_alu instid0(VALU_DEP_2) | instskip(NEXT) | instid1(VALU_DEP_2)
	v_fma_f64 v[34:35], v[26:27], v[30:31], -v[34:35]
	v_fmac_f64_e32 v[36:37], v[28:29], v[30:31]
	s_delay_alu instid0(VALU_DEP_2) | instskip(NEXT) | instid1(VALU_DEP_2)
	v_add_f64_e32 v[2:3], v[2:3], v[34:35]
	v_add_f64_e32 v[52:53], v[36:37], v[52:53]
	ds_load_b128 v[34:37], v7 offset:2816
	s_wait_dscnt 0x0
	v_mul_f64_e32 v[54:55], v[28:29], v[36:37]
	s_delay_alu instid0(VALU_DEP_1) | instskip(SKIP_1) | instid1(VALU_DEP_2)
	v_fma_f64 v[54:55], v[26:27], v[34:35], -v[54:55]
	v_mul_f64_e32 v[26:27], v[26:27], v[36:37]
	v_add_f64_e32 v[46:47], v[46:47], v[54:55]
	s_delay_alu instid0(VALU_DEP_2) | instskip(NEXT) | instid1(VALU_DEP_1)
	v_fmac_f64_e32 v[26:27], v[28:29], v[34:35]
	v_add_f64_e32 v[44:45], v[26:27], v[44:45]
	ds_load_b128 v[26:29], v43 offset:2128
	s_wait_dscnt 0x0
	v_mul_f64_e32 v[54:55], v[28:29], v[32:33]
	v_mul_f64_e32 v[32:33], v[26:27], v[32:33]
	s_delay_alu instid0(VALU_DEP_2) | instskip(NEXT) | instid1(VALU_DEP_2)
	v_fma_f64 v[54:55], v[26:27], v[30:31], -v[54:55]
	v_fmac_f64_e32 v[32:33], v[28:29], v[30:31]
	v_mul_f64_e32 v[30:31], v[28:29], v[36:37]
	s_delay_alu instid0(VALU_DEP_3) | instskip(NEXT) | instid1(VALU_DEP_3)
	v_add_f64_e32 v[48:49], v[48:49], v[54:55]
	v_add_f64_e32 v[50:51], v[32:33], v[50:51]
	s_delay_alu instid0(VALU_DEP_3) | instskip(SKIP_1) | instid1(VALU_DEP_2)
	v_fma_f64 v[30:31], v[26:27], v[34:35], -v[30:31]
	v_mul_f64_e32 v[26:27], v[26:27], v[36:37]
	v_add_f64_e32 v[40:41], v[40:41], v[30:31]
	s_delay_alu instid0(VALU_DEP_2) | instskip(NEXT) | instid1(VALU_DEP_1)
	v_fmac_f64_e32 v[26:27], v[28:29], v[34:35]
	;; [unrolled: 39-line block ×3, first 2 shown]
	v_add_f64_e32 v[56:57], v[26:27], v[38:39]
	ds_load_b128 v[26:29], v43 offset:112
	ds_load_b128 v[30:33], v7 offset:3584
	;; [unrolled: 1-line block ×3, first 2 shown]
	s_wait_dscnt 0x1
	v_mul_f64_e32 v[34:35], v[28:29], v[32:33]
	v_mul_f64_e32 v[36:37], v[26:27], v[32:33]
	s_delay_alu instid0(VALU_DEP_2) | instskip(NEXT) | instid1(VALU_DEP_2)
	v_fma_f64 v[34:35], v[26:27], v[30:31], -v[34:35]
	v_fmac_f64_e32 v[36:37], v[28:29], v[30:31]
	s_delay_alu instid0(VALU_DEP_2) | instskip(NEXT) | instid1(VALU_DEP_2)
	v_add_f64_e32 v[34:35], v[2:3], v[34:35]
	v_add_f64_e32 v[36:37], v[36:37], v[52:53]
	s_wait_dscnt 0x0
	v_mul_f64_e32 v[2:3], v[28:29], v[40:41]
	v_mul_f64_e32 v[52:53], v[26:27], v[40:41]
	s_delay_alu instid0(VALU_DEP_2) | instskip(NEXT) | instid1(VALU_DEP_2)
	v_fma_f64 v[2:3], v[26:27], v[38:39], -v[2:3]
	v_fmac_f64_e32 v[52:53], v[28:29], v[38:39]
	s_delay_alu instid0(VALU_DEP_2) | instskip(NEXT) | instid1(VALU_DEP_2)
	v_add_f64_e32 v[26:27], v[46:47], v[2:3]
	v_add_f64_e32 v[28:29], v[52:53], v[44:45]
	ds_load_b128 v[44:47], v43 offset:2160
	s_wait_dscnt 0x0
	s_barrier_signal -1
	s_barrier_wait -1
	v_mul_f64_e32 v[2:3], v[46:47], v[32:33]
	v_mul_f64_e32 v[32:33], v[44:45], v[32:33]
	s_delay_alu instid0(VALU_DEP_2) | instskip(NEXT) | instid1(VALU_DEP_2)
	v_fma_f64 v[2:3], v[44:45], v[30:31], -v[2:3]
	v_fmac_f64_e32 v[32:33], v[46:47], v[30:31]
	s_delay_alu instid0(VALU_DEP_2) | instskip(SKIP_1) | instid1(VALU_DEP_3)
	v_add_f64_e32 v[30:31], v[48:49], v[2:3]
	v_mul_f64_e32 v[2:3], v[46:47], v[40:41]
	v_add_f64_e32 v[32:33], v[32:33], v[50:51]
	s_delay_alu instid0(VALU_DEP_2) | instskip(SKIP_1) | instid1(VALU_DEP_2)
	v_fma_f64 v[2:3], v[44:45], v[38:39], -v[2:3]
	v_mul_f64_e32 v[44:45], v[44:45], v[40:41]
	v_add_f64_e32 v[40:41], v[54:55], v[2:3]
	s_delay_alu instid0(VALU_DEP_2) | instskip(NEXT) | instid1(VALU_DEP_1)
	v_fmac_f64_e32 v[44:45], v[46:47], v[38:39]
	v_add_f64_e32 v[38:39], v[44:45], v[56:57]
	s_cbranch_vccz .LBB265_21
.LBB265_10:                             ;   Parent Loop BB265_7 Depth=1
                                        ; =>  This Inner Loop Header: Depth=2
	s_mov_b32 s18, 0
	s_mov_b32 s24, s10
	s_and_saveexec_b32 s19, s0
	s_cbranch_execnz .LBB265_18
; %bb.11:                               ;   in Loop: Header=BB265_10 Depth=2
	s_or_b32 exec_lo, exec_lo, s19
	s_and_saveexec_b32 s19, s24
	s_delay_alu instid0(SALU_CYCLE_1)
	s_xor_b32 s19, exec_lo, s19
	s_cbranch_execnz .LBB265_19
.LBB265_12:                             ;   in Loop: Header=BB265_10 Depth=2
	s_or_b32 exec_lo, exec_lo, s19
	s_and_saveexec_b32 s19, s18
	s_cbranch_execz .LBB265_14
.LBB265_13:                             ;   in Loop: Header=BB265_10 Depth=2
	v_lshl_add_u64 v[2:3], v[22:23], 4, v[4:5]
	global_load_b128 v[44:47], v[2:3], off
	s_wait_loadcnt 0x0
	ds_store_2addr_b64 v9, v[44:45], v[46:47] offset1:1
.LBB265_14:                             ;   in Loop: Header=BB265_10 Depth=2
	s_wait_xcnt 0x0
	s_or_b32 exec_lo, exec_lo, s19
	v_add_nc_u32_e32 v0, s2, v6
	s_delay_alu instid0(VALU_DEP_1) | instskip(SKIP_1) | instid1(SALU_CYCLE_1)
	v_cmp_le_u64_e32 vcc_lo, s[8:9], v[0:1]
	s_or_b32 s18, vcc_lo, s1
	s_and_saveexec_b32 s19, s18
	s_delay_alu instid0(SALU_CYCLE_1)
	s_xor_b32 s18, exec_lo, s19
; %bb.15:                               ;   in Loop: Header=BB265_10 Depth=2
	v_dual_mov_b32 v0, v1 :: v_dual_mov_b32 v2, v1
	v_mov_b32_e32 v3, v1
	ds_store_b128 v42, v[0:3]
; %bb.16:                               ;   in Loop: Header=BB265_10 Depth=2
	s_and_not1_saveexec_b32 s18, s18
	s_cbranch_execz .LBB265_9
; %bb.17:                               ;   in Loop: Header=BB265_10 Depth=2
	v_mul_u64_e32 v[2:3], s[20:21], v[0:1]
	s_delay_alu instid0(VALU_DEP_1)
	v_lshl_add_u64 v[2:3], v[2:3], 4, v[24:25]
	global_load_b128 v[44:47], v[2:3], off
	s_wait_loadcnt 0x0
	ds_store_2addr_b64 v42, v[44:45], v[46:47] offset1:1
	s_branch .LBB265_9
.LBB265_18:                             ;   in Loop: Header=BB265_10 Depth=2
	v_add_nc_u32_e32 v0, s2, v8
	s_and_not1_b32 s24, s10, exec_lo
	s_mov_b32 s18, exec_lo
	s_delay_alu instid0(VALU_DEP_1) | instskip(SKIP_2) | instid1(SALU_CYCLE_1)
	v_cmp_le_u64_e32 vcc_lo, s[8:9], v[0:1]
	v_mov_b64_e32 v[22:23], v[0:1]
	s_and_b32 s25, vcc_lo, exec_lo
	s_or_b32 s24, s24, s25
	s_or_b32 exec_lo, exec_lo, s19
	s_and_saveexec_b32 s19, s24
	s_delay_alu instid0(SALU_CYCLE_1)
	s_xor_b32 s19, exec_lo, s19
	s_cbranch_execz .LBB265_12
.LBB265_19:                             ;   in Loop: Header=BB265_10 Depth=2
	v_dual_mov_b32 v0, v1 :: v_dual_mov_b32 v2, v1
	v_mov_b32_e32 v3, v1
	s_and_not1_b32 s18, s18, exec_lo
	ds_store_b128 v9, v[0:3]
	s_or_b32 exec_lo, exec_lo, s19
	s_and_saveexec_b32 s19, s18
	s_cbranch_execnz .LBB265_13
	s_branch .LBB265_14
.LBB265_20:                             ;   in Loop: Header=BB265_7 Depth=1
	v_mov_b64_e32 v[36:37], 0
	v_mov_b64_e32 v[26:27], 0
	;; [unrolled: 1-line block ×7, first 2 shown]
.LBB265_21:                             ;   in Loop: Header=BB265_7 Depth=1
	s_mul_u64 s[2:3], s[30:31], s[6:7]
	s_delay_alu instid0(SALU_CYCLE_1) | instskip(NEXT) | instid1(SALU_CYCLE_1)
	s_lshl_b64 s[2:3], s[2:3], 4
	s_add_nc_u64 s[2:3], s[26:27], s[2:3]
	s_delay_alu instid0(SALU_CYCLE_1)
	v_lshl_add_u64 v[24:25], v[12:13], 4, s[2:3]
	s_and_saveexec_b32 s18, s12
	s_cbranch_execz .LBB265_26
; %bb.22:                               ;   in Loop: Header=BB265_7 Depth=1
	v_mul_f64_e32 v[2:3], s[42:43], v[36:37]
	v_mul_f64_e32 v[4:5], s[40:41], v[36:37]
	s_and_b32 vcc_lo, exec_lo, s11
	s_mov_b32 s19, -1
	s_delay_alu instid0(VALU_DEP_2) | instskip(NEXT) | instid1(VALU_DEP_2)
	v_fma_f64 v[2:3], s[40:41], v[34:35], -v[2:3]
	v_fmac_f64_e32 v[4:5], s[42:43], v[34:35]
	v_lshl_add_u64 v[34:35], v[10:11], 4, v[24:25]
	s_cbranch_vccz .LBB265_24
; %bb.23:                               ;   in Loop: Header=BB265_7 Depth=1
	global_load_b128 v[44:47], v[34:35], off
	s_mov_b32 s19, 0
	s_wait_loadcnt 0x0
	v_mul_f64_e32 v[36:37], s[38:39], v[46:47]
	v_mul_f64_e32 v[46:47], s[36:37], v[46:47]
	s_delay_alu instid0(VALU_DEP_2) | instskip(NEXT) | instid1(VALU_DEP_2)
	v_fma_f64 v[36:37], s[36:37], v[44:45], -v[36:37]
	v_fmac_f64_e32 v[46:47], s[38:39], v[44:45]
	s_delay_alu instid0(VALU_DEP_2) | instskip(NEXT) | instid1(VALU_DEP_2)
	v_add_f64_e32 v[44:45], v[2:3], v[36:37]
	v_add_f64_e32 v[46:47], v[4:5], v[46:47]
	global_store_b128 v[34:35], v[44:47], off
.LBB265_24:                             ;   in Loop: Header=BB265_7 Depth=1
	s_and_not1_b32 vcc_lo, exec_lo, s19
	s_cbranch_vccnz .LBB265_26
; %bb.25:                               ;   in Loop: Header=BB265_7 Depth=1
	global_store_b128 v[34:35], v[2:5], off
.LBB265_26:                             ;   in Loop: Header=BB265_7 Depth=1
	s_wait_xcnt 0x0
	s_or_b32 exec_lo, exec_lo, s18
	s_and_saveexec_b32 s18, s13
	s_cbranch_execz .LBB265_31
; %bb.27:                               ;   in Loop: Header=BB265_7 Depth=1
	v_mul_f64_e32 v[2:3], s[42:43], v[28:29]
	v_mul_f64_e32 v[4:5], s[40:41], v[28:29]
	v_lshl_add_u64 v[24:25], v[16:17], 4, v[24:25]
	s_and_not1_b32 vcc_lo, exec_lo, s11
	s_mov_b32 s19, -1
	s_delay_alu instid0(VALU_DEP_3) | instskip(NEXT) | instid1(VALU_DEP_3)
	v_fma_f64 v[2:3], s[40:41], v[26:27], -v[2:3]
	v_fmac_f64_e32 v[4:5], s[42:43], v[26:27]
	s_cbranch_vccnz .LBB265_29
; %bb.28:                               ;   in Loop: Header=BB265_7 Depth=1
	global_load_b128 v[26:29], v[24:25], off
	s_mov_b32 s19, 0
	s_wait_loadcnt 0x0
	v_mul_f64_e32 v[34:35], s[38:39], v[28:29]
	v_mul_f64_e32 v[28:29], s[36:37], v[28:29]
	s_delay_alu instid0(VALU_DEP_2) | instskip(NEXT) | instid1(VALU_DEP_2)
	v_fma_f64 v[34:35], s[36:37], v[26:27], -v[34:35]
	v_fmac_f64_e32 v[28:29], s[38:39], v[26:27]
	s_delay_alu instid0(VALU_DEP_2) | instskip(NEXT) | instid1(VALU_DEP_2)
	v_add_f64_e32 v[26:27], v[2:3], v[34:35]
	v_add_f64_e32 v[28:29], v[4:5], v[28:29]
	global_store_b128 v[24:25], v[26:29], off
.LBB265_29:                             ;   in Loop: Header=BB265_7 Depth=1
	s_and_not1_b32 vcc_lo, exec_lo, s19
	s_cbranch_vccnz .LBB265_31
; %bb.30:                               ;   in Loop: Header=BB265_7 Depth=1
	global_store_b128 v[24:25], v[2:5], off
.LBB265_31:                             ;   in Loop: Header=BB265_7 Depth=1
	s_wait_xcnt 0x0
	s_or_b32 exec_lo, exec_lo, s18
	v_lshl_add_u64 v[24:25], v[14:15], 4, s[2:3]
	s_and_saveexec_b32 s2, s15
	s_cbranch_execz .LBB265_36
; %bb.32:                               ;   in Loop: Header=BB265_7 Depth=1
	v_mul_f64_e32 v[2:3], s[42:43], v[32:33]
	v_mul_f64_e32 v[4:5], s[40:41], v[32:33]
	v_lshl_add_u64 v[26:27], v[10:11], 4, v[24:25]
	s_and_not1_b32 vcc_lo, exec_lo, s11
	s_mov_b32 s3, -1
	s_delay_alu instid0(VALU_DEP_3) | instskip(NEXT) | instid1(VALU_DEP_3)
	v_fma_f64 v[2:3], s[40:41], v[30:31], -v[2:3]
	v_fmac_f64_e32 v[4:5], s[42:43], v[30:31]
	s_cbranch_vccnz .LBB265_34
; %bb.33:                               ;   in Loop: Header=BB265_7 Depth=1
	global_load_b128 v[28:31], v[26:27], off
	s_mov_b32 s3, 0
	s_wait_loadcnt 0x0
	v_mul_f64_e32 v[32:33], s[38:39], v[30:31]
	v_mul_f64_e32 v[30:31], s[36:37], v[30:31]
	s_delay_alu instid0(VALU_DEP_2) | instskip(NEXT) | instid1(VALU_DEP_2)
	v_fma_f64 v[32:33], s[36:37], v[28:29], -v[32:33]
	v_fmac_f64_e32 v[30:31], s[38:39], v[28:29]
	s_delay_alu instid0(VALU_DEP_2) | instskip(NEXT) | instid1(VALU_DEP_2)
	v_add_f64_e32 v[28:29], v[2:3], v[32:33]
	v_add_f64_e32 v[30:31], v[4:5], v[30:31]
	global_store_b128 v[26:27], v[28:31], off
.LBB265_34:                             ;   in Loop: Header=BB265_7 Depth=1
	s_and_not1_b32 vcc_lo, exec_lo, s3
	s_cbranch_vccnz .LBB265_36
; %bb.35:                               ;   in Loop: Header=BB265_7 Depth=1
	global_store_b128 v[26:27], v[2:5], off
.LBB265_36:                             ;   in Loop: Header=BB265_7 Depth=1
	s_wait_xcnt 0x0
	s_or_b32 exec_lo, exec_lo, s2
	s_and_saveexec_b32 s2, s4
	s_cbranch_execz .LBB265_6
; %bb.37:                               ;   in Loop: Header=BB265_7 Depth=1
	s_delay_alu instid0(VALU_DEP_3) | instskip(SKIP_4) | instid1(VALU_DEP_3)
	v_mul_f64_e32 v[2:3], s[42:43], v[38:39]
	v_mul_f64_e32 v[4:5], s[40:41], v[38:39]
	v_lshl_add_u64 v[24:25], v[16:17], 4, v[24:25]
	s_and_not1_b32 vcc_lo, exec_lo, s11
	s_mov_b32 s3, -1
	v_fma_f64 v[2:3], s[40:41], v[40:41], -v[2:3]
	s_delay_alu instid0(VALU_DEP_3)
	v_fmac_f64_e32 v[4:5], s[42:43], v[40:41]
	s_cbranch_vccnz .LBB265_39
; %bb.38:                               ;   in Loop: Header=BB265_7 Depth=1
	global_load_b128 v[26:29], v[24:25], off
	s_mov_b32 s3, 0
	s_wait_loadcnt 0x0
	v_mul_f64_e32 v[30:31], s[38:39], v[28:29]
	v_mul_f64_e32 v[28:29], s[36:37], v[28:29]
	s_delay_alu instid0(VALU_DEP_2) | instskip(NEXT) | instid1(VALU_DEP_2)
	v_fma_f64 v[30:31], s[36:37], v[26:27], -v[30:31]
	v_fmac_f64_e32 v[28:29], s[38:39], v[26:27]
	s_delay_alu instid0(VALU_DEP_2) | instskip(NEXT) | instid1(VALU_DEP_2)
	v_add_f64_e32 v[26:27], v[2:3], v[30:31]
	v_add_f64_e32 v[28:29], v[4:5], v[28:29]
	global_store_b128 v[24:25], v[26:29], off
.LBB265_39:                             ;   in Loop: Header=BB265_7 Depth=1
	s_and_not1_b32 vcc_lo, exec_lo, s3
	s_cbranch_vccnz .LBB265_6
; %bb.40:                               ;   in Loop: Header=BB265_7 Depth=1
	global_store_b128 v[24:25], v[2:5], off
	s_branch .LBB265_6
.LBB265_41:
.LBB265_42:
	s_sendmsg sendmsg(MSG_DEALLOC_VGPRS)
	s_endpgm
	.section	.rodata,"a",@progbits
	.p2align	6, 0x0
	.amdhsa_kernel _ZL29rocblas_internal_gemmt_kernelIlLi16ELi32ELi8ELc84ELc84ELc76ELb0ELb0E19rocblas_complex_numIdEPKS1_S3_PS1_EviT_T9_T10_S5_lS7_S5_lS6_T11_S5_li
		.amdhsa_group_segment_fixed_size 8192
		.amdhsa_private_segment_fixed_size 0
		.amdhsa_kernarg_size 108
		.amdhsa_user_sgpr_count 2
		.amdhsa_user_sgpr_dispatch_ptr 0
		.amdhsa_user_sgpr_queue_ptr 0
		.amdhsa_user_sgpr_kernarg_segment_ptr 1
		.amdhsa_user_sgpr_dispatch_id 0
		.amdhsa_user_sgpr_kernarg_preload_length 0
		.amdhsa_user_sgpr_kernarg_preload_offset 0
		.amdhsa_user_sgpr_private_segment_size 0
		.amdhsa_wavefront_size32 1
		.amdhsa_uses_dynamic_stack 0
		.amdhsa_enable_private_segment 0
		.amdhsa_system_sgpr_workgroup_id_x 1
		.amdhsa_system_sgpr_workgroup_id_y 1
		.amdhsa_system_sgpr_workgroup_id_z 1
		.amdhsa_system_sgpr_workgroup_info 0
		.amdhsa_system_vgpr_workitem_id 1
		.amdhsa_next_free_vgpr 68
		.amdhsa_next_free_sgpr 44
		.amdhsa_named_barrier_count 0
		.amdhsa_reserve_vcc 1
		.amdhsa_float_round_mode_32 0
		.amdhsa_float_round_mode_16_64 0
		.amdhsa_float_denorm_mode_32 3
		.amdhsa_float_denorm_mode_16_64 3
		.amdhsa_fp16_overflow 0
		.amdhsa_memory_ordered 1
		.amdhsa_forward_progress 1
		.amdhsa_inst_pref_size 26
		.amdhsa_round_robin_scheduling 0
		.amdhsa_exception_fp_ieee_invalid_op 0
		.amdhsa_exception_fp_denorm_src 0
		.amdhsa_exception_fp_ieee_div_zero 0
		.amdhsa_exception_fp_ieee_overflow 0
		.amdhsa_exception_fp_ieee_underflow 0
		.amdhsa_exception_fp_ieee_inexact 0
		.amdhsa_exception_int_div_zero 0
	.end_amdhsa_kernel
	.section	.text._ZL29rocblas_internal_gemmt_kernelIlLi16ELi32ELi8ELc84ELc84ELc76ELb0ELb0E19rocblas_complex_numIdEPKS1_S3_PS1_EviT_T9_T10_S5_lS7_S5_lS6_T11_S5_li,"axG",@progbits,_ZL29rocblas_internal_gemmt_kernelIlLi16ELi32ELi8ELc84ELc84ELc76ELb0ELb0E19rocblas_complex_numIdEPKS1_S3_PS1_EviT_T9_T10_S5_lS7_S5_lS6_T11_S5_li,comdat
.Lfunc_end265:
	.size	_ZL29rocblas_internal_gemmt_kernelIlLi16ELi32ELi8ELc84ELc84ELc76ELb0ELb0E19rocblas_complex_numIdEPKS1_S3_PS1_EviT_T9_T10_S5_lS7_S5_lS6_T11_S5_li, .Lfunc_end265-_ZL29rocblas_internal_gemmt_kernelIlLi16ELi32ELi8ELc84ELc84ELc76ELb0ELb0E19rocblas_complex_numIdEPKS1_S3_PS1_EviT_T9_T10_S5_lS7_S5_lS6_T11_S5_li
                                        ; -- End function
	.set _ZL29rocblas_internal_gemmt_kernelIlLi16ELi32ELi8ELc84ELc84ELc76ELb0ELb0E19rocblas_complex_numIdEPKS1_S3_PS1_EviT_T9_T10_S5_lS7_S5_lS6_T11_S5_li.num_vgpr, 68
	.set _ZL29rocblas_internal_gemmt_kernelIlLi16ELi32ELi8ELc84ELc84ELc76ELb0ELb0E19rocblas_complex_numIdEPKS1_S3_PS1_EviT_T9_T10_S5_lS7_S5_lS6_T11_S5_li.num_agpr, 0
	.set _ZL29rocblas_internal_gemmt_kernelIlLi16ELi32ELi8ELc84ELc84ELc76ELb0ELb0E19rocblas_complex_numIdEPKS1_S3_PS1_EviT_T9_T10_S5_lS7_S5_lS6_T11_S5_li.numbered_sgpr, 44
	.set _ZL29rocblas_internal_gemmt_kernelIlLi16ELi32ELi8ELc84ELc84ELc76ELb0ELb0E19rocblas_complex_numIdEPKS1_S3_PS1_EviT_T9_T10_S5_lS7_S5_lS6_T11_S5_li.num_named_barrier, 0
	.set _ZL29rocblas_internal_gemmt_kernelIlLi16ELi32ELi8ELc84ELc84ELc76ELb0ELb0E19rocblas_complex_numIdEPKS1_S3_PS1_EviT_T9_T10_S5_lS7_S5_lS6_T11_S5_li.private_seg_size, 0
	.set _ZL29rocblas_internal_gemmt_kernelIlLi16ELi32ELi8ELc84ELc84ELc76ELb0ELb0E19rocblas_complex_numIdEPKS1_S3_PS1_EviT_T9_T10_S5_lS7_S5_lS6_T11_S5_li.uses_vcc, 1
	.set _ZL29rocblas_internal_gemmt_kernelIlLi16ELi32ELi8ELc84ELc84ELc76ELb0ELb0E19rocblas_complex_numIdEPKS1_S3_PS1_EviT_T9_T10_S5_lS7_S5_lS6_T11_S5_li.uses_flat_scratch, 0
	.set _ZL29rocblas_internal_gemmt_kernelIlLi16ELi32ELi8ELc84ELc84ELc76ELb0ELb0E19rocblas_complex_numIdEPKS1_S3_PS1_EviT_T9_T10_S5_lS7_S5_lS6_T11_S5_li.has_dyn_sized_stack, 0
	.set _ZL29rocblas_internal_gemmt_kernelIlLi16ELi32ELi8ELc84ELc84ELc76ELb0ELb0E19rocblas_complex_numIdEPKS1_S3_PS1_EviT_T9_T10_S5_lS7_S5_lS6_T11_S5_li.has_recursion, 0
	.set _ZL29rocblas_internal_gemmt_kernelIlLi16ELi32ELi8ELc84ELc84ELc76ELb0ELb0E19rocblas_complex_numIdEPKS1_S3_PS1_EviT_T9_T10_S5_lS7_S5_lS6_T11_S5_li.has_indirect_call, 0
	.section	.AMDGPU.csdata,"",@progbits
; Kernel info:
; codeLenInByte = 3236
; TotalNumSgprs: 46
; NumVgprs: 68
; ScratchSize: 0
; MemoryBound: 0
; FloatMode: 240
; IeeeMode: 1
; LDSByteSize: 8192 bytes/workgroup (compile time only)
; SGPRBlocks: 0
; VGPRBlocks: 4
; NumSGPRsForWavesPerEU: 46
; NumVGPRsForWavesPerEU: 68
; NamedBarCnt: 0
; Occupancy: 12
; WaveLimiterHint : 0
; COMPUTE_PGM_RSRC2:SCRATCH_EN: 0
; COMPUTE_PGM_RSRC2:USER_SGPR: 2
; COMPUTE_PGM_RSRC2:TRAP_HANDLER: 0
; COMPUTE_PGM_RSRC2:TGID_X_EN: 1
; COMPUTE_PGM_RSRC2:TGID_Y_EN: 1
; COMPUTE_PGM_RSRC2:TGID_Z_EN: 1
; COMPUTE_PGM_RSRC2:TIDIG_COMP_CNT: 1
	.section	.text._ZL29rocblas_internal_gemmt_kernelIlLi16ELi32ELi8ELc84ELc67ELc76ELb0ELb1E19rocblas_complex_numIdEPKS1_S3_PS1_EviT_T9_T10_S5_lS7_S5_lS6_T11_S5_li,"axG",@progbits,_ZL29rocblas_internal_gemmt_kernelIlLi16ELi32ELi8ELc84ELc67ELc76ELb0ELb1E19rocblas_complex_numIdEPKS1_S3_PS1_EviT_T9_T10_S5_lS7_S5_lS6_T11_S5_li,comdat
	.globl	_ZL29rocblas_internal_gemmt_kernelIlLi16ELi32ELi8ELc84ELc67ELc76ELb0ELb1E19rocblas_complex_numIdEPKS1_S3_PS1_EviT_T9_T10_S5_lS7_S5_lS6_T11_S5_li ; -- Begin function _ZL29rocblas_internal_gemmt_kernelIlLi16ELi32ELi8ELc84ELc67ELc76ELb0ELb1E19rocblas_complex_numIdEPKS1_S3_PS1_EviT_T9_T10_S5_lS7_S5_lS6_T11_S5_li
	.p2align	8
	.type	_ZL29rocblas_internal_gemmt_kernelIlLi16ELi32ELi8ELc84ELc67ELc76ELb0ELb1E19rocblas_complex_numIdEPKS1_S3_PS1_EviT_T9_T10_S5_lS7_S5_lS6_T11_S5_li,@function
_ZL29rocblas_internal_gemmt_kernelIlLi16ELi32ELi8ELc84ELc67ELc76ELb0ELb1E19rocblas_complex_numIdEPKS1_S3_PS1_EviT_T9_T10_S5_lS7_S5_lS6_T11_S5_li: ; @_ZL29rocblas_internal_gemmt_kernelIlLi16ELi32ELi8ELc84ELc67ELc76ELb0ELb1E19rocblas_complex_numIdEPKS1_S3_PS1_EviT_T9_T10_S5_lS7_S5_lS6_T11_S5_li
; %bb.0:
	s_clause 0x1
	s_load_b256 s[24:31], s[0:1], 0x48
	s_load_b512 s[8:23], s[0:1], 0x8
	s_wait_kmcnt 0x0
	s_load_b128 s[36:39], s[24:25], 0x0
	s_load_b128 s[40:43], s[10:11], 0x0
	s_wait_kmcnt 0x0
	v_cmp_eq_f64_e64 s3, s[36:37], 1.0
	v_cmp_eq_f64_e64 s2, s[38:39], 0
	s_and_b32 s3, s3, s2
	s_delay_alu instid0(SALU_CYCLE_1)
	s_and_not1_b32 vcc_lo, exec_lo, s3
	s_mov_b32 s3, -1
	s_cbranch_vccnz .LBB266_3
; %bb.1:
	s_cmp_lg_u64 s[8:9], 0
	s_cbranch_scc0 .LBB266_39
; %bb.2:
	v_cmp_neq_f64_e64 s3, s[40:41], 0
	v_cmp_neq_f64_e64 s4, s[42:43], 0
	s_or_b32 s3, s3, s4
.LBB266_3:
	s_delay_alu instid0(SALU_CYCLE_1)
	s_and_b32 vcc_lo, exec_lo, s3
	s_cbranch_vccz .LBB266_40
; %bb.4:
	s_load_b32 s10, s[0:1], 0x68
	s_bfe_u32 s3, ttmp6, 0x40014
	s_lshr_b32 s4, ttmp7, 16
	s_add_co_i32 s3, s3, 1
	s_bfe_u32 s6, ttmp6, 0x40008
	s_mul_i32 s5, s4, s3
	s_getreg_b32 s3, hwreg(HW_REG_IB_STS2, 6, 4)
	s_add_co_i32 s6, s6, s5
	s_cmp_eq_u32 s3, 0
	s_mov_b32 s7, 0
	s_cselect_b32 s6, s4, s6
	s_wait_kmcnt 0x0
	s_cmp_ge_u32 s6, s10
	s_cbranch_scc1 .LBB266_40
; %bb.5:
	v_and_b32_e32 v8, 0x3ff, v0
	v_bfe_u32 v1, v0, 10, 10
	s_bfe_u32 s4, ttmp6, 0x4000c
	s_bfe_u32 s11, ttmp6, 0x40010
	s_add_co_i32 s4, s4, 1
	s_and_b32 s24, ttmp7, 0xffff
	s_add_co_i32 s11, s11, 1
	v_lshl_add_u32 v9, v1, 4, v8
	s_and_b32 s5, ttmp6, 15
	s_mul_i32 s4, ttmp9, s4
	s_mul_i32 s11, s24, s11
	s_bfe_u32 s25, ttmp6, 0x40004
	s_add_co_i32 s5, s5, s4
	s_add_co_i32 s25, s25, s11
	s_cmp_eq_u32 s3, 0
	v_and_b32_e32 v16, 31, v9
	s_cselect_b32 s3, ttmp9, s5
	s_cselect_b32 s4, s24, s25
	s_lshl_b32 s3, s3, 5
	s_lshl_b32 s4, s4, 5
	s_delay_alu instid0(SALU_CYCLE_1) | instskip(SKIP_3) | instid1(VALU_DEP_4)
	v_dual_add_nc_u32 v22, s4, v1 :: v_dual_bitop2_b32 v2, s3, v16 bitop3:0x54
	v_and_b32_e32 v6, 7, v0
	v_cmp_neq_f64_e64 s5, s[40:41], 0
	v_cmp_neq_f64_e64 s24, s[42:43], 0
	v_ashrrev_i32_e32 v3, 31, v2
	v_add_nc_u32_e32 v0, 16, v22
	v_lshl_add_u32 v15, v1, 7, 0x1000
	v_ashrrev_i32_e32 v23, 31, v22
	v_cmp_neq_f64_e64 s25, s[36:37], 0
	v_mul_u64_e32 v[4:5], s[14:15], v[2:3]
	v_ashrrev_i32_e32 v1, 31, v0
	s_load_b32 s15, s[0:1], 0x0
	v_mul_u64_e32 v[10:11], s[28:29], v[22:23]
	v_dual_lshrrev_b32 v17, 3, v9 :: v_dual_lshlrev_b32 v3, 4, v6
	v_lshlrev_b32_e32 v7, 4, v8
	v_mul_u64_e32 v[12:13], s[28:29], v[0:1]
	s_delay_alu instid0(VALU_DEP_3) | instskip(SKIP_2) | instid1(VALU_DEP_2)
	v_dual_add_nc_u32 v8, s3, v8 :: v_dual_add_nc_u32 v18, s4, v17
	s_xor_b32 s14, s2, -1
	v_dual_lshrrev_b32 v14, 5, v9 :: v_dual_lshlrev_b32 v1, 4, v16
	v_cmp_le_i32_e32 vcc_lo, v22, v8
	s_delay_alu instid0(VALU_DEP_3)
	v_dual_add_nc_u32 v16, 16, v8 :: v_dual_ashrrev_i32 v19, 31, v18
	v_ashrrev_i32_e32 v9, 31, v8
	v_lshl_or_b32 v3, v17, 7, v3
	v_cmp_gt_i64_e64 s33, s[8:9], 0
	v_cmp_le_i32_e64 s4, v0, v8
	v_lshl_or_b32 v44, v14, 9, v1
	v_dual_ashrrev_i32 v17, 31, v16 :: v_dual_mov_b32 v1, 0
	s_wait_kmcnt 0x0
	v_cmp_gt_i32_e64 s2, s15, v8
	v_cmp_gt_i32_e64 s1, s15, v18
	v_lshl_add_u64 v[18:19], v[18:19], 4, s[18:19]
	s_or_b32 s18, s5, s24
	v_cmp_gt_i32_e64 s3, s15, v16
	v_cmp_le_i32_e64 s5, v0, v16
	v_cmp_gt_i32_e64 s0, s15, v2
	v_cmp_le_i32_e64 s11, s15, v2
	v_add_nc_u32_e32 v45, 0x1000, v3
	v_lshl_add_u64 v[20:21], v[4:5], 4, s[12:13]
	s_and_b32 s12, vcc_lo, s2
	v_cmp_le_i32_e32 vcc_lo, v22, v16
	s_or_b32 s14, s25, s14
	s_and_b32 s13, s18, s33
	s_and_b32 s4, s4, s2
	;; [unrolled: 1-line block ×3, first 2 shown]
	s_and_b32 s15, vcc_lo, s3
                                        ; implicit-def: $vgpr22_vgpr23
	s_branch .LBB266_7
.LBB266_6:                              ;   in Loop: Header=BB266_7 Depth=1
	s_wait_xcnt 0x0
	s_or_b32 exec_lo, exec_lo, s2
	s_add_co_i32 s6, s6, 0x10000
	s_delay_alu instid0(SALU_CYCLE_1)
	s_cmp_lt_u32 s6, s10
	s_cbranch_scc0 .LBB266_40
.LBB266_7:                              ; =>This Loop Header: Depth=1
                                        ;     Child Loop BB266_10 Depth 2
	v_mov_b64_e32 v[40:41], 0
	s_and_not1_b32 vcc_lo, exec_lo, s13
	s_cbranch_vccnz .LBB266_18
; %bb.8:                                ;   in Loop: Header=BB266_7 Depth=1
	s_mul_u64 s[2:3], s[22:23], s[6:7]
	s_mul_u64 s[18:19], s[16:17], s[6:7]
	v_mov_b64_e32 v[24:25], 0
	v_mov_b64_e32 v[26:27], 0
	;; [unrolled: 1-line block ×8, first 2 shown]
	v_lshl_add_u64 v[28:29], s[18:19], 4, v[20:21]
	v_lshl_add_u64 v[30:31], s[2:3], 4, v[18:19]
	s_mov_b64 s[2:3], 0
	s_branch .LBB266_10
.LBB266_9:                              ;   in Loop: Header=BB266_10 Depth=2
	s_wait_xcnt 0x0
	s_or_b32 exec_lo, exec_lo, s18
	ds_store_b128 v45, v[2:5]
	s_wait_dscnt 0x0
	s_barrier_signal -1
	s_barrier_wait -1
	ds_load_b128 v[2:5], v15
	ds_load_b128 v[46:49], v7
	ds_load_b128 v[50:53], v7 offset:256
	ds_load_b128 v[54:57], v15 offset:2048
	;; [unrolled: 1-line block ×10, first 2 shown]
	s_add_nc_u64 s[2:3], s[2:3], 8
	s_delay_alu instid0(SALU_CYCLE_1)
	v_cmp_gt_i64_e64 s18, s[8:9], s[2:3]
	s_and_b32 vcc_lo, exec_lo, s18
	s_wait_dscnt 0xa
	v_mul_f64_e32 v[90:91], v[4:5], v[48:49]
	v_mul_f64_e32 v[92:93], v[2:3], v[48:49]
	s_wait_dscnt 0x9
	v_mul_f64_e32 v[94:95], v[4:5], v[52:53]
	v_mul_f64_e32 v[96:97], v[2:3], v[52:53]
	s_wait_dscnt 0x8
	v_mul_f64_e32 v[98:99], v[56:57], v[48:49]
	v_mul_f64_e32 v[100:101], v[54:55], v[48:49]
	v_mul_f64_e32 v[48:49], v[56:57], v[52:53]
	v_mul_f64_e32 v[102:103], v[54:55], v[52:53]
	s_wait_dscnt 0x6
	v_mul_f64_e32 v[104:105], v[60:61], v[64:65]
	v_mul_f64_e32 v[106:107], v[58:59], v[64:65]
	s_wait_dscnt 0x5
	v_mul_f64_e32 v[108:109], v[60:61], v[68:69]
	v_mul_f64_e32 v[110:111], v[58:59], v[68:69]
	s_wait_dscnt 0x4
	v_mul_f64_e32 v[112:113], v[72:73], v[64:65]
	v_mul_f64_e32 v[64:65], v[70:71], v[64:65]
	v_mul_f64_e32 v[114:115], v[72:73], v[68:69]
	v_mul_f64_e32 v[68:69], v[70:71], v[68:69]
	;; [unrolled: 11-line block ×3, first 2 shown]
	v_fma_f64 v[90:91], v[2:3], v[46:47], -v[90:91]
	v_fmac_f64_e32 v[92:93], v[4:5], v[46:47]
	v_fma_f64 v[94:95], v[2:3], v[50:51], -v[94:95]
	v_fmac_f64_e32 v[96:97], v[4:5], v[50:51]
	;; [unrolled: 2-line block ×8, first 2 shown]
	ds_load_b128 v[2:5], v15 offset:48
	ds_load_b128 v[46:49], v15 offset:2096
	ds_load_b128 v[50:53], v7 offset:1536
	ds_load_b128 v[54:57], v7 offset:1792
	v_fma_f64 v[118:119], v[74:75], v[78:79], -v[118:119]
	v_fmac_f64_e32 v[120:121], v[76:77], v[78:79]
	v_fma_f64 v[74:75], v[74:75], v[82:83], -v[122:123]
	v_fmac_f64_e32 v[124:125], v[76:77], v[82:83]
	;; [unrolled: 2-line block ×4, first 2 shown]
	v_add_f64_e32 v[66:67], v[40:41], v[90:91]
	v_add_f64_e32 v[70:71], v[92:93], v[42:43]
	v_add_f64_e32 v[72:73], v[36:37], v[94:95]
	v_add_f64_e32 v[90:91], v[96:97], v[38:39]
	v_add_f64_e32 v[92:93], v[32:33], v[98:99]
	v_add_f64_e32 v[94:95], v[100:101], v[34:35]
	v_add_f64_e32 v[96:97], v[26:27], v[116:117]
	v_add_f64_e32 v[98:99], v[102:103], v[24:25]
	s_wait_dscnt 0x1
	v_mul_f64_e32 v[100:101], v[4:5], v[52:53]
	v_mul_f64_e32 v[102:103], v[2:3], v[52:53]
	s_wait_dscnt 0x0
	v_mul_f64_e32 v[108:109], v[4:5], v[56:57]
	v_mul_f64_e32 v[112:113], v[2:3], v[56:57]
	v_mul_f64_e32 v[114:115], v[48:49], v[52:53]
	v_mul_f64_e32 v[116:117], v[46:47], v[52:53]
	v_mul_f64_e32 v[52:53], v[48:49], v[56:57]
	v_mul_f64_e32 v[130:131], v[46:47], v[56:57]
	ds_load_b128 v[24:27], v15 offset:64
	ds_load_b128 v[32:35], v7 offset:2048
	;; [unrolled: 1-line block ×4, first 2 shown]
	v_add_f64_e32 v[82:83], v[66:67], v[104:105]
	v_add_f64_e32 v[86:87], v[106:107], v[70:71]
	;; [unrolled: 1-line block ×8, first 2 shown]
	s_wait_dscnt 0x2
	v_mul_f64_e32 v[98:99], v[26:27], v[34:35]
	v_mul_f64_e32 v[104:105], v[24:25], v[34:35]
	s_wait_dscnt 0x1
	v_mul_f64_e32 v[106:107], v[26:27], v[38:39]
	v_mul_f64_e32 v[110:111], v[24:25], v[38:39]
	s_wait_dscnt 0x0
	v_mul_f64_e32 v[122:123], v[42:43], v[34:35]
	v_mul_f64_e32 v[126:127], v[40:41], v[34:35]
	v_mul_f64_e32 v[34:35], v[42:43], v[38:39]
	v_mul_f64_e32 v[128:129], v[40:41], v[38:39]
	v_fma_f64 v[38:39], v[2:3], v[50:51], -v[100:101]
	v_fmac_f64_e32 v[102:103], v[4:5], v[50:51]
	v_fma_f64 v[100:101], v[2:3], v[54:55], -v[108:109]
	v_fmac_f64_e32 v[112:113], v[4:5], v[54:55]
	;; [unrolled: 2-line block ×4, first 2 shown]
	ds_load_b128 v[56:59], v15 offset:80
	ds_load_b128 v[60:63], v15 offset:2128
	ds_load_b128 v[64:67], v7 offset:2560
	ds_load_b128 v[68:71], v7 offset:2816
	v_add_f64_e32 v[54:55], v[82:83], v[118:119]
	v_add_f64_e32 v[82:83], v[120:121], v[86:87]
	;; [unrolled: 1-line block ×8, first 2 shown]
	v_fma_f64 v[98:99], v[24:25], v[32:33], -v[98:99]
	v_fmac_f64_e32 v[104:105], v[26:27], v[32:33]
	v_fma_f64 v[106:107], v[24:25], v[36:37], -v[106:107]
	s_wait_dscnt 0x1
	v_mul_f64_e32 v[90:91], v[58:59], v[66:67]
	v_mul_f64_e32 v[92:93], v[56:57], v[66:67]
	s_wait_dscnt 0x0
	v_mul_f64_e32 v[94:95], v[58:59], v[70:71]
	v_mul_f64_e32 v[96:97], v[56:57], v[70:71]
	;; [unrolled: 1-line block ×6, first 2 shown]
	v_fmac_f64_e32 v[110:111], v[26:27], v[36:37]
	v_fma_f64 v[122:123], v[40:41], v[32:33], -v[122:123]
	v_fmac_f64_e32 v[126:127], v[42:43], v[32:33]
	v_fma_f64 v[124:125], v[40:41], v[36:37], -v[34:35]
	v_fmac_f64_e32 v[128:129], v[42:43], v[36:37]
	ds_load_b128 v[2:5], v15 offset:96
	ds_load_b128 v[46:49], v7 offset:3072
	;; [unrolled: 1-line block ×4, first 2 shown]
	v_add_f64_e32 v[54:55], v[54:55], v[38:39]
	v_add_f64_e32 v[82:83], v[102:103], v[82:83]
	;; [unrolled: 1-line block ×8, first 2 shown]
	ds_load_b128 v[24:27], v15 offset:112
	ds_load_b128 v[32:35], v15 offset:2160
	;; [unrolled: 1-line block ×4, first 2 shown]
	s_wait_dscnt 0x0
	v_mul_f64_e32 v[100:101], v[4:5], v[48:49]
	v_mul_f64_e32 v[102:103], v[2:3], v[48:49]
	;; [unrolled: 1-line block ×8, first 2 shown]
	v_fma_f64 v[90:91], v[56:57], v[64:65], -v[90:91]
	v_fmac_f64_e32 v[92:93], v[58:59], v[64:65]
	v_fma_f64 v[56:57], v[56:57], v[68:69], -v[94:95]
	v_fmac_f64_e32 v[96:97], v[58:59], v[68:69]
	;; [unrolled: 2-line block ×4, first 2 shown]
	s_barrier_signal -1
	s_barrier_wait -1
	v_mul_f64_e32 v[94:95], v[24:25], v[42:43]
	v_add_f64_e32 v[54:55], v[54:55], v[98:99]
	v_add_f64_e32 v[62:63], v[104:105], v[82:83]
	;; [unrolled: 1-line block ×8, first 2 shown]
	v_mul_f64_e32 v[84:85], v[26:27], v[38:39]
	v_mul_f64_e32 v[86:87], v[24:25], v[38:39]
	;; [unrolled: 1-line block ×7, first 2 shown]
	v_fma_f64 v[42:43], v[2:3], v[46:47], -v[100:101]
	v_fmac_f64_e32 v[102:103], v[4:5], v[46:47]
	v_fma_f64 v[2:3], v[2:3], v[50:51], -v[108:109]
	v_fmac_f64_e32 v[112:113], v[4:5], v[50:51]
	;; [unrolled: 2-line block ×4, first 2 shown]
	v_fmac_f64_e32 v[94:95], v[26:27], v[40:41]
	v_add_f64_e32 v[50:51], v[54:55], v[90:91]
	v_add_f64_e32 v[54:55], v[92:93], v[62:63]
	v_add_f64_e32 v[56:57], v[64:65], v[56:57]
	v_add_f64_e32 v[62:63], v[96:97], v[68:69]
	v_add_f64_e32 v[58:59], v[76:77], v[58:59]
	v_add_f64_e32 v[64:65], v[66:67], v[80:81]
	v_add_f64_e32 v[60:61], v[78:79], v[60:61]
	v_add_f64_e32 v[66:67], v[70:71], v[82:83]
	v_fma_f64 v[68:69], v[24:25], v[36:37], -v[84:85]
	v_fmac_f64_e32 v[86:87], v[26:27], v[36:37]
	v_fma_f64 v[24:25], v[24:25], v[40:41], -v[88:89]
	v_fma_f64 v[26:27], v[32:33], v[36:37], -v[98:99]
	v_fmac_f64_e32 v[104:105], v[34:35], v[36:37]
	v_fma_f64 v[70:71], v[32:33], v[40:41], -v[38:39]
	v_fmac_f64_e32 v[106:107], v[34:35], v[40:41]
	v_add_f64_e32 v[32:33], v[50:51], v[42:43]
	v_add_f64_e32 v[34:35], v[102:103], v[54:55]
	;; [unrolled: 1-line block ×16, first 2 shown]
	s_cbranch_vccz .LBB266_19
.LBB266_10:                             ;   Parent Loop BB266_7 Depth=1
                                        ; =>  This Inner Loop Header: Depth=2
	s_mov_b32 s18, 0
	s_mov_b32 s24, s11
	s_and_saveexec_b32 s19, s0
	s_cbranch_execnz .LBB266_16
; %bb.11:                               ;   in Loop: Header=BB266_10 Depth=2
	s_or_b32 exec_lo, exec_lo, s19
	s_and_saveexec_b32 s19, s24
	s_delay_alu instid0(SALU_CYCLE_1)
	s_xor_b32 s19, exec_lo, s19
	s_cbranch_execnz .LBB266_17
.LBB266_12:                             ;   in Loop: Header=BB266_10 Depth=2
	s_or_b32 exec_lo, exec_lo, s19
	s_and_saveexec_b32 s19, s18
	s_cbranch_execz .LBB266_14
.LBB266_13:                             ;   in Loop: Header=BB266_10 Depth=2
	v_lshl_add_u64 v[2:3], v[22:23], 4, v[28:29]
	global_load_b128 v[2:5], v[2:3], off
	s_wait_loadcnt 0x0
	ds_store_2addr_b64 v44, v[2:3], v[4:5] offset1:1
.LBB266_14:                             ;   in Loop: Header=BB266_10 Depth=2
	s_wait_xcnt 0x0
	s_or_b32 exec_lo, exec_lo, s19
	v_add_nc_u32_e32 v0, s2, v6
	v_mov_b64_e32 v[2:3], 0
	v_mov_b64_e32 v[4:5], 0
	s_delay_alu instid0(VALU_DEP_3) | instskip(SKIP_1) | instid1(SALU_CYCLE_1)
	v_cmp_gt_u64_e32 vcc_lo, s[8:9], v[0:1]
	s_and_b32 s19, vcc_lo, s1
	s_and_saveexec_b32 s18, s19
	s_cbranch_execz .LBB266_9
; %bb.15:                               ;   in Loop: Header=BB266_10 Depth=2
	v_mul_u64_e32 v[2:3], s[20:21], v[0:1]
	s_delay_alu instid0(VALU_DEP_1)
	v_lshl_add_u64 v[2:3], v[2:3], 4, v[30:31]
	global_load_b128 v[2:5], v[2:3], off
	s_wait_loadcnt 0x0
	v_xor_b32_e32 v5, 0x80000000, v5
	s_branch .LBB266_9
.LBB266_16:                             ;   in Loop: Header=BB266_10 Depth=2
	v_add_nc_u32_e32 v0, s2, v14
	s_and_not1_b32 s24, s11, exec_lo
	s_mov_b32 s18, exec_lo
	s_delay_alu instid0(VALU_DEP_1) | instskip(SKIP_2) | instid1(SALU_CYCLE_1)
	v_cmp_le_u64_e32 vcc_lo, s[8:9], v[0:1]
	v_mov_b64_e32 v[22:23], v[0:1]
	s_and_b32 s25, vcc_lo, exec_lo
	s_or_b32 s24, s24, s25
	s_or_b32 exec_lo, exec_lo, s19
	s_and_saveexec_b32 s19, s24
	s_delay_alu instid0(SALU_CYCLE_1)
	s_xor_b32 s19, exec_lo, s19
	s_cbranch_execz .LBB266_12
.LBB266_17:                             ;   in Loop: Header=BB266_10 Depth=2
	v_dual_mov_b32 v0, v1 :: v_dual_mov_b32 v2, v1
	v_mov_b32_e32 v3, v1
	s_and_not1_b32 s18, s18, exec_lo
	ds_store_b128 v44, v[0:3]
	s_or_b32 exec_lo, exec_lo, s19
	s_and_saveexec_b32 s19, s18
	s_cbranch_execnz .LBB266_13
	s_branch .LBB266_14
.LBB266_18:                             ;   in Loop: Header=BB266_7 Depth=1
	v_mov_b64_e32 v[42:43], 0
	v_mov_b64_e32 v[36:37], 0
	;; [unrolled: 1-line block ×7, first 2 shown]
.LBB266_19:                             ;   in Loop: Header=BB266_7 Depth=1
	s_mul_u64 s[2:3], s[30:31], s[6:7]
	s_delay_alu instid0(SALU_CYCLE_1) | instskip(NEXT) | instid1(SALU_CYCLE_1)
	s_lshl_b64 s[2:3], s[2:3], 4
	s_add_nc_u64 s[2:3], s[26:27], s[2:3]
	s_delay_alu instid0(SALU_CYCLE_1)
	v_lshl_add_u64 v[28:29], v[10:11], 4, s[2:3]
	s_and_saveexec_b32 s18, s12
	s_cbranch_execz .LBB266_24
; %bb.20:                               ;   in Loop: Header=BB266_7 Depth=1
	v_mul_f64_e32 v[2:3], s[42:43], v[42:43]
	v_mul_f64_e32 v[4:5], s[40:41], v[42:43]
	v_lshl_add_u64 v[30:31], v[8:9], 4, v[28:29]
	s_and_b32 vcc_lo, exec_lo, s14
	s_mov_b32 s19, -1
	s_delay_alu instid0(VALU_DEP_3) | instskip(NEXT) | instid1(VALU_DEP_3)
	v_fma_f64 v[2:3], s[40:41], v[40:41], -v[2:3]
	v_fmac_f64_e32 v[4:5], s[42:43], v[40:41]
	s_cbranch_vccz .LBB266_22
; %bb.21:                               ;   in Loop: Header=BB266_7 Depth=1
	global_load_b128 v[40:43], v[30:31], off
	s_mov_b32 s19, 0
	s_wait_loadcnt 0x0
	v_mul_f64_e32 v[46:47], s[38:39], v[42:43]
	v_mul_f64_e32 v[42:43], s[36:37], v[42:43]
	s_delay_alu instid0(VALU_DEP_2) | instskip(NEXT) | instid1(VALU_DEP_2)
	v_fma_f64 v[46:47], s[36:37], v[40:41], -v[46:47]
	v_fmac_f64_e32 v[42:43], s[38:39], v[40:41]
	s_delay_alu instid0(VALU_DEP_2) | instskip(NEXT) | instid1(VALU_DEP_2)
	v_add_f64_e32 v[40:41], v[2:3], v[46:47]
	v_add_f64_e32 v[42:43], v[4:5], v[42:43]
	global_store_b128 v[30:31], v[40:43], off
.LBB266_22:                             ;   in Loop: Header=BB266_7 Depth=1
	s_and_not1_b32 vcc_lo, exec_lo, s19
	s_cbranch_vccnz .LBB266_24
; %bb.23:                               ;   in Loop: Header=BB266_7 Depth=1
	global_store_b128 v[30:31], v[2:5], off
.LBB266_24:                             ;   in Loop: Header=BB266_7 Depth=1
	s_wait_xcnt 0x0
	s_or_b32 exec_lo, exec_lo, s18
	s_and_saveexec_b32 s18, s15
	s_cbranch_execz .LBB266_29
; %bb.25:                               ;   in Loop: Header=BB266_7 Depth=1
	v_mul_f64_e32 v[2:3], s[42:43], v[38:39]
	v_mul_f64_e32 v[4:5], s[40:41], v[38:39]
	v_lshl_add_u64 v[28:29], v[16:17], 4, v[28:29]
	s_and_not1_b32 vcc_lo, exec_lo, s14
	s_mov_b32 s19, -1
	s_delay_alu instid0(VALU_DEP_3) | instskip(NEXT) | instid1(VALU_DEP_3)
	v_fma_f64 v[2:3], s[40:41], v[36:37], -v[2:3]
	v_fmac_f64_e32 v[4:5], s[42:43], v[36:37]
	s_cbranch_vccnz .LBB266_27
; %bb.26:                               ;   in Loop: Header=BB266_7 Depth=1
	global_load_b128 v[36:39], v[28:29], off
	s_mov_b32 s19, 0
	s_wait_loadcnt 0x0
	v_mul_f64_e32 v[30:31], s[38:39], v[38:39]
	v_mul_f64_e32 v[38:39], s[36:37], v[38:39]
	s_delay_alu instid0(VALU_DEP_2) | instskip(NEXT) | instid1(VALU_DEP_2)
	v_fma_f64 v[30:31], s[36:37], v[36:37], -v[30:31]
	v_fmac_f64_e32 v[38:39], s[38:39], v[36:37]
	s_delay_alu instid0(VALU_DEP_2) | instskip(NEXT) | instid1(VALU_DEP_2)
	v_add_f64_e32 v[36:37], v[2:3], v[30:31]
	v_add_f64_e32 v[38:39], v[4:5], v[38:39]
	global_store_b128 v[28:29], v[36:39], off
.LBB266_27:                             ;   in Loop: Header=BB266_7 Depth=1
	s_and_not1_b32 vcc_lo, exec_lo, s19
	s_cbranch_vccnz .LBB266_29
; %bb.28:                               ;   in Loop: Header=BB266_7 Depth=1
	global_store_b128 v[28:29], v[2:5], off
.LBB266_29:                             ;   in Loop: Header=BB266_7 Depth=1
	s_wait_xcnt 0x0
	s_or_b32 exec_lo, exec_lo, s18
	v_lshl_add_u64 v[28:29], v[12:13], 4, s[2:3]
	s_and_saveexec_b32 s2, s4
	s_cbranch_execz .LBB266_34
; %bb.30:                               ;   in Loop: Header=BB266_7 Depth=1
	v_mul_f64_e32 v[2:3], s[42:43], v[34:35]
	v_mul_f64_e32 v[4:5], s[40:41], v[34:35]
	v_lshl_add_u64 v[30:31], v[8:9], 4, v[28:29]
	s_and_not1_b32 vcc_lo, exec_lo, s14
	s_mov_b32 s3, -1
	s_delay_alu instid0(VALU_DEP_3) | instskip(NEXT) | instid1(VALU_DEP_3)
	v_fma_f64 v[2:3], s[40:41], v[32:33], -v[2:3]
	v_fmac_f64_e32 v[4:5], s[42:43], v[32:33]
	s_cbranch_vccnz .LBB266_32
; %bb.31:                               ;   in Loop: Header=BB266_7 Depth=1
	global_load_b128 v[32:35], v[30:31], off
	s_mov_b32 s3, 0
	s_wait_loadcnt 0x0
	v_mul_f64_e32 v[36:37], s[38:39], v[34:35]
	v_mul_f64_e32 v[34:35], s[36:37], v[34:35]
	s_delay_alu instid0(VALU_DEP_2) | instskip(NEXT) | instid1(VALU_DEP_2)
	v_fma_f64 v[36:37], s[36:37], v[32:33], -v[36:37]
	v_fmac_f64_e32 v[34:35], s[38:39], v[32:33]
	s_delay_alu instid0(VALU_DEP_2) | instskip(NEXT) | instid1(VALU_DEP_2)
	v_add_f64_e32 v[32:33], v[2:3], v[36:37]
	v_add_f64_e32 v[34:35], v[4:5], v[34:35]
	global_store_b128 v[30:31], v[32:35], off
.LBB266_32:                             ;   in Loop: Header=BB266_7 Depth=1
	s_and_not1_b32 vcc_lo, exec_lo, s3
	s_cbranch_vccnz .LBB266_34
; %bb.33:                               ;   in Loop: Header=BB266_7 Depth=1
	global_store_b128 v[30:31], v[2:5], off
.LBB266_34:                             ;   in Loop: Header=BB266_7 Depth=1
	s_wait_xcnt 0x0
	s_or_b32 exec_lo, exec_lo, s2
	s_and_saveexec_b32 s2, s5
	s_cbranch_execz .LBB266_6
; %bb.35:                               ;   in Loop: Header=BB266_7 Depth=1
	s_delay_alu instid0(VALU_DEP_3) | instskip(SKIP_4) | instid1(VALU_DEP_3)
	v_mul_f64_e32 v[2:3], s[42:43], v[24:25]
	v_mul_f64_e32 v[4:5], s[40:41], v[24:25]
	v_lshl_add_u64 v[24:25], v[16:17], 4, v[28:29]
	s_and_not1_b32 vcc_lo, exec_lo, s14
	s_mov_b32 s3, -1
	v_fma_f64 v[2:3], s[40:41], v[26:27], -v[2:3]
	s_delay_alu instid0(VALU_DEP_3)
	v_fmac_f64_e32 v[4:5], s[42:43], v[26:27]
	s_cbranch_vccnz .LBB266_37
; %bb.36:                               ;   in Loop: Header=BB266_7 Depth=1
	global_load_b128 v[26:29], v[24:25], off
	s_mov_b32 s3, 0
	s_wait_loadcnt 0x0
	v_mul_f64_e32 v[30:31], s[38:39], v[28:29]
	v_mul_f64_e32 v[28:29], s[36:37], v[28:29]
	s_delay_alu instid0(VALU_DEP_2) | instskip(NEXT) | instid1(VALU_DEP_2)
	v_fma_f64 v[30:31], s[36:37], v[26:27], -v[30:31]
	v_fmac_f64_e32 v[28:29], s[38:39], v[26:27]
	s_delay_alu instid0(VALU_DEP_2) | instskip(NEXT) | instid1(VALU_DEP_2)
	v_add_f64_e32 v[26:27], v[2:3], v[30:31]
	v_add_f64_e32 v[28:29], v[4:5], v[28:29]
	global_store_b128 v[24:25], v[26:29], off
.LBB266_37:                             ;   in Loop: Header=BB266_7 Depth=1
	s_and_not1_b32 vcc_lo, exec_lo, s3
	s_cbranch_vccnz .LBB266_6
; %bb.38:                               ;   in Loop: Header=BB266_7 Depth=1
	global_store_b128 v[24:25], v[2:5], off
	s_branch .LBB266_6
.LBB266_39:
.LBB266_40:
	s_sendmsg sendmsg(MSG_DEALLOC_VGPRS)
	s_endpgm
	.section	.rodata,"a",@progbits
	.p2align	6, 0x0
	.amdhsa_kernel _ZL29rocblas_internal_gemmt_kernelIlLi16ELi32ELi8ELc84ELc67ELc76ELb0ELb1E19rocblas_complex_numIdEPKS1_S3_PS1_EviT_T9_T10_S5_lS7_S5_lS6_T11_S5_li
		.amdhsa_group_segment_fixed_size 8192
		.amdhsa_private_segment_fixed_size 0
		.amdhsa_kernarg_size 108
		.amdhsa_user_sgpr_count 2
		.amdhsa_user_sgpr_dispatch_ptr 0
		.amdhsa_user_sgpr_queue_ptr 0
		.amdhsa_user_sgpr_kernarg_segment_ptr 1
		.amdhsa_user_sgpr_dispatch_id 0
		.amdhsa_user_sgpr_kernarg_preload_length 0
		.amdhsa_user_sgpr_kernarg_preload_offset 0
		.amdhsa_user_sgpr_private_segment_size 0
		.amdhsa_wavefront_size32 1
		.amdhsa_uses_dynamic_stack 0
		.amdhsa_enable_private_segment 0
		.amdhsa_system_sgpr_workgroup_id_x 1
		.amdhsa_system_sgpr_workgroup_id_y 1
		.amdhsa_system_sgpr_workgroup_id_z 1
		.amdhsa_system_sgpr_workgroup_info 0
		.amdhsa_system_vgpr_workitem_id 1
		.amdhsa_next_free_vgpr 132
		.amdhsa_next_free_sgpr 44
		.amdhsa_named_barrier_count 0
		.amdhsa_reserve_vcc 1
		.amdhsa_float_round_mode_32 0
		.amdhsa_float_round_mode_16_64 0
		.amdhsa_float_denorm_mode_32 3
		.amdhsa_float_denorm_mode_16_64 3
		.amdhsa_fp16_overflow 0
		.amdhsa_memory_ordered 1
		.amdhsa_forward_progress 1
		.amdhsa_inst_pref_size 23
		.amdhsa_round_robin_scheduling 0
		.amdhsa_exception_fp_ieee_invalid_op 0
		.amdhsa_exception_fp_denorm_src 0
		.amdhsa_exception_fp_ieee_div_zero 0
		.amdhsa_exception_fp_ieee_overflow 0
		.amdhsa_exception_fp_ieee_underflow 0
		.amdhsa_exception_fp_ieee_inexact 0
		.amdhsa_exception_int_div_zero 0
	.end_amdhsa_kernel
	.section	.text._ZL29rocblas_internal_gemmt_kernelIlLi16ELi32ELi8ELc84ELc67ELc76ELb0ELb1E19rocblas_complex_numIdEPKS1_S3_PS1_EviT_T9_T10_S5_lS7_S5_lS6_T11_S5_li,"axG",@progbits,_ZL29rocblas_internal_gemmt_kernelIlLi16ELi32ELi8ELc84ELc67ELc76ELb0ELb1E19rocblas_complex_numIdEPKS1_S3_PS1_EviT_T9_T10_S5_lS7_S5_lS6_T11_S5_li,comdat
.Lfunc_end266:
	.size	_ZL29rocblas_internal_gemmt_kernelIlLi16ELi32ELi8ELc84ELc67ELc76ELb0ELb1E19rocblas_complex_numIdEPKS1_S3_PS1_EviT_T9_T10_S5_lS7_S5_lS6_T11_S5_li, .Lfunc_end266-_ZL29rocblas_internal_gemmt_kernelIlLi16ELi32ELi8ELc84ELc67ELc76ELb0ELb1E19rocblas_complex_numIdEPKS1_S3_PS1_EviT_T9_T10_S5_lS7_S5_lS6_T11_S5_li
                                        ; -- End function
	.set _ZL29rocblas_internal_gemmt_kernelIlLi16ELi32ELi8ELc84ELc67ELc76ELb0ELb1E19rocblas_complex_numIdEPKS1_S3_PS1_EviT_T9_T10_S5_lS7_S5_lS6_T11_S5_li.num_vgpr, 132
	.set _ZL29rocblas_internal_gemmt_kernelIlLi16ELi32ELi8ELc84ELc67ELc76ELb0ELb1E19rocblas_complex_numIdEPKS1_S3_PS1_EviT_T9_T10_S5_lS7_S5_lS6_T11_S5_li.num_agpr, 0
	.set _ZL29rocblas_internal_gemmt_kernelIlLi16ELi32ELi8ELc84ELc67ELc76ELb0ELb1E19rocblas_complex_numIdEPKS1_S3_PS1_EviT_T9_T10_S5_lS7_S5_lS6_T11_S5_li.numbered_sgpr, 44
	.set _ZL29rocblas_internal_gemmt_kernelIlLi16ELi32ELi8ELc84ELc67ELc76ELb0ELb1E19rocblas_complex_numIdEPKS1_S3_PS1_EviT_T9_T10_S5_lS7_S5_lS6_T11_S5_li.num_named_barrier, 0
	.set _ZL29rocblas_internal_gemmt_kernelIlLi16ELi32ELi8ELc84ELc67ELc76ELb0ELb1E19rocblas_complex_numIdEPKS1_S3_PS1_EviT_T9_T10_S5_lS7_S5_lS6_T11_S5_li.private_seg_size, 0
	.set _ZL29rocblas_internal_gemmt_kernelIlLi16ELi32ELi8ELc84ELc67ELc76ELb0ELb1E19rocblas_complex_numIdEPKS1_S3_PS1_EviT_T9_T10_S5_lS7_S5_lS6_T11_S5_li.uses_vcc, 1
	.set _ZL29rocblas_internal_gemmt_kernelIlLi16ELi32ELi8ELc84ELc67ELc76ELb0ELb1E19rocblas_complex_numIdEPKS1_S3_PS1_EviT_T9_T10_S5_lS7_S5_lS6_T11_S5_li.uses_flat_scratch, 0
	.set _ZL29rocblas_internal_gemmt_kernelIlLi16ELi32ELi8ELc84ELc67ELc76ELb0ELb1E19rocblas_complex_numIdEPKS1_S3_PS1_EviT_T9_T10_S5_lS7_S5_lS6_T11_S5_li.has_dyn_sized_stack, 0
	.set _ZL29rocblas_internal_gemmt_kernelIlLi16ELi32ELi8ELc84ELc67ELc76ELb0ELb1E19rocblas_complex_numIdEPKS1_S3_PS1_EviT_T9_T10_S5_lS7_S5_lS6_T11_S5_li.has_recursion, 0
	.set _ZL29rocblas_internal_gemmt_kernelIlLi16ELi32ELi8ELc84ELc67ELc76ELb0ELb1E19rocblas_complex_numIdEPKS1_S3_PS1_EviT_T9_T10_S5_lS7_S5_lS6_T11_S5_li.has_indirect_call, 0
	.section	.AMDGPU.csdata,"",@progbits
; Kernel info:
; codeLenInByte = 2924
; TotalNumSgprs: 46
; NumVgprs: 132
; ScratchSize: 0
; MemoryBound: 1
; FloatMode: 240
; IeeeMode: 1
; LDSByteSize: 8192 bytes/workgroup (compile time only)
; SGPRBlocks: 0
; VGPRBlocks: 8
; NumSGPRsForWavesPerEU: 46
; NumVGPRsForWavesPerEU: 132
; NamedBarCnt: 0
; Occupancy: 7
; WaveLimiterHint : 0
; COMPUTE_PGM_RSRC2:SCRATCH_EN: 0
; COMPUTE_PGM_RSRC2:USER_SGPR: 2
; COMPUTE_PGM_RSRC2:TRAP_HANDLER: 0
; COMPUTE_PGM_RSRC2:TGID_X_EN: 1
; COMPUTE_PGM_RSRC2:TGID_Y_EN: 1
; COMPUTE_PGM_RSRC2:TGID_Z_EN: 1
; COMPUTE_PGM_RSRC2:TIDIG_COMP_CNT: 1
	.section	.text._ZL29rocblas_internal_gemmt_kernelIlLi16ELi32ELi8ELc67ELc78ELc76ELb1ELb0E19rocblas_complex_numIdEPKS1_S3_PS1_EviT_T9_T10_S5_lS7_S5_lS6_T11_S5_li,"axG",@progbits,_ZL29rocblas_internal_gemmt_kernelIlLi16ELi32ELi8ELc67ELc78ELc76ELb1ELb0E19rocblas_complex_numIdEPKS1_S3_PS1_EviT_T9_T10_S5_lS7_S5_lS6_T11_S5_li,comdat
	.globl	_ZL29rocblas_internal_gemmt_kernelIlLi16ELi32ELi8ELc67ELc78ELc76ELb1ELb0E19rocblas_complex_numIdEPKS1_S3_PS1_EviT_T9_T10_S5_lS7_S5_lS6_T11_S5_li ; -- Begin function _ZL29rocblas_internal_gemmt_kernelIlLi16ELi32ELi8ELc67ELc78ELc76ELb1ELb0E19rocblas_complex_numIdEPKS1_S3_PS1_EviT_T9_T10_S5_lS7_S5_lS6_T11_S5_li
	.p2align	8
	.type	_ZL29rocblas_internal_gemmt_kernelIlLi16ELi32ELi8ELc67ELc78ELc76ELb1ELb0E19rocblas_complex_numIdEPKS1_S3_PS1_EviT_T9_T10_S5_lS7_S5_lS6_T11_S5_li,@function
_ZL29rocblas_internal_gemmt_kernelIlLi16ELi32ELi8ELc67ELc78ELc76ELb1ELb0E19rocblas_complex_numIdEPKS1_S3_PS1_EviT_T9_T10_S5_lS7_S5_lS6_T11_S5_li: ; @_ZL29rocblas_internal_gemmt_kernelIlLi16ELi32ELi8ELc67ELc78ELc76ELb1ELb0E19rocblas_complex_numIdEPKS1_S3_PS1_EviT_T9_T10_S5_lS7_S5_lS6_T11_S5_li
; %bb.0:
	s_clause 0x1
	s_load_b256 s[24:31], s[0:1], 0x48
	s_load_b512 s[8:23], s[0:1], 0x8
	s_wait_kmcnt 0x0
	s_load_b128 s[36:39], s[24:25], 0x0
	s_load_b128 s[40:43], s[10:11], 0x0
	s_wait_kmcnt 0x0
	v_cmp_eq_f64_e64 s3, s[36:37], 1.0
	v_cmp_eq_f64_e64 s2, s[38:39], 0
	s_and_b32 s3, s3, s2
	s_delay_alu instid0(SALU_CYCLE_1)
	s_and_not1_b32 vcc_lo, exec_lo, s3
	s_mov_b32 s3, -1
	s_cbranch_vccnz .LBB267_3
; %bb.1:
	s_cmp_lg_u64 s[8:9], 0
	s_cbranch_scc0 .LBB267_38
; %bb.2:
	v_cmp_neq_f64_e64 s3, s[40:41], 0
	v_cmp_neq_f64_e64 s4, s[42:43], 0
	s_or_b32 s3, s3, s4
.LBB267_3:
	s_delay_alu instid0(SALU_CYCLE_1)
	s_and_b32 vcc_lo, exec_lo, s3
	s_cbranch_vccz .LBB267_39
; %bb.4:
	s_load_b32 s5, s[0:1], 0x68
	s_bfe_u32 s3, ttmp6, 0x40014
	s_lshr_b32 s4, ttmp7, 16
	s_add_co_i32 s3, s3, 1
	s_bfe_u32 s7, ttmp6, 0x40008
	s_mul_i32 s6, s4, s3
	s_getreg_b32 s3, hwreg(HW_REG_IB_STS2, 6, 4)
	s_add_co_i32 s7, s7, s6
	s_cmp_eq_u32 s3, 0
	s_cselect_b32 s6, s4, s7
	s_mov_b32 s7, 0
	s_wait_kmcnt 0x0
	s_cmp_ge_u32 s6, s5
	s_cbranch_scc1 .LBB267_39
; %bb.5:
	v_and_b32_e32 v1, 0x3ff, v0
	v_bfe_u32 v9, v0, 10, 10
	s_bfe_u32 s10, ttmp6, 0x4000c
	s_bfe_u32 s24, ttmp6, 0x40010
	s_and_b32 s11, ttmp7, 0xffff
	s_add_co_i32 s10, s10, 1
	s_add_co_i32 s24, s24, 1
	v_lshl_add_u32 v14, v9, 4, v1
	s_and_b32 s4, ttmp6, 15
	s_mul_i32 s10, ttmp9, s10
	s_mul_i32 s24, s11, s24
	s_bfe_u32 s25, ttmp6, 0x40004
	s_add_co_i32 s4, s4, s10
	s_add_co_i32 s25, s25, s24
	s_cmp_eq_u32 s3, 0
	v_dual_lshrrev_b32 v15, 3, v14 :: v_dual_bitop2_b32 v16, 31, v14 bitop3:0x40
	s_cselect_b32 s3, ttmp9, s4
	s_cselect_b32 s4, s11, s25
	s_lshl_b32 s3, s3, 5
	s_lshl_b32 s4, s4, 5
	s_delay_alu instid0(SALU_CYCLE_1) | instskip(SKIP_2) | instid1(VALU_DEP_3)
	v_dual_add_nc_u32 v4, s4, v15 :: v_dual_bitop2_b32 v2, s3, v16 bitop3:0x54
	v_dual_add_nc_u32 v22, s4, v9 :: v_dual_bitop2_b32 v6, 7, v0 bitop3:0x40
	v_cmp_neq_f64_e64 s10, s[40:41], 0
	v_dual_ashrrev_i32 v3, 31, v2 :: v_dual_ashrrev_i32 v5, 31, v4
	s_delay_alu instid0(VALU_DEP_3) | instskip(SKIP_1) | instid1(VALU_DEP_3)
	v_dual_add_nc_u32 v24, 16, v22 :: v_dual_ashrrev_i32 v23, 31, v22
	v_cmp_neq_f64_e64 s11, s[42:43], 0
	v_mul_u64_e32 v[18:19], s[14:15], v[2:3]
	s_delay_alu instid0(VALU_DEP_4) | instskip(NEXT) | instid1(VALU_DEP_4)
	v_mul_u64_e32 v[20:21], s[20:21], v[4:5]
	v_dual_ashrrev_i32 v25, 31, v24 :: v_dual_lshlrev_b32 v0, 4, v6
	v_cmp_neq_f64_e64 s14, s[36:37], 0
	s_load_b32 s4, s[0:1], 0x0
	v_mul_u64_e32 v[10:11], s[28:29], v[22:23]
	v_mul_u64_e32 v[12:13], s[28:29], v[24:25]
	v_dual_lshlrev_b32 v7, 4, v1 :: v_dual_add_nc_u32 v8, s3, v1
	v_dual_lshrrev_b32 v14, 5, v14 :: v_dual_lshlrev_b32 v1, 4, v16
	s_xor_b32 s20, s2, -1
	v_lshl_add_u32 v43, v9, 7, 0x1000
	s_delay_alu instid0(VALU_DEP_3) | instskip(SKIP_3) | instid1(VALU_DEP_4)
	v_dual_add_nc_u32 v16, 16, v8 :: v_dual_ashrrev_i32 v9, 31, v8
	v_cmp_le_i32_e32 vcc_lo, v22, v8
	v_lshl_or_b32 v0, v15, 7, v0
	v_cmp_gt_i64_e64 s15, s[8:9], 0
	v_cmp_le_i32_e64 s3, v22, v16
	v_lshl_or_b32 v15, v14, 9, v1
	v_ashrrev_i32_e32 v17, 31, v16
	v_dual_mov_b32 v1, 0 :: v_dual_add_nc_u32 v42, 0x1000, v0
	s_wait_kmcnt 0x0
	v_cmp_gt_i32_e64 s0, s4, v2
	v_cmp_gt_i32_e64 s1, s4, v4
	;; [unrolled: 1-line block ×4, first 2 shown]
	s_or_b32 s21, s10, s11
	v_lshl_add_u64 v[18:19], v[18:19], 4, s[12:13]
	s_and_b32 s11, vcc_lo, s2
	s_and_b32 s12, s3, s4
	v_cmp_le_i32_e32 vcc_lo, v24, v8
	v_cmp_le_i32_e64 s3, v24, v16
	v_lshl_add_u64 v[20:21], v[20:21], 4, s[18:19]
	s_or_b32 s10, s14, s20
	s_and_b32 s13, s21, s15
	s_and_b32 s14, vcc_lo, s2
	s_and_b32 s4, s3, s4
	s_xor_b32 s1, s1, -1
	s_branch .LBB267_7
.LBB267_6:                              ;   in Loop: Header=BB267_7 Depth=1
	s_wait_xcnt 0x0
	s_or_b32 exec_lo, exec_lo, s2
	s_add_co_i32 s6, s6, 0x10000
	s_delay_alu instid0(SALU_CYCLE_1)
	s_cmp_lt_u32 s6, s5
	s_cbranch_scc0 .LBB267_39
.LBB267_7:                              ; =>This Loop Header: Depth=1
                                        ;     Child Loop BB267_10 Depth 2
	v_mov_b64_e32 v[38:39], 0
	v_mov_b64_e32 v[40:41], 0
	;; [unrolled: 1-line block ×8, first 2 shown]
	s_and_not1_b32 vcc_lo, exec_lo, s13
	s_cbranch_vccnz .LBB267_18
; %bb.8:                                ;   in Loop: Header=BB267_7 Depth=1
	s_mul_u64 s[2:3], s[22:23], s[6:7]
	s_mul_u64 s[18:19], s[16:17], s[6:7]
	v_mov_b64_e32 v[24:25], 0
	v_mov_b64_e32 v[22:23], 0
	;; [unrolled: 1-line block ×8, first 2 shown]
	v_lshl_add_u64 v[26:27], s[18:19], 4, v[18:19]
	v_lshl_add_u64 v[28:29], s[2:3], 4, v[20:21]
	s_mov_b64 s[2:3], 0
	s_branch .LBB267_10
.LBB267_9:                              ;   in Loop: Header=BB267_10 Depth=2
	s_wait_xcnt 0x0
	s_or_b32 exec_lo, exec_lo, s15
	s_wait_dscnt 0x0
	s_barrier_signal -1
	s_barrier_wait -1
	ds_load_b128 v[2:5], v43
	ds_load_b128 v[44:47], v7
	ds_load_b128 v[48:51], v7 offset:256
	ds_load_b128 v[52:55], v43 offset:2048
	;; [unrolled: 1-line block ×10, first 2 shown]
	s_add_nc_u64 s[2:3], s[2:3], 8
	s_delay_alu instid0(SALU_CYCLE_1)
	v_cmp_gt_i64_e64 s15, s[8:9], s[2:3]
	s_and_b32 vcc_lo, exec_lo, s15
	s_wait_dscnt 0xa
	v_mul_f64_e32 v[88:89], v[4:5], v[46:47]
	v_mul_f64_e32 v[90:91], v[2:3], v[46:47]
	s_wait_dscnt 0x9
	v_mul_f64_e32 v[92:93], v[4:5], v[50:51]
	v_mul_f64_e32 v[94:95], v[2:3], v[50:51]
	s_wait_dscnt 0x8
	v_mul_f64_e32 v[96:97], v[54:55], v[46:47]
	v_mul_f64_e32 v[98:99], v[52:53], v[46:47]
	v_mul_f64_e32 v[46:47], v[54:55], v[50:51]
	v_mul_f64_e32 v[100:101], v[52:53], v[50:51]
	s_wait_dscnt 0x6
	v_mul_f64_e32 v[102:103], v[58:59], v[62:63]
	v_mul_f64_e32 v[104:105], v[56:57], v[62:63]
	s_wait_dscnt 0x5
	v_mul_f64_e32 v[106:107], v[58:59], v[66:67]
	v_mul_f64_e32 v[108:109], v[56:57], v[66:67]
	s_wait_dscnt 0x4
	v_mul_f64_e32 v[110:111], v[70:71], v[62:63]
	v_mul_f64_e32 v[62:63], v[68:69], v[62:63]
	v_mul_f64_e32 v[112:113], v[70:71], v[66:67]
	v_mul_f64_e32 v[66:67], v[68:69], v[66:67]
	;; [unrolled: 11-line block ×3, first 2 shown]
	v_fma_f64 v[88:89], v[2:3], v[44:45], -v[88:89]
	v_fmac_f64_e32 v[90:91], v[4:5], v[44:45]
	v_fma_f64 v[92:93], v[2:3], v[48:49], -v[92:93]
	v_fmac_f64_e32 v[94:95], v[4:5], v[48:49]
	;; [unrolled: 2-line block ×8, first 2 shown]
	ds_load_b128 v[2:5], v43 offset:48
	ds_load_b128 v[44:47], v43 offset:2096
	ds_load_b128 v[48:51], v7 offset:1536
	ds_load_b128 v[52:55], v7 offset:1792
	v_fma_f64 v[116:117], v[72:73], v[76:77], -v[116:117]
	v_fmac_f64_e32 v[118:119], v[74:75], v[76:77]
	v_fma_f64 v[72:73], v[72:73], v[80:81], -v[120:121]
	v_fmac_f64_e32 v[122:123], v[74:75], v[80:81]
	;; [unrolled: 2-line block ×4, first 2 shown]
	v_add_f64_e32 v[64:65], v[38:39], v[88:89]
	v_add_f64_e32 v[68:69], v[90:91], v[40:41]
	v_add_f64_e32 v[70:71], v[34:35], v[92:93]
	v_add_f64_e32 v[88:89], v[94:95], v[36:37]
	v_add_f64_e32 v[90:91], v[30:31], v[96:97]
	v_add_f64_e32 v[92:93], v[98:99], v[32:33]
	v_add_f64_e32 v[94:95], v[22:23], v[114:115]
	v_add_f64_e32 v[96:97], v[100:101], v[24:25]
	s_wait_dscnt 0x1
	v_mul_f64_e32 v[98:99], v[4:5], v[50:51]
	v_mul_f64_e32 v[100:101], v[2:3], v[50:51]
	s_wait_dscnt 0x0
	v_mul_f64_e32 v[106:107], v[4:5], v[54:55]
	v_mul_f64_e32 v[110:111], v[2:3], v[54:55]
	;; [unrolled: 1-line block ×6, first 2 shown]
	ds_load_b128 v[22:25], v43 offset:64
	ds_load_b128 v[30:33], v7 offset:2048
	;; [unrolled: 1-line block ×4, first 2 shown]
	v_add_f64_e32 v[80:81], v[64:65], v[102:103]
	v_add_f64_e32 v[84:85], v[104:105], v[68:69]
	;; [unrolled: 1-line block ×8, first 2 shown]
	s_wait_dscnt 0x2
	v_mul_f64_e32 v[96:97], v[24:25], v[32:33]
	v_mul_f64_e32 v[102:103], v[22:23], v[32:33]
	s_wait_dscnt 0x1
	v_mul_f64_e32 v[104:105], v[24:25], v[36:37]
	v_mul_f64_e32 v[108:109], v[22:23], v[36:37]
	;; [unrolled: 3-line block ×3, first 2 shown]
	v_mul_f64_e32 v[32:33], v[40:41], v[36:37]
	v_mul_f64_e32 v[126:127], v[38:39], v[36:37]
	v_fma_f64 v[36:37], v[2:3], v[48:49], -v[98:99]
	v_fmac_f64_e32 v[100:101], v[4:5], v[48:49]
	v_fma_f64 v[98:99], v[2:3], v[52:53], -v[106:107]
	v_fmac_f64_e32 v[110:111], v[4:5], v[52:53]
	;; [unrolled: 2-line block ×4, first 2 shown]
	ds_load_b128 v[54:57], v43 offset:80
	ds_load_b128 v[58:61], v43 offset:2128
	;; [unrolled: 1-line block ×4, first 2 shown]
	v_add_f64_e32 v[52:53], v[80:81], v[116:117]
	v_add_f64_e32 v[80:81], v[118:119], v[84:85]
	;; [unrolled: 1-line block ×8, first 2 shown]
	v_fma_f64 v[96:97], v[22:23], v[30:31], -v[96:97]
	v_fmac_f64_e32 v[102:103], v[24:25], v[30:31]
	v_fma_f64 v[104:105], v[22:23], v[34:35], -v[104:105]
	s_wait_dscnt 0x1
	v_mul_f64_e32 v[88:89], v[56:57], v[64:65]
	v_mul_f64_e32 v[90:91], v[54:55], v[64:65]
	s_wait_dscnt 0x0
	v_mul_f64_e32 v[92:93], v[56:57], v[68:69]
	v_mul_f64_e32 v[94:95], v[54:55], v[68:69]
	;; [unrolled: 1-line block ×6, first 2 shown]
	v_fmac_f64_e32 v[108:109], v[24:25], v[34:35]
	v_fma_f64 v[120:121], v[38:39], v[30:31], -v[120:121]
	v_fmac_f64_e32 v[124:125], v[40:41], v[30:31]
	v_fma_f64 v[122:123], v[38:39], v[34:35], -v[32:33]
	v_fmac_f64_e32 v[126:127], v[40:41], v[34:35]
	ds_load_b128 v[2:5], v43 offset:96
	ds_load_b128 v[44:47], v7 offset:3072
	;; [unrolled: 1-line block ×4, first 2 shown]
	v_add_f64_e32 v[52:53], v[52:53], v[36:37]
	v_add_f64_e32 v[80:81], v[100:101], v[80:81]
	;; [unrolled: 1-line block ×8, first 2 shown]
	ds_load_b128 v[22:25], v43 offset:112
	ds_load_b128 v[30:33], v43 offset:2160
	;; [unrolled: 1-line block ×4, first 2 shown]
	s_wait_dscnt 0x0
	v_mul_f64_e32 v[98:99], v[4:5], v[46:47]
	v_mul_f64_e32 v[100:101], v[2:3], v[46:47]
	;; [unrolled: 1-line block ×8, first 2 shown]
	v_fma_f64 v[88:89], v[54:55], v[62:63], -v[88:89]
	v_fmac_f64_e32 v[90:91], v[56:57], v[62:63]
	v_fma_f64 v[54:55], v[54:55], v[66:67], -v[92:93]
	v_fmac_f64_e32 v[94:95], v[56:57], v[66:67]
	;; [unrolled: 2-line block ×4, first 2 shown]
	s_barrier_signal -1
	s_barrier_wait -1
	v_mul_f64_e32 v[92:93], v[22:23], v[40:41]
	v_add_f64_e32 v[52:53], v[52:53], v[96:97]
	v_add_f64_e32 v[60:61], v[102:103], v[80:81]
	;; [unrolled: 1-line block ×8, first 2 shown]
	v_mul_f64_e32 v[82:83], v[24:25], v[36:37]
	v_mul_f64_e32 v[84:85], v[22:23], v[36:37]
	;; [unrolled: 1-line block ×7, first 2 shown]
	v_fma_f64 v[40:41], v[2:3], v[44:45], -v[98:99]
	v_fmac_f64_e32 v[100:101], v[4:5], v[44:45]
	v_fma_f64 v[2:3], v[2:3], v[48:49], -v[106:107]
	v_fmac_f64_e32 v[110:111], v[4:5], v[48:49]
	;; [unrolled: 2-line block ×4, first 2 shown]
	v_fmac_f64_e32 v[92:93], v[24:25], v[38:39]
	v_add_f64_e32 v[48:49], v[52:53], v[88:89]
	v_add_f64_e32 v[52:53], v[90:91], v[60:61]
	v_add_f64_e32 v[54:55], v[62:63], v[54:55]
	v_add_f64_e32 v[60:61], v[94:95], v[66:67]
	v_add_f64_e32 v[56:57], v[74:75], v[56:57]
	v_add_f64_e32 v[62:63], v[64:65], v[78:79]
	v_add_f64_e32 v[58:59], v[76:77], v[58:59]
	v_add_f64_e32 v[64:65], v[68:69], v[80:81]
	v_fma_f64 v[66:67], v[22:23], v[34:35], -v[82:83]
	v_fmac_f64_e32 v[84:85], v[24:25], v[34:35]
	v_fma_f64 v[22:23], v[22:23], v[38:39], -v[86:87]
	v_fma_f64 v[24:25], v[30:31], v[34:35], -v[96:97]
	v_fmac_f64_e32 v[102:103], v[32:33], v[34:35]
	v_fma_f64 v[68:69], v[30:31], v[38:39], -v[36:37]
	v_fmac_f64_e32 v[104:105], v[32:33], v[38:39]
	v_add_f64_e32 v[30:31], v[48:49], v[40:41]
	v_add_f64_e32 v[32:33], v[100:101], v[52:53]
	;; [unrolled: 1-line block ×16, first 2 shown]
	s_cbranch_vccz .LBB267_18
.LBB267_10:                             ;   Parent Loop BB267_7 Depth=1
                                        ; =>  This Inner Loop Header: Depth=2
	v_mov_b64_e32 v[2:3], 0
	v_mov_b64_e32 v[4:5], 0
	s_and_saveexec_b32 s15, s0
	s_cbranch_execz .LBB267_14
; %bb.11:                               ;   in Loop: Header=BB267_10 Depth=2
	v_mov_b64_e32 v[4:5], 0
	v_mov_b64_e32 v[2:3], 0
	v_add_nc_u32_e32 v0, s2, v14
	s_mov_b32 s18, exec_lo
	s_delay_alu instid0(VALU_DEP_1)
	v_cmpx_gt_u64_e64 s[8:9], v[0:1]
	s_cbranch_execz .LBB267_13
; %bb.12:                               ;   in Loop: Header=BB267_10 Depth=2
	v_lshl_add_u64 v[2:3], v[0:1], 4, v[26:27]
	global_load_b128 v[2:5], v[2:3], off
	s_wait_loadcnt 0x0
	v_xor_b32_e32 v5, 0x80000000, v5
.LBB267_13:                             ;   in Loop: Header=BB267_10 Depth=2
	s_wait_xcnt 0x0
	s_or_b32 exec_lo, exec_lo, s18
.LBB267_14:                             ;   in Loop: Header=BB267_10 Depth=2
	s_delay_alu instid0(SALU_CYCLE_1) | instskip(SKIP_4) | instid1(SALU_CYCLE_1)
	s_or_b32 exec_lo, exec_lo, s15
	v_add_nc_u32_e32 v0, s2, v6
	ds_store_b128 v15, v[2:5]
	v_cmp_le_u64_e32 vcc_lo, s[8:9], v[0:1]
	s_or_b32 s15, vcc_lo, s1
	s_and_saveexec_b32 s18, s15
	s_delay_alu instid0(SALU_CYCLE_1)
	s_xor_b32 s15, exec_lo, s18
; %bb.15:                               ;   in Loop: Header=BB267_10 Depth=2
	v_dual_mov_b32 v0, v1 :: v_dual_mov_b32 v2, v1
	v_mov_b32_e32 v3, v1
	ds_store_b128 v42, v[0:3]
; %bb.16:                               ;   in Loop: Header=BB267_10 Depth=2
	s_and_not1_saveexec_b32 s15, s15
	s_cbranch_execz .LBB267_9
; %bb.17:                               ;   in Loop: Header=BB267_10 Depth=2
	v_lshl_add_u64 v[2:3], v[0:1], 4, v[28:29]
	global_load_b128 v[2:5], v[2:3], off
	s_wait_loadcnt 0x0
	ds_store_2addr_b64 v42, v[2:3], v[4:5] offset1:1
	s_branch .LBB267_9
.LBB267_18:                             ;   in Loop: Header=BB267_7 Depth=1
	s_mul_u64 s[2:3], s[30:31], s[6:7]
	s_delay_alu instid0(SALU_CYCLE_1) | instskip(NEXT) | instid1(SALU_CYCLE_1)
	s_lshl_b64 s[2:3], s[2:3], 4
	s_add_nc_u64 s[2:3], s[26:27], s[2:3]
	s_delay_alu instid0(SALU_CYCLE_1)
	v_lshl_add_u64 v[26:27], v[10:11], 4, s[2:3]
	s_and_saveexec_b32 s15, s11
	s_cbranch_execz .LBB267_23
; %bb.19:                               ;   in Loop: Header=BB267_7 Depth=1
	v_mul_f64_e32 v[2:3], s[42:43], v[40:41]
	v_mul_f64_e32 v[4:5], s[40:41], v[40:41]
	v_lshl_add_u64 v[28:29], v[8:9], 4, v[26:27]
	s_and_b32 vcc_lo, exec_lo, s10
	s_mov_b32 s18, -1
	s_delay_alu instid0(VALU_DEP_3) | instskip(NEXT) | instid1(VALU_DEP_3)
	v_fma_f64 v[2:3], s[40:41], v[38:39], -v[2:3]
	v_fmac_f64_e32 v[4:5], s[42:43], v[38:39]
	s_cbranch_vccz .LBB267_21
; %bb.20:                               ;   in Loop: Header=BB267_7 Depth=1
	global_load_b128 v[38:41], v[28:29], off
	s_mov_b32 s18, 0
	s_wait_loadcnt 0x0
	v_mul_f64_e32 v[44:45], s[38:39], v[40:41]
	v_mul_f64_e32 v[40:41], s[36:37], v[40:41]
	s_delay_alu instid0(VALU_DEP_2) | instskip(NEXT) | instid1(VALU_DEP_2)
	v_fma_f64 v[44:45], s[36:37], v[38:39], -v[44:45]
	v_fmac_f64_e32 v[40:41], s[38:39], v[38:39]
	s_delay_alu instid0(VALU_DEP_2) | instskip(NEXT) | instid1(VALU_DEP_2)
	v_add_f64_e32 v[38:39], v[2:3], v[44:45]
	v_add_f64_e32 v[40:41], v[4:5], v[40:41]
	global_store_b128 v[28:29], v[38:41], off
.LBB267_21:                             ;   in Loop: Header=BB267_7 Depth=1
	s_and_not1_b32 vcc_lo, exec_lo, s18
	s_cbranch_vccnz .LBB267_23
; %bb.22:                               ;   in Loop: Header=BB267_7 Depth=1
	global_store_b128 v[28:29], v[2:5], off
.LBB267_23:                             ;   in Loop: Header=BB267_7 Depth=1
	s_wait_xcnt 0x0
	s_or_b32 exec_lo, exec_lo, s15
	s_and_saveexec_b32 s15, s12
	s_cbranch_execz .LBB267_28
; %bb.24:                               ;   in Loop: Header=BB267_7 Depth=1
	v_mul_f64_e32 v[2:3], s[42:43], v[36:37]
	v_mul_f64_e32 v[4:5], s[40:41], v[36:37]
	v_lshl_add_u64 v[26:27], v[16:17], 4, v[26:27]
	s_and_not1_b32 vcc_lo, exec_lo, s10
	s_mov_b32 s18, -1
	s_delay_alu instid0(VALU_DEP_3) | instskip(NEXT) | instid1(VALU_DEP_3)
	v_fma_f64 v[2:3], s[40:41], v[34:35], -v[2:3]
	v_fmac_f64_e32 v[4:5], s[42:43], v[34:35]
	s_cbranch_vccnz .LBB267_26
; %bb.25:                               ;   in Loop: Header=BB267_7 Depth=1
	global_load_b128 v[34:37], v[26:27], off
	s_mov_b32 s18, 0
	s_wait_loadcnt 0x0
	v_mul_f64_e32 v[28:29], s[38:39], v[36:37]
	v_mul_f64_e32 v[36:37], s[36:37], v[36:37]
	s_delay_alu instid0(VALU_DEP_2) | instskip(NEXT) | instid1(VALU_DEP_2)
	v_fma_f64 v[28:29], s[36:37], v[34:35], -v[28:29]
	v_fmac_f64_e32 v[36:37], s[38:39], v[34:35]
	s_delay_alu instid0(VALU_DEP_2) | instskip(NEXT) | instid1(VALU_DEP_2)
	v_add_f64_e32 v[34:35], v[2:3], v[28:29]
	v_add_f64_e32 v[36:37], v[4:5], v[36:37]
	global_store_b128 v[26:27], v[34:37], off
.LBB267_26:                             ;   in Loop: Header=BB267_7 Depth=1
	s_and_not1_b32 vcc_lo, exec_lo, s18
	s_cbranch_vccnz .LBB267_28
; %bb.27:                               ;   in Loop: Header=BB267_7 Depth=1
	global_store_b128 v[26:27], v[2:5], off
.LBB267_28:                             ;   in Loop: Header=BB267_7 Depth=1
	s_wait_xcnt 0x0
	s_or_b32 exec_lo, exec_lo, s15
	v_lshl_add_u64 v[26:27], v[12:13], 4, s[2:3]
	s_and_saveexec_b32 s2, s14
	s_cbranch_execz .LBB267_33
; %bb.29:                               ;   in Loop: Header=BB267_7 Depth=1
	v_mul_f64_e32 v[2:3], s[42:43], v[32:33]
	v_mul_f64_e32 v[4:5], s[40:41], v[32:33]
	v_lshl_add_u64 v[28:29], v[8:9], 4, v[26:27]
	s_and_not1_b32 vcc_lo, exec_lo, s10
	s_mov_b32 s3, -1
	s_delay_alu instid0(VALU_DEP_3) | instskip(NEXT) | instid1(VALU_DEP_3)
	v_fma_f64 v[2:3], s[40:41], v[30:31], -v[2:3]
	v_fmac_f64_e32 v[4:5], s[42:43], v[30:31]
	s_cbranch_vccnz .LBB267_31
; %bb.30:                               ;   in Loop: Header=BB267_7 Depth=1
	global_load_b128 v[30:33], v[28:29], off
	s_mov_b32 s3, 0
	s_wait_loadcnt 0x0
	v_mul_f64_e32 v[34:35], s[38:39], v[32:33]
	v_mul_f64_e32 v[32:33], s[36:37], v[32:33]
	s_delay_alu instid0(VALU_DEP_2) | instskip(NEXT) | instid1(VALU_DEP_2)
	v_fma_f64 v[34:35], s[36:37], v[30:31], -v[34:35]
	v_fmac_f64_e32 v[32:33], s[38:39], v[30:31]
	s_delay_alu instid0(VALU_DEP_2) | instskip(NEXT) | instid1(VALU_DEP_2)
	v_add_f64_e32 v[30:31], v[2:3], v[34:35]
	v_add_f64_e32 v[32:33], v[4:5], v[32:33]
	global_store_b128 v[28:29], v[30:33], off
.LBB267_31:                             ;   in Loop: Header=BB267_7 Depth=1
	s_and_not1_b32 vcc_lo, exec_lo, s3
	s_cbranch_vccnz .LBB267_33
; %bb.32:                               ;   in Loop: Header=BB267_7 Depth=1
	global_store_b128 v[28:29], v[2:5], off
.LBB267_33:                             ;   in Loop: Header=BB267_7 Depth=1
	s_wait_xcnt 0x0
	s_or_b32 exec_lo, exec_lo, s2
	s_and_saveexec_b32 s2, s4
	s_cbranch_execz .LBB267_6
; %bb.34:                               ;   in Loop: Header=BB267_7 Depth=1
	s_delay_alu instid0(VALU_DEP_3) | instskip(SKIP_3) | instid1(VALU_DEP_2)
	v_mul_f64_e32 v[2:3], s[42:43], v[24:25]
	v_mul_f64_e32 v[4:5], s[40:41], v[24:25]
	s_and_not1_b32 vcc_lo, exec_lo, s10
	s_mov_b32 s3, -1
	v_fma_f64 v[2:3], s[40:41], v[22:23], -v[2:3]
	s_delay_alu instid0(VALU_DEP_2)
	v_fmac_f64_e32 v[4:5], s[42:43], v[22:23]
	v_lshl_add_u64 v[22:23], v[16:17], 4, v[26:27]
	s_cbranch_vccnz .LBB267_36
; %bb.35:                               ;   in Loop: Header=BB267_7 Depth=1
	global_load_b128 v[24:27], v[22:23], off
	s_mov_b32 s3, 0
	s_wait_loadcnt 0x0
	v_mul_f64_e32 v[28:29], s[38:39], v[26:27]
	v_mul_f64_e32 v[26:27], s[36:37], v[26:27]
	s_delay_alu instid0(VALU_DEP_2) | instskip(NEXT) | instid1(VALU_DEP_2)
	v_fma_f64 v[28:29], s[36:37], v[24:25], -v[28:29]
	v_fmac_f64_e32 v[26:27], s[38:39], v[24:25]
	s_delay_alu instid0(VALU_DEP_2) | instskip(NEXT) | instid1(VALU_DEP_2)
	v_add_f64_e32 v[24:25], v[2:3], v[28:29]
	v_add_f64_e32 v[26:27], v[4:5], v[26:27]
	global_store_b128 v[22:23], v[24:27], off
.LBB267_36:                             ;   in Loop: Header=BB267_7 Depth=1
	s_and_not1_b32 vcc_lo, exec_lo, s3
	s_cbranch_vccnz .LBB267_6
; %bb.37:                               ;   in Loop: Header=BB267_7 Depth=1
	global_store_b128 v[22:23], v[2:5], off
	s_branch .LBB267_6
.LBB267_38:
.LBB267_39:
	s_sendmsg sendmsg(MSG_DEALLOC_VGPRS)
	s_endpgm
	.section	.rodata,"a",@progbits
	.p2align	6, 0x0
	.amdhsa_kernel _ZL29rocblas_internal_gemmt_kernelIlLi16ELi32ELi8ELc67ELc78ELc76ELb1ELb0E19rocblas_complex_numIdEPKS1_S3_PS1_EviT_T9_T10_S5_lS7_S5_lS6_T11_S5_li
		.amdhsa_group_segment_fixed_size 8192
		.amdhsa_private_segment_fixed_size 0
		.amdhsa_kernarg_size 108
		.amdhsa_user_sgpr_count 2
		.amdhsa_user_sgpr_dispatch_ptr 0
		.amdhsa_user_sgpr_queue_ptr 0
		.amdhsa_user_sgpr_kernarg_segment_ptr 1
		.amdhsa_user_sgpr_dispatch_id 0
		.amdhsa_user_sgpr_kernarg_preload_length 0
		.amdhsa_user_sgpr_kernarg_preload_offset 0
		.amdhsa_user_sgpr_private_segment_size 0
		.amdhsa_wavefront_size32 1
		.amdhsa_uses_dynamic_stack 0
		.amdhsa_enable_private_segment 0
		.amdhsa_system_sgpr_workgroup_id_x 1
		.amdhsa_system_sgpr_workgroup_id_y 1
		.amdhsa_system_sgpr_workgroup_id_z 1
		.amdhsa_system_sgpr_workgroup_info 0
		.amdhsa_system_vgpr_workitem_id 1
		.amdhsa_next_free_vgpr 130
		.amdhsa_next_free_sgpr 44
		.amdhsa_named_barrier_count 0
		.amdhsa_reserve_vcc 1
		.amdhsa_float_round_mode_32 0
		.amdhsa_float_round_mode_16_64 0
		.amdhsa_float_denorm_mode_32 3
		.amdhsa_float_denorm_mode_16_64 3
		.amdhsa_fp16_overflow 0
		.amdhsa_memory_ordered 1
		.amdhsa_forward_progress 1
		.amdhsa_inst_pref_size 23
		.amdhsa_round_robin_scheduling 0
		.amdhsa_exception_fp_ieee_invalid_op 0
		.amdhsa_exception_fp_denorm_src 0
		.amdhsa_exception_fp_ieee_div_zero 0
		.amdhsa_exception_fp_ieee_overflow 0
		.amdhsa_exception_fp_ieee_underflow 0
		.amdhsa_exception_fp_ieee_inexact 0
		.amdhsa_exception_int_div_zero 0
	.end_amdhsa_kernel
	.section	.text._ZL29rocblas_internal_gemmt_kernelIlLi16ELi32ELi8ELc67ELc78ELc76ELb1ELb0E19rocblas_complex_numIdEPKS1_S3_PS1_EviT_T9_T10_S5_lS7_S5_lS6_T11_S5_li,"axG",@progbits,_ZL29rocblas_internal_gemmt_kernelIlLi16ELi32ELi8ELc67ELc78ELc76ELb1ELb0E19rocblas_complex_numIdEPKS1_S3_PS1_EviT_T9_T10_S5_lS7_S5_lS6_T11_S5_li,comdat
.Lfunc_end267:
	.size	_ZL29rocblas_internal_gemmt_kernelIlLi16ELi32ELi8ELc67ELc78ELc76ELb1ELb0E19rocblas_complex_numIdEPKS1_S3_PS1_EviT_T9_T10_S5_lS7_S5_lS6_T11_S5_li, .Lfunc_end267-_ZL29rocblas_internal_gemmt_kernelIlLi16ELi32ELi8ELc67ELc78ELc76ELb1ELb0E19rocblas_complex_numIdEPKS1_S3_PS1_EviT_T9_T10_S5_lS7_S5_lS6_T11_S5_li
                                        ; -- End function
	.set _ZL29rocblas_internal_gemmt_kernelIlLi16ELi32ELi8ELc67ELc78ELc76ELb1ELb0E19rocblas_complex_numIdEPKS1_S3_PS1_EviT_T9_T10_S5_lS7_S5_lS6_T11_S5_li.num_vgpr, 130
	.set _ZL29rocblas_internal_gemmt_kernelIlLi16ELi32ELi8ELc67ELc78ELc76ELb1ELb0E19rocblas_complex_numIdEPKS1_S3_PS1_EviT_T9_T10_S5_lS7_S5_lS6_T11_S5_li.num_agpr, 0
	.set _ZL29rocblas_internal_gemmt_kernelIlLi16ELi32ELi8ELc67ELc78ELc76ELb1ELb0E19rocblas_complex_numIdEPKS1_S3_PS1_EviT_T9_T10_S5_lS7_S5_lS6_T11_S5_li.numbered_sgpr, 44
	.set _ZL29rocblas_internal_gemmt_kernelIlLi16ELi32ELi8ELc67ELc78ELc76ELb1ELb0E19rocblas_complex_numIdEPKS1_S3_PS1_EviT_T9_T10_S5_lS7_S5_lS6_T11_S5_li.num_named_barrier, 0
	.set _ZL29rocblas_internal_gemmt_kernelIlLi16ELi32ELi8ELc67ELc78ELc76ELb1ELb0E19rocblas_complex_numIdEPKS1_S3_PS1_EviT_T9_T10_S5_lS7_S5_lS6_T11_S5_li.private_seg_size, 0
	.set _ZL29rocblas_internal_gemmt_kernelIlLi16ELi32ELi8ELc67ELc78ELc76ELb1ELb0E19rocblas_complex_numIdEPKS1_S3_PS1_EviT_T9_T10_S5_lS7_S5_lS6_T11_S5_li.uses_vcc, 1
	.set _ZL29rocblas_internal_gemmt_kernelIlLi16ELi32ELi8ELc67ELc78ELc76ELb1ELb0E19rocblas_complex_numIdEPKS1_S3_PS1_EviT_T9_T10_S5_lS7_S5_lS6_T11_S5_li.uses_flat_scratch, 0
	.set _ZL29rocblas_internal_gemmt_kernelIlLi16ELi32ELi8ELc67ELc78ELc76ELb1ELb0E19rocblas_complex_numIdEPKS1_S3_PS1_EviT_T9_T10_S5_lS7_S5_lS6_T11_S5_li.has_dyn_sized_stack, 0
	.set _ZL29rocblas_internal_gemmt_kernelIlLi16ELi32ELi8ELc67ELc78ELc76ELb1ELb0E19rocblas_complex_numIdEPKS1_S3_PS1_EviT_T9_T10_S5_lS7_S5_lS6_T11_S5_li.has_recursion, 0
	.set _ZL29rocblas_internal_gemmt_kernelIlLi16ELi32ELi8ELc67ELc78ELc76ELb1ELb0E19rocblas_complex_numIdEPKS1_S3_PS1_EviT_T9_T10_S5_lS7_S5_lS6_T11_S5_li.has_indirect_call, 0
	.section	.AMDGPU.csdata,"",@progbits
; Kernel info:
; codeLenInByte = 2868
; TotalNumSgprs: 46
; NumVgprs: 130
; ScratchSize: 0
; MemoryBound: 1
; FloatMode: 240
; IeeeMode: 1
; LDSByteSize: 8192 bytes/workgroup (compile time only)
; SGPRBlocks: 0
; VGPRBlocks: 8
; NumSGPRsForWavesPerEU: 46
; NumVGPRsForWavesPerEU: 130
; NamedBarCnt: 0
; Occupancy: 7
; WaveLimiterHint : 0
; COMPUTE_PGM_RSRC2:SCRATCH_EN: 0
; COMPUTE_PGM_RSRC2:USER_SGPR: 2
; COMPUTE_PGM_RSRC2:TRAP_HANDLER: 0
; COMPUTE_PGM_RSRC2:TGID_X_EN: 1
; COMPUTE_PGM_RSRC2:TGID_Y_EN: 1
; COMPUTE_PGM_RSRC2:TGID_Z_EN: 1
; COMPUTE_PGM_RSRC2:TIDIG_COMP_CNT: 1
	.section	.text._ZL29rocblas_internal_gemmt_kernelIlLi16ELi32ELi8ELc67ELc84ELc76ELb1ELb0E19rocblas_complex_numIdEPKS1_S3_PS1_EviT_T9_T10_S5_lS7_S5_lS6_T11_S5_li,"axG",@progbits,_ZL29rocblas_internal_gemmt_kernelIlLi16ELi32ELi8ELc67ELc84ELc76ELb1ELb0E19rocblas_complex_numIdEPKS1_S3_PS1_EviT_T9_T10_S5_lS7_S5_lS6_T11_S5_li,comdat
	.globl	_ZL29rocblas_internal_gemmt_kernelIlLi16ELi32ELi8ELc67ELc84ELc76ELb1ELb0E19rocblas_complex_numIdEPKS1_S3_PS1_EviT_T9_T10_S5_lS7_S5_lS6_T11_S5_li ; -- Begin function _ZL29rocblas_internal_gemmt_kernelIlLi16ELi32ELi8ELc67ELc84ELc76ELb1ELb0E19rocblas_complex_numIdEPKS1_S3_PS1_EviT_T9_T10_S5_lS7_S5_lS6_T11_S5_li
	.p2align	8
	.type	_ZL29rocblas_internal_gemmt_kernelIlLi16ELi32ELi8ELc67ELc84ELc76ELb1ELb0E19rocblas_complex_numIdEPKS1_S3_PS1_EviT_T9_T10_S5_lS7_S5_lS6_T11_S5_li,@function
_ZL29rocblas_internal_gemmt_kernelIlLi16ELi32ELi8ELc67ELc84ELc76ELb1ELb0E19rocblas_complex_numIdEPKS1_S3_PS1_EviT_T9_T10_S5_lS7_S5_lS6_T11_S5_li: ; @_ZL29rocblas_internal_gemmt_kernelIlLi16ELi32ELi8ELc67ELc84ELc76ELb1ELb0E19rocblas_complex_numIdEPKS1_S3_PS1_EviT_T9_T10_S5_lS7_S5_lS6_T11_S5_li
; %bb.0:
	s_clause 0x1
	s_load_b256 s[24:31], s[0:1], 0x48
	s_load_b512 s[8:23], s[0:1], 0x8
	s_wait_kmcnt 0x0
	s_load_b128 s[36:39], s[24:25], 0x0
	s_load_b128 s[40:43], s[10:11], 0x0
	s_wait_kmcnt 0x0
	v_cmp_eq_f64_e64 s3, s[36:37], 1.0
	v_cmp_eq_f64_e64 s2, s[38:39], 0
	s_and_b32 s3, s3, s2
	s_delay_alu instid0(SALU_CYCLE_1)
	s_and_not1_b32 vcc_lo, exec_lo, s3
	s_mov_b32 s3, -1
	s_cbranch_vccnz .LBB268_3
; %bb.1:
	s_cmp_lg_u64 s[8:9], 0
	s_cbranch_scc0 .LBB268_38
; %bb.2:
	v_cmp_neq_f64_e64 s3, s[40:41], 0
	v_cmp_neq_f64_e64 s4, s[42:43], 0
	s_or_b32 s3, s3, s4
.LBB268_3:
	s_delay_alu instid0(SALU_CYCLE_1)
	s_and_b32 vcc_lo, exec_lo, s3
	s_cbranch_vccz .LBB268_39
; %bb.4:
	s_load_b32 s5, s[0:1], 0x68
	s_bfe_u32 s3, ttmp6, 0x40014
	s_lshr_b32 s4, ttmp7, 16
	s_add_co_i32 s3, s3, 1
	s_bfe_u32 s7, ttmp6, 0x40008
	s_mul_i32 s6, s4, s3
	s_getreg_b32 s3, hwreg(HW_REG_IB_STS2, 6, 4)
	s_add_co_i32 s7, s7, s6
	s_cmp_eq_u32 s3, 0
	s_cselect_b32 s6, s4, s7
	s_mov_b32 s7, 0
	s_wait_kmcnt 0x0
	s_cmp_ge_u32 s6, s5
	s_cbranch_scc1 .LBB268_39
; %bb.5:
	v_and_b32_e32 v8, 0x3ff, v0
	v_bfe_u32 v5, v0, 10, 10
	s_bfe_u32 s4, ttmp6, 0x4000c
	s_bfe_u32 s11, ttmp6, 0x40010
	s_add_co_i32 s4, s4, 1
	s_and_b32 s24, ttmp7, 0xffff
	s_add_co_i32 s11, s11, 1
	v_lshl_add_u32 v9, v5, 4, v8
	s_and_b32 s10, ttmp6, 15
	s_mul_i32 s4, ttmp9, s4
	s_mul_i32 s11, s24, s11
	s_bfe_u32 s25, ttmp6, 0x40004
	s_add_co_i32 s10, s10, s4
	s_add_co_i32 s25, s25, s11
	s_cmp_eq_u32 s3, 0
	v_and_b32_e32 v16, 31, v9
	s_cselect_b32 s3, ttmp9, s10
	s_cselect_b32 s4, s24, s25
	s_lshl_b32 s3, s3, 5
	s_lshl_b32 s4, s4, 5
	s_delay_alu instid0(SALU_CYCLE_1) | instskip(SKIP_3) | instid1(VALU_DEP_4)
	v_dual_add_nc_u32 v4, s4, v5 :: v_dual_bitop2_b32 v2, s3, v16 bitop3:0x54
	v_cmp_neq_f64_e64 s10, s[40:41], 0
	v_cmp_neq_f64_e64 s11, s[42:43], 0
	v_lshl_add_u32 v15, v5, 7, 0x1000
	v_dual_ashrrev_i32 v3, 31, v2 :: v_dual_add_nc_u32 v22, 16, v4
	v_and_b32_e32 v6, 7, v0
	v_dual_ashrrev_i32 v5, 31, v4 :: v_dual_lshrrev_b32 v14, 5, v9
	s_delay_alu instid0(VALU_DEP_3) | instskip(NEXT) | instid1(VALU_DEP_4)
	v_mul_u64_e32 v[0:1], s[14:15], v[2:3]
	v_ashrrev_i32_e32 v23, 31, v22
	v_cmp_neq_f64_e64 s14, s[36:37], 0
	s_load_b32 s15, s[0:1], 0x0
	v_lshlrev_b32_e32 v3, 4, v6
	v_mul_u64_e32 v[10:11], s[28:29], v[4:5]
	v_mul_u64_e32 v[12:13], s[28:29], v[22:23]
	v_dual_lshlrev_b32 v7, 4, v8 :: v_dual_lshrrev_b32 v17, 3, v9
	v_add_nc_u32_e32 v8, s3, v8
	s_xor_b32 s25, s2, -1
	v_cmp_gt_i64_e64 s24, s[8:9], 0
	s_delay_alu instid0(VALU_DEP_3) | instskip(NEXT) | instid1(VALU_DEP_3)
	v_dual_add_nc_u32 v18, s4, v17 :: v_dual_lshlrev_b32 v5, 4, v16
	v_dual_add_nc_u32 v16, 16, v8 :: v_dual_ashrrev_i32 v9, 31, v8
	v_cmp_le_i32_e32 vcc_lo, v4, v8
	v_lshl_or_b32 v3, v17, 7, v3
	s_delay_alu instid0(VALU_DEP_4) | instskip(NEXT) | instid1(VALU_DEP_4)
	v_ashrrev_i32_e32 v19, 31, v18
	v_cmp_le_i32_e64 s3, v4, v16
	v_lshl_or_b32 v42, v14, 9, v5
	v_ashrrev_i32_e32 v17, 31, v16
	s_wait_kmcnt 0x0
	v_cmp_gt_i32_e64 s2, s15, v8
	v_cmp_gt_i32_e64 s4, s15, v16
	v_cmp_gt_i32_e64 s0, s15, v2
	v_cmp_gt_i32_e64 s1, s15, v18
	s_or_b32 s15, s10, s11
	s_and_b32 s11, vcc_lo, s2
	v_cmp_le_i32_e32 vcc_lo, v22, v8
	v_add_nc_u32_e32 v43, 0x1000, v3
	v_lshl_add_u64 v[18:19], v[18:19], 4, s[18:19]
	v_lshl_add_u64 v[20:21], v[0:1], 4, s[12:13]
	s_and_b32 s12, s3, s4
	v_cmp_le_i32_e64 s3, v22, v16
	v_mov_b32_e32 v1, 0
	s_or_b32 s10, s14, s25
	s_and_b32 s13, s15, s24
	s_and_b32 s14, vcc_lo, s2
	s_and_b32 s4, s3, s4
	s_xor_b32 s1, s1, -1
	s_branch .LBB268_7
.LBB268_6:                              ;   in Loop: Header=BB268_7 Depth=1
	s_wait_xcnt 0x0
	s_or_b32 exec_lo, exec_lo, s2
	s_add_co_i32 s6, s6, 0x10000
	s_delay_alu instid0(SALU_CYCLE_1)
	s_cmp_lt_u32 s6, s5
	s_cbranch_scc0 .LBB268_39
.LBB268_7:                              ; =>This Loop Header: Depth=1
                                        ;     Child Loop BB268_10 Depth 2
	v_mov_b64_e32 v[38:39], 0
	v_mov_b64_e32 v[40:41], 0
	;; [unrolled: 1-line block ×8, first 2 shown]
	s_and_not1_b32 vcc_lo, exec_lo, s13
	s_cbranch_vccnz .LBB268_18
; %bb.8:                                ;   in Loop: Header=BB268_7 Depth=1
	s_mul_u64 s[2:3], s[22:23], s[6:7]
	s_mul_u64 s[18:19], s[16:17], s[6:7]
	v_mov_b64_e32 v[24:25], 0
	v_mov_b64_e32 v[22:23], 0
	;; [unrolled: 1-line block ×8, first 2 shown]
	v_lshl_add_u64 v[26:27], s[18:19], 4, v[20:21]
	v_lshl_add_u64 v[28:29], s[2:3], 4, v[18:19]
	s_mov_b64 s[2:3], 0
	s_branch .LBB268_10
.LBB268_9:                              ;   in Loop: Header=BB268_10 Depth=2
	s_wait_xcnt 0x0
	s_or_b32 exec_lo, exec_lo, s15
	s_wait_dscnt 0x0
	s_barrier_signal -1
	s_barrier_wait -1
	ds_load_b128 v[2:5], v15
	ds_load_b128 v[44:47], v7
	ds_load_b128 v[48:51], v7 offset:256
	ds_load_b128 v[52:55], v15 offset:2048
	;; [unrolled: 1-line block ×10, first 2 shown]
	s_add_nc_u64 s[2:3], s[2:3], 8
	s_delay_alu instid0(SALU_CYCLE_1)
	v_cmp_gt_i64_e64 s15, s[8:9], s[2:3]
	s_and_b32 vcc_lo, exec_lo, s15
	s_wait_dscnt 0xa
	v_mul_f64_e32 v[88:89], v[4:5], v[46:47]
	v_mul_f64_e32 v[90:91], v[2:3], v[46:47]
	s_wait_dscnt 0x9
	v_mul_f64_e32 v[92:93], v[4:5], v[50:51]
	v_mul_f64_e32 v[94:95], v[2:3], v[50:51]
	s_wait_dscnt 0x8
	v_mul_f64_e32 v[96:97], v[54:55], v[46:47]
	v_mul_f64_e32 v[98:99], v[52:53], v[46:47]
	v_mul_f64_e32 v[46:47], v[54:55], v[50:51]
	v_mul_f64_e32 v[100:101], v[52:53], v[50:51]
	s_wait_dscnt 0x6
	v_mul_f64_e32 v[102:103], v[58:59], v[62:63]
	v_mul_f64_e32 v[104:105], v[56:57], v[62:63]
	s_wait_dscnt 0x5
	v_mul_f64_e32 v[106:107], v[58:59], v[66:67]
	v_mul_f64_e32 v[108:109], v[56:57], v[66:67]
	s_wait_dscnt 0x4
	v_mul_f64_e32 v[110:111], v[70:71], v[62:63]
	v_mul_f64_e32 v[62:63], v[68:69], v[62:63]
	v_mul_f64_e32 v[112:113], v[70:71], v[66:67]
	v_mul_f64_e32 v[66:67], v[68:69], v[66:67]
	;; [unrolled: 11-line block ×3, first 2 shown]
	v_fma_f64 v[88:89], v[2:3], v[44:45], -v[88:89]
	v_fmac_f64_e32 v[90:91], v[4:5], v[44:45]
	v_fma_f64 v[92:93], v[2:3], v[48:49], -v[92:93]
	v_fmac_f64_e32 v[94:95], v[4:5], v[48:49]
	;; [unrolled: 2-line block ×8, first 2 shown]
	ds_load_b128 v[2:5], v15 offset:48
	ds_load_b128 v[44:47], v15 offset:2096
	;; [unrolled: 1-line block ×4, first 2 shown]
	v_fma_f64 v[116:117], v[72:73], v[76:77], -v[116:117]
	v_fmac_f64_e32 v[118:119], v[74:75], v[76:77]
	v_fma_f64 v[72:73], v[72:73], v[80:81], -v[120:121]
	v_fmac_f64_e32 v[122:123], v[74:75], v[80:81]
	;; [unrolled: 2-line block ×4, first 2 shown]
	v_add_f64_e32 v[64:65], v[38:39], v[88:89]
	v_add_f64_e32 v[68:69], v[90:91], v[40:41]
	;; [unrolled: 1-line block ×8, first 2 shown]
	s_wait_dscnt 0x1
	v_mul_f64_e32 v[98:99], v[4:5], v[50:51]
	v_mul_f64_e32 v[100:101], v[2:3], v[50:51]
	s_wait_dscnt 0x0
	v_mul_f64_e32 v[106:107], v[4:5], v[54:55]
	v_mul_f64_e32 v[110:111], v[2:3], v[54:55]
	v_mul_f64_e32 v[112:113], v[46:47], v[50:51]
	v_mul_f64_e32 v[114:115], v[44:45], v[50:51]
	v_mul_f64_e32 v[50:51], v[46:47], v[54:55]
	v_mul_f64_e32 v[128:129], v[44:45], v[54:55]
	ds_load_b128 v[22:25], v15 offset:64
	ds_load_b128 v[30:33], v7 offset:2048
	;; [unrolled: 1-line block ×4, first 2 shown]
	v_add_f64_e32 v[80:81], v[64:65], v[102:103]
	v_add_f64_e32 v[84:85], v[104:105], v[68:69]
	;; [unrolled: 1-line block ×8, first 2 shown]
	s_wait_dscnt 0x2
	v_mul_f64_e32 v[96:97], v[24:25], v[32:33]
	v_mul_f64_e32 v[102:103], v[22:23], v[32:33]
	s_wait_dscnt 0x1
	v_mul_f64_e32 v[104:105], v[24:25], v[36:37]
	v_mul_f64_e32 v[108:109], v[22:23], v[36:37]
	;; [unrolled: 3-line block ×3, first 2 shown]
	v_mul_f64_e32 v[32:33], v[40:41], v[36:37]
	v_mul_f64_e32 v[126:127], v[38:39], v[36:37]
	v_fma_f64 v[36:37], v[2:3], v[48:49], -v[98:99]
	v_fmac_f64_e32 v[100:101], v[4:5], v[48:49]
	v_fma_f64 v[98:99], v[2:3], v[52:53], -v[106:107]
	v_fmac_f64_e32 v[110:111], v[4:5], v[52:53]
	;; [unrolled: 2-line block ×4, first 2 shown]
	ds_load_b128 v[54:57], v15 offset:80
	ds_load_b128 v[58:61], v15 offset:2128
	;; [unrolled: 1-line block ×4, first 2 shown]
	v_add_f64_e32 v[52:53], v[80:81], v[116:117]
	v_add_f64_e32 v[80:81], v[118:119], v[84:85]
	;; [unrolled: 1-line block ×8, first 2 shown]
	v_fma_f64 v[96:97], v[22:23], v[30:31], -v[96:97]
	v_fmac_f64_e32 v[102:103], v[24:25], v[30:31]
	v_fma_f64 v[104:105], v[22:23], v[34:35], -v[104:105]
	s_wait_dscnt 0x1
	v_mul_f64_e32 v[88:89], v[56:57], v[64:65]
	v_mul_f64_e32 v[90:91], v[54:55], v[64:65]
	s_wait_dscnt 0x0
	v_mul_f64_e32 v[92:93], v[56:57], v[68:69]
	v_mul_f64_e32 v[94:95], v[54:55], v[68:69]
	;; [unrolled: 1-line block ×6, first 2 shown]
	v_fmac_f64_e32 v[108:109], v[24:25], v[34:35]
	v_fma_f64 v[120:121], v[38:39], v[30:31], -v[120:121]
	v_fmac_f64_e32 v[124:125], v[40:41], v[30:31]
	v_fma_f64 v[122:123], v[38:39], v[34:35], -v[32:33]
	v_fmac_f64_e32 v[126:127], v[40:41], v[34:35]
	ds_load_b128 v[2:5], v15 offset:96
	ds_load_b128 v[44:47], v7 offset:3072
	;; [unrolled: 1-line block ×4, first 2 shown]
	v_add_f64_e32 v[52:53], v[52:53], v[36:37]
	v_add_f64_e32 v[80:81], v[100:101], v[80:81]
	;; [unrolled: 1-line block ×8, first 2 shown]
	ds_load_b128 v[22:25], v15 offset:112
	ds_load_b128 v[30:33], v15 offset:2160
	;; [unrolled: 1-line block ×4, first 2 shown]
	s_wait_dscnt 0x0
	v_mul_f64_e32 v[98:99], v[4:5], v[46:47]
	v_mul_f64_e32 v[100:101], v[2:3], v[46:47]
	;; [unrolled: 1-line block ×8, first 2 shown]
	v_fma_f64 v[88:89], v[54:55], v[62:63], -v[88:89]
	v_fmac_f64_e32 v[90:91], v[56:57], v[62:63]
	v_fma_f64 v[54:55], v[54:55], v[66:67], -v[92:93]
	v_fmac_f64_e32 v[94:95], v[56:57], v[66:67]
	;; [unrolled: 2-line block ×4, first 2 shown]
	s_barrier_signal -1
	s_barrier_wait -1
	v_mul_f64_e32 v[92:93], v[22:23], v[40:41]
	v_add_f64_e32 v[52:53], v[52:53], v[96:97]
	v_add_f64_e32 v[60:61], v[102:103], v[80:81]
	;; [unrolled: 1-line block ×8, first 2 shown]
	v_mul_f64_e32 v[82:83], v[24:25], v[36:37]
	v_mul_f64_e32 v[84:85], v[22:23], v[36:37]
	;; [unrolled: 1-line block ×7, first 2 shown]
	v_fma_f64 v[40:41], v[2:3], v[44:45], -v[98:99]
	v_fmac_f64_e32 v[100:101], v[4:5], v[44:45]
	v_fma_f64 v[2:3], v[2:3], v[48:49], -v[106:107]
	v_fmac_f64_e32 v[110:111], v[4:5], v[48:49]
	;; [unrolled: 2-line block ×4, first 2 shown]
	v_fmac_f64_e32 v[92:93], v[24:25], v[38:39]
	v_add_f64_e32 v[48:49], v[52:53], v[88:89]
	v_add_f64_e32 v[52:53], v[90:91], v[60:61]
	;; [unrolled: 1-line block ×8, first 2 shown]
	v_fma_f64 v[66:67], v[22:23], v[34:35], -v[82:83]
	v_fmac_f64_e32 v[84:85], v[24:25], v[34:35]
	v_fma_f64 v[22:23], v[22:23], v[38:39], -v[86:87]
	v_fma_f64 v[24:25], v[30:31], v[34:35], -v[96:97]
	v_fmac_f64_e32 v[102:103], v[32:33], v[34:35]
	v_fma_f64 v[68:69], v[30:31], v[38:39], -v[36:37]
	v_fmac_f64_e32 v[104:105], v[32:33], v[38:39]
	v_add_f64_e32 v[30:31], v[48:49], v[40:41]
	v_add_f64_e32 v[32:33], v[100:101], v[52:53]
	v_add_f64_e32 v[2:3], v[54:55], v[2:3]
	v_add_f64_e32 v[36:37], v[110:111], v[60:61]
	v_add_f64_e32 v[4:5], v[56:57], v[4:5]
	v_add_f64_e32 v[46:47], v[46:47], v[62:63]
	v_add_f64_e32 v[44:45], v[58:59], v[44:45]
	v_add_f64_e32 v[48:49], v[50:51], v[64:65]
	v_add_f64_e32 v[38:39], v[30:31], v[66:67]
	v_add_f64_e32 v[40:41], v[84:85], v[32:33]
	v_add_f64_e32 v[34:35], v[2:3], v[22:23]
	v_add_f64_e32 v[36:37], v[92:93], v[36:37]
	v_add_f64_e32 v[30:31], v[4:5], v[24:25]
	v_add_f64_e32 v[32:33], v[102:103], v[46:47]
	v_add_f64_e32 v[22:23], v[44:45], v[68:69]
	v_add_f64_e32 v[24:25], v[104:105], v[48:49]
	s_cbranch_vccz .LBB268_18
.LBB268_10:                             ;   Parent Loop BB268_7 Depth=1
                                        ; =>  This Inner Loop Header: Depth=2
	v_mov_b64_e32 v[2:3], 0
	v_mov_b64_e32 v[4:5], 0
	s_and_saveexec_b32 s15, s0
	s_cbranch_execz .LBB268_14
; %bb.11:                               ;   in Loop: Header=BB268_10 Depth=2
	v_mov_b64_e32 v[4:5], 0
	v_mov_b64_e32 v[2:3], 0
	v_add_nc_u32_e32 v0, s2, v14
	s_mov_b32 s18, exec_lo
	s_delay_alu instid0(VALU_DEP_1)
	v_cmpx_gt_u64_e64 s[8:9], v[0:1]
	s_cbranch_execz .LBB268_13
; %bb.12:                               ;   in Loop: Header=BB268_10 Depth=2
	v_lshl_add_u64 v[2:3], v[0:1], 4, v[26:27]
	global_load_b128 v[2:5], v[2:3], off
	s_wait_loadcnt 0x0
	v_xor_b32_e32 v5, 0x80000000, v5
.LBB268_13:                             ;   in Loop: Header=BB268_10 Depth=2
	s_wait_xcnt 0x0
	s_or_b32 exec_lo, exec_lo, s18
.LBB268_14:                             ;   in Loop: Header=BB268_10 Depth=2
	s_delay_alu instid0(SALU_CYCLE_1) | instskip(SKIP_4) | instid1(SALU_CYCLE_1)
	s_or_b32 exec_lo, exec_lo, s15
	v_add_nc_u32_e32 v0, s2, v6
	ds_store_b128 v42, v[2:5]
	v_cmp_le_u64_e32 vcc_lo, s[8:9], v[0:1]
	s_or_b32 s15, vcc_lo, s1
	s_and_saveexec_b32 s18, s15
	s_delay_alu instid0(SALU_CYCLE_1)
	s_xor_b32 s15, exec_lo, s18
; %bb.15:                               ;   in Loop: Header=BB268_10 Depth=2
	v_dual_mov_b32 v0, v1 :: v_dual_mov_b32 v2, v1
	v_mov_b32_e32 v3, v1
	ds_store_b128 v43, v[0:3]
; %bb.16:                               ;   in Loop: Header=BB268_10 Depth=2
	s_and_not1_saveexec_b32 s15, s15
	s_cbranch_execz .LBB268_9
; %bb.17:                               ;   in Loop: Header=BB268_10 Depth=2
	v_mul_u64_e32 v[2:3], s[20:21], v[0:1]
	s_delay_alu instid0(VALU_DEP_1)
	v_lshl_add_u64 v[2:3], v[2:3], 4, v[28:29]
	global_load_b128 v[2:5], v[2:3], off
	s_wait_loadcnt 0x0
	ds_store_2addr_b64 v43, v[2:3], v[4:5] offset1:1
	s_branch .LBB268_9
.LBB268_18:                             ;   in Loop: Header=BB268_7 Depth=1
	s_mul_u64 s[2:3], s[30:31], s[6:7]
	s_delay_alu instid0(SALU_CYCLE_1) | instskip(NEXT) | instid1(SALU_CYCLE_1)
	s_lshl_b64 s[2:3], s[2:3], 4
	s_add_nc_u64 s[2:3], s[26:27], s[2:3]
	s_delay_alu instid0(SALU_CYCLE_1)
	v_lshl_add_u64 v[26:27], v[10:11], 4, s[2:3]
	s_and_saveexec_b32 s15, s11
	s_cbranch_execz .LBB268_23
; %bb.19:                               ;   in Loop: Header=BB268_7 Depth=1
	v_mul_f64_e32 v[2:3], s[42:43], v[40:41]
	v_mul_f64_e32 v[4:5], s[40:41], v[40:41]
	v_lshl_add_u64 v[28:29], v[8:9], 4, v[26:27]
	s_and_b32 vcc_lo, exec_lo, s10
	s_mov_b32 s18, -1
	s_delay_alu instid0(VALU_DEP_3) | instskip(NEXT) | instid1(VALU_DEP_3)
	v_fma_f64 v[2:3], s[40:41], v[38:39], -v[2:3]
	v_fmac_f64_e32 v[4:5], s[42:43], v[38:39]
	s_cbranch_vccz .LBB268_21
; %bb.20:                               ;   in Loop: Header=BB268_7 Depth=1
	global_load_b128 v[38:41], v[28:29], off
	s_mov_b32 s18, 0
	s_wait_loadcnt 0x0
	v_mul_f64_e32 v[44:45], s[38:39], v[40:41]
	v_mul_f64_e32 v[40:41], s[36:37], v[40:41]
	s_delay_alu instid0(VALU_DEP_2) | instskip(NEXT) | instid1(VALU_DEP_2)
	v_fma_f64 v[44:45], s[36:37], v[38:39], -v[44:45]
	v_fmac_f64_e32 v[40:41], s[38:39], v[38:39]
	s_delay_alu instid0(VALU_DEP_2) | instskip(NEXT) | instid1(VALU_DEP_2)
	v_add_f64_e32 v[38:39], v[2:3], v[44:45]
	v_add_f64_e32 v[40:41], v[4:5], v[40:41]
	global_store_b128 v[28:29], v[38:41], off
.LBB268_21:                             ;   in Loop: Header=BB268_7 Depth=1
	s_and_not1_b32 vcc_lo, exec_lo, s18
	s_cbranch_vccnz .LBB268_23
; %bb.22:                               ;   in Loop: Header=BB268_7 Depth=1
	global_store_b128 v[28:29], v[2:5], off
.LBB268_23:                             ;   in Loop: Header=BB268_7 Depth=1
	s_wait_xcnt 0x0
	s_or_b32 exec_lo, exec_lo, s15
	s_and_saveexec_b32 s15, s12
	s_cbranch_execz .LBB268_28
; %bb.24:                               ;   in Loop: Header=BB268_7 Depth=1
	v_mul_f64_e32 v[2:3], s[42:43], v[36:37]
	v_mul_f64_e32 v[4:5], s[40:41], v[36:37]
	v_lshl_add_u64 v[26:27], v[16:17], 4, v[26:27]
	s_and_not1_b32 vcc_lo, exec_lo, s10
	s_mov_b32 s18, -1
	s_delay_alu instid0(VALU_DEP_3) | instskip(NEXT) | instid1(VALU_DEP_3)
	v_fma_f64 v[2:3], s[40:41], v[34:35], -v[2:3]
	v_fmac_f64_e32 v[4:5], s[42:43], v[34:35]
	s_cbranch_vccnz .LBB268_26
; %bb.25:                               ;   in Loop: Header=BB268_7 Depth=1
	global_load_b128 v[34:37], v[26:27], off
	s_mov_b32 s18, 0
	s_wait_loadcnt 0x0
	v_mul_f64_e32 v[28:29], s[38:39], v[36:37]
	v_mul_f64_e32 v[36:37], s[36:37], v[36:37]
	s_delay_alu instid0(VALU_DEP_2) | instskip(NEXT) | instid1(VALU_DEP_2)
	v_fma_f64 v[28:29], s[36:37], v[34:35], -v[28:29]
	v_fmac_f64_e32 v[36:37], s[38:39], v[34:35]
	s_delay_alu instid0(VALU_DEP_2) | instskip(NEXT) | instid1(VALU_DEP_2)
	v_add_f64_e32 v[34:35], v[2:3], v[28:29]
	v_add_f64_e32 v[36:37], v[4:5], v[36:37]
	global_store_b128 v[26:27], v[34:37], off
.LBB268_26:                             ;   in Loop: Header=BB268_7 Depth=1
	s_and_not1_b32 vcc_lo, exec_lo, s18
	s_cbranch_vccnz .LBB268_28
; %bb.27:                               ;   in Loop: Header=BB268_7 Depth=1
	global_store_b128 v[26:27], v[2:5], off
.LBB268_28:                             ;   in Loop: Header=BB268_7 Depth=1
	s_wait_xcnt 0x0
	s_or_b32 exec_lo, exec_lo, s15
	v_lshl_add_u64 v[26:27], v[12:13], 4, s[2:3]
	s_and_saveexec_b32 s2, s14
	s_cbranch_execz .LBB268_33
; %bb.29:                               ;   in Loop: Header=BB268_7 Depth=1
	v_mul_f64_e32 v[2:3], s[42:43], v[32:33]
	v_mul_f64_e32 v[4:5], s[40:41], v[32:33]
	v_lshl_add_u64 v[28:29], v[8:9], 4, v[26:27]
	s_and_not1_b32 vcc_lo, exec_lo, s10
	s_mov_b32 s3, -1
	s_delay_alu instid0(VALU_DEP_3) | instskip(NEXT) | instid1(VALU_DEP_3)
	v_fma_f64 v[2:3], s[40:41], v[30:31], -v[2:3]
	v_fmac_f64_e32 v[4:5], s[42:43], v[30:31]
	s_cbranch_vccnz .LBB268_31
; %bb.30:                               ;   in Loop: Header=BB268_7 Depth=1
	global_load_b128 v[30:33], v[28:29], off
	s_mov_b32 s3, 0
	s_wait_loadcnt 0x0
	v_mul_f64_e32 v[34:35], s[38:39], v[32:33]
	v_mul_f64_e32 v[32:33], s[36:37], v[32:33]
	s_delay_alu instid0(VALU_DEP_2) | instskip(NEXT) | instid1(VALU_DEP_2)
	v_fma_f64 v[34:35], s[36:37], v[30:31], -v[34:35]
	v_fmac_f64_e32 v[32:33], s[38:39], v[30:31]
	s_delay_alu instid0(VALU_DEP_2) | instskip(NEXT) | instid1(VALU_DEP_2)
	v_add_f64_e32 v[30:31], v[2:3], v[34:35]
	v_add_f64_e32 v[32:33], v[4:5], v[32:33]
	global_store_b128 v[28:29], v[30:33], off
.LBB268_31:                             ;   in Loop: Header=BB268_7 Depth=1
	s_and_not1_b32 vcc_lo, exec_lo, s3
	s_cbranch_vccnz .LBB268_33
; %bb.32:                               ;   in Loop: Header=BB268_7 Depth=1
	global_store_b128 v[28:29], v[2:5], off
.LBB268_33:                             ;   in Loop: Header=BB268_7 Depth=1
	s_wait_xcnt 0x0
	s_or_b32 exec_lo, exec_lo, s2
	s_and_saveexec_b32 s2, s4
	s_cbranch_execz .LBB268_6
; %bb.34:                               ;   in Loop: Header=BB268_7 Depth=1
	s_delay_alu instid0(VALU_DEP_3) | instskip(SKIP_3) | instid1(VALU_DEP_2)
	v_mul_f64_e32 v[2:3], s[42:43], v[24:25]
	v_mul_f64_e32 v[4:5], s[40:41], v[24:25]
	s_and_not1_b32 vcc_lo, exec_lo, s10
	s_mov_b32 s3, -1
	v_fma_f64 v[2:3], s[40:41], v[22:23], -v[2:3]
	s_delay_alu instid0(VALU_DEP_2)
	v_fmac_f64_e32 v[4:5], s[42:43], v[22:23]
	v_lshl_add_u64 v[22:23], v[16:17], 4, v[26:27]
	s_cbranch_vccnz .LBB268_36
; %bb.35:                               ;   in Loop: Header=BB268_7 Depth=1
	global_load_b128 v[24:27], v[22:23], off
	s_mov_b32 s3, 0
	s_wait_loadcnt 0x0
	v_mul_f64_e32 v[28:29], s[38:39], v[26:27]
	v_mul_f64_e32 v[26:27], s[36:37], v[26:27]
	s_delay_alu instid0(VALU_DEP_2) | instskip(NEXT) | instid1(VALU_DEP_2)
	v_fma_f64 v[28:29], s[36:37], v[24:25], -v[28:29]
	v_fmac_f64_e32 v[26:27], s[38:39], v[24:25]
	s_delay_alu instid0(VALU_DEP_2) | instskip(NEXT) | instid1(VALU_DEP_2)
	v_add_f64_e32 v[24:25], v[2:3], v[28:29]
	v_add_f64_e32 v[26:27], v[4:5], v[26:27]
	global_store_b128 v[22:23], v[24:27], off
.LBB268_36:                             ;   in Loop: Header=BB268_7 Depth=1
	s_and_not1_b32 vcc_lo, exec_lo, s3
	s_cbranch_vccnz .LBB268_6
; %bb.37:                               ;   in Loop: Header=BB268_7 Depth=1
	global_store_b128 v[22:23], v[2:5], off
	s_branch .LBB268_6
.LBB268_38:
.LBB268_39:
	s_sendmsg sendmsg(MSG_DEALLOC_VGPRS)
	s_endpgm
	.section	.rodata,"a",@progbits
	.p2align	6, 0x0
	.amdhsa_kernel _ZL29rocblas_internal_gemmt_kernelIlLi16ELi32ELi8ELc67ELc84ELc76ELb1ELb0E19rocblas_complex_numIdEPKS1_S3_PS1_EviT_T9_T10_S5_lS7_S5_lS6_T11_S5_li
		.amdhsa_group_segment_fixed_size 8192
		.amdhsa_private_segment_fixed_size 0
		.amdhsa_kernarg_size 108
		.amdhsa_user_sgpr_count 2
		.amdhsa_user_sgpr_dispatch_ptr 0
		.amdhsa_user_sgpr_queue_ptr 0
		.amdhsa_user_sgpr_kernarg_segment_ptr 1
		.amdhsa_user_sgpr_dispatch_id 0
		.amdhsa_user_sgpr_kernarg_preload_length 0
		.amdhsa_user_sgpr_kernarg_preload_offset 0
		.amdhsa_user_sgpr_private_segment_size 0
		.amdhsa_wavefront_size32 1
		.amdhsa_uses_dynamic_stack 0
		.amdhsa_enable_private_segment 0
		.amdhsa_system_sgpr_workgroup_id_x 1
		.amdhsa_system_sgpr_workgroup_id_y 1
		.amdhsa_system_sgpr_workgroup_id_z 1
		.amdhsa_system_sgpr_workgroup_info 0
		.amdhsa_system_vgpr_workitem_id 1
		.amdhsa_next_free_vgpr 130
		.amdhsa_next_free_sgpr 44
		.amdhsa_named_barrier_count 0
		.amdhsa_reserve_vcc 1
		.amdhsa_float_round_mode_32 0
		.amdhsa_float_round_mode_16_64 0
		.amdhsa_float_denorm_mode_32 3
		.amdhsa_float_denorm_mode_16_64 3
		.amdhsa_fp16_overflow 0
		.amdhsa_memory_ordered 1
		.amdhsa_forward_progress 1
		.amdhsa_inst_pref_size 23
		.amdhsa_round_robin_scheduling 0
		.amdhsa_exception_fp_ieee_invalid_op 0
		.amdhsa_exception_fp_denorm_src 0
		.amdhsa_exception_fp_ieee_div_zero 0
		.amdhsa_exception_fp_ieee_overflow 0
		.amdhsa_exception_fp_ieee_underflow 0
		.amdhsa_exception_fp_ieee_inexact 0
		.amdhsa_exception_int_div_zero 0
	.end_amdhsa_kernel
	.section	.text._ZL29rocblas_internal_gemmt_kernelIlLi16ELi32ELi8ELc67ELc84ELc76ELb1ELb0E19rocblas_complex_numIdEPKS1_S3_PS1_EviT_T9_T10_S5_lS7_S5_lS6_T11_S5_li,"axG",@progbits,_ZL29rocblas_internal_gemmt_kernelIlLi16ELi32ELi8ELc67ELc84ELc76ELb1ELb0E19rocblas_complex_numIdEPKS1_S3_PS1_EviT_T9_T10_S5_lS7_S5_lS6_T11_S5_li,comdat
.Lfunc_end268:
	.size	_ZL29rocblas_internal_gemmt_kernelIlLi16ELi32ELi8ELc67ELc84ELc76ELb1ELb0E19rocblas_complex_numIdEPKS1_S3_PS1_EviT_T9_T10_S5_lS7_S5_lS6_T11_S5_li, .Lfunc_end268-_ZL29rocblas_internal_gemmt_kernelIlLi16ELi32ELi8ELc67ELc84ELc76ELb1ELb0E19rocblas_complex_numIdEPKS1_S3_PS1_EviT_T9_T10_S5_lS7_S5_lS6_T11_S5_li
                                        ; -- End function
	.set _ZL29rocblas_internal_gemmt_kernelIlLi16ELi32ELi8ELc67ELc84ELc76ELb1ELb0E19rocblas_complex_numIdEPKS1_S3_PS1_EviT_T9_T10_S5_lS7_S5_lS6_T11_S5_li.num_vgpr, 130
	.set _ZL29rocblas_internal_gemmt_kernelIlLi16ELi32ELi8ELc67ELc84ELc76ELb1ELb0E19rocblas_complex_numIdEPKS1_S3_PS1_EviT_T9_T10_S5_lS7_S5_lS6_T11_S5_li.num_agpr, 0
	.set _ZL29rocblas_internal_gemmt_kernelIlLi16ELi32ELi8ELc67ELc84ELc76ELb1ELb0E19rocblas_complex_numIdEPKS1_S3_PS1_EviT_T9_T10_S5_lS7_S5_lS6_T11_S5_li.numbered_sgpr, 44
	.set _ZL29rocblas_internal_gemmt_kernelIlLi16ELi32ELi8ELc67ELc84ELc76ELb1ELb0E19rocblas_complex_numIdEPKS1_S3_PS1_EviT_T9_T10_S5_lS7_S5_lS6_T11_S5_li.num_named_barrier, 0
	.set _ZL29rocblas_internal_gemmt_kernelIlLi16ELi32ELi8ELc67ELc84ELc76ELb1ELb0E19rocblas_complex_numIdEPKS1_S3_PS1_EviT_T9_T10_S5_lS7_S5_lS6_T11_S5_li.private_seg_size, 0
	.set _ZL29rocblas_internal_gemmt_kernelIlLi16ELi32ELi8ELc67ELc84ELc76ELb1ELb0E19rocblas_complex_numIdEPKS1_S3_PS1_EviT_T9_T10_S5_lS7_S5_lS6_T11_S5_li.uses_vcc, 1
	.set _ZL29rocblas_internal_gemmt_kernelIlLi16ELi32ELi8ELc67ELc84ELc76ELb1ELb0E19rocblas_complex_numIdEPKS1_S3_PS1_EviT_T9_T10_S5_lS7_S5_lS6_T11_S5_li.uses_flat_scratch, 0
	.set _ZL29rocblas_internal_gemmt_kernelIlLi16ELi32ELi8ELc67ELc84ELc76ELb1ELb0E19rocblas_complex_numIdEPKS1_S3_PS1_EviT_T9_T10_S5_lS7_S5_lS6_T11_S5_li.has_dyn_sized_stack, 0
	.set _ZL29rocblas_internal_gemmt_kernelIlLi16ELi32ELi8ELc67ELc84ELc76ELb1ELb0E19rocblas_complex_numIdEPKS1_S3_PS1_EviT_T9_T10_S5_lS7_S5_lS6_T11_S5_li.has_recursion, 0
	.set _ZL29rocblas_internal_gemmt_kernelIlLi16ELi32ELi8ELc67ELc84ELc76ELb1ELb0E19rocblas_complex_numIdEPKS1_S3_PS1_EviT_T9_T10_S5_lS7_S5_lS6_T11_S5_li.has_indirect_call, 0
	.section	.AMDGPU.csdata,"",@progbits
; Kernel info:
; codeLenInByte = 2860
; TotalNumSgprs: 46
; NumVgprs: 130
; ScratchSize: 0
; MemoryBound: 1
; FloatMode: 240
; IeeeMode: 1
; LDSByteSize: 8192 bytes/workgroup (compile time only)
; SGPRBlocks: 0
; VGPRBlocks: 8
; NumSGPRsForWavesPerEU: 46
; NumVGPRsForWavesPerEU: 130
; NamedBarCnt: 0
; Occupancy: 7
; WaveLimiterHint : 0
; COMPUTE_PGM_RSRC2:SCRATCH_EN: 0
; COMPUTE_PGM_RSRC2:USER_SGPR: 2
; COMPUTE_PGM_RSRC2:TRAP_HANDLER: 0
; COMPUTE_PGM_RSRC2:TGID_X_EN: 1
; COMPUTE_PGM_RSRC2:TGID_Y_EN: 1
; COMPUTE_PGM_RSRC2:TGID_Z_EN: 1
; COMPUTE_PGM_RSRC2:TIDIG_COMP_CNT: 1
	.section	.text._ZL29rocblas_internal_gemmt_kernelIlLi16ELi32ELi8ELc67ELc67ELc76ELb1ELb1E19rocblas_complex_numIdEPKS1_S3_PS1_EviT_T9_T10_S5_lS7_S5_lS6_T11_S5_li,"axG",@progbits,_ZL29rocblas_internal_gemmt_kernelIlLi16ELi32ELi8ELc67ELc67ELc76ELb1ELb1E19rocblas_complex_numIdEPKS1_S3_PS1_EviT_T9_T10_S5_lS7_S5_lS6_T11_S5_li,comdat
	.globl	_ZL29rocblas_internal_gemmt_kernelIlLi16ELi32ELi8ELc67ELc67ELc76ELb1ELb1E19rocblas_complex_numIdEPKS1_S3_PS1_EviT_T9_T10_S5_lS7_S5_lS6_T11_S5_li ; -- Begin function _ZL29rocblas_internal_gemmt_kernelIlLi16ELi32ELi8ELc67ELc67ELc76ELb1ELb1E19rocblas_complex_numIdEPKS1_S3_PS1_EviT_T9_T10_S5_lS7_S5_lS6_T11_S5_li
	.p2align	8
	.type	_ZL29rocblas_internal_gemmt_kernelIlLi16ELi32ELi8ELc67ELc67ELc76ELb1ELb1E19rocblas_complex_numIdEPKS1_S3_PS1_EviT_T9_T10_S5_lS7_S5_lS6_T11_S5_li,@function
_ZL29rocblas_internal_gemmt_kernelIlLi16ELi32ELi8ELc67ELc67ELc76ELb1ELb1E19rocblas_complex_numIdEPKS1_S3_PS1_EviT_T9_T10_S5_lS7_S5_lS6_T11_S5_li: ; @_ZL29rocblas_internal_gemmt_kernelIlLi16ELi32ELi8ELc67ELc67ELc76ELb1ELb1E19rocblas_complex_numIdEPKS1_S3_PS1_EviT_T9_T10_S5_lS7_S5_lS6_T11_S5_li
; %bb.0:
	s_clause 0x1
	s_load_b256 s[24:31], s[0:1], 0x48
	s_load_b512 s[8:23], s[0:1], 0x8
	s_wait_kmcnt 0x0
	s_load_b128 s[36:39], s[24:25], 0x0
	s_load_b128 s[40:43], s[10:11], 0x0
	s_wait_kmcnt 0x0
	v_cmp_eq_f64_e64 s3, s[36:37], 1.0
	v_cmp_eq_f64_e64 s2, s[38:39], 0
	s_and_b32 s3, s3, s2
	s_delay_alu instid0(SALU_CYCLE_1)
	s_and_not1_b32 vcc_lo, exec_lo, s3
	s_mov_b32 s3, -1
	s_cbranch_vccnz .LBB269_3
; %bb.1:
	s_cmp_lg_u64 s[8:9], 0
	s_cbranch_scc0 .LBB269_36
; %bb.2:
	v_cmp_neq_f64_e64 s3, s[40:41], 0
	v_cmp_neq_f64_e64 s4, s[42:43], 0
	s_or_b32 s3, s3, s4
.LBB269_3:
	s_delay_alu instid0(SALU_CYCLE_1)
	s_and_b32 vcc_lo, exec_lo, s3
	s_cbranch_vccz .LBB269_37
; %bb.4:
	s_load_b32 s10, s[0:1], 0x68
	s_bfe_u32 s3, ttmp6, 0x40014
	s_lshr_b32 s4, ttmp7, 16
	s_add_co_i32 s3, s3, 1
	s_bfe_u32 s6, ttmp6, 0x40008
	s_mul_i32 s5, s4, s3
	s_getreg_b32 s3, hwreg(HW_REG_IB_STS2, 6, 4)
	s_add_co_i32 s6, s6, s5
	s_cmp_eq_u32 s3, 0
	s_mov_b32 s7, 0
	s_cselect_b32 s6, s4, s6
	s_wait_kmcnt 0x0
	s_cmp_ge_u32 s6, s10
	s_cbranch_scc1 .LBB269_37
; %bb.5:
	v_and_b32_e32 v14, 0x3ff, v0
	v_bfe_u32 v10, v0, 10, 10
	s_bfe_u32 s4, ttmp6, 0x4000c
	s_bfe_u32 s11, ttmp6, 0x40010
	s_add_co_i32 s4, s4, 1
	s_and_b32 s24, ttmp7, 0xffff
	s_add_co_i32 s11, s11, 1
	v_lshl_add_u32 v15, v10, 4, v14
	s_and_b32 s5, ttmp6, 15
	s_mul_i32 s4, ttmp9, s4
	s_mul_i32 s11, s24, s11
	s_bfe_u32 s25, ttmp6, 0x40004
	s_add_co_i32 s5, s5, s4
	s_add_co_i32 s25, s25, s11
	s_cmp_eq_u32 s3, 0
	v_and_b32_e32 v18, 31, v15
	s_cselect_b32 s3, ttmp9, s5
	s_cselect_b32 s4, s24, s25
	s_lshl_b32 s3, s3, 5
	s_lshl_b32 s4, s4, 5
	s_delay_alu instid0(SALU_CYCLE_1) | instskip(SKIP_4) | instid1(VALU_DEP_4)
	v_dual_add_nc_u32 v4, s4, v10 :: v_dual_bitop2_b32 v8, 7, v0 bitop3:0x40
	v_or_b32_e32 v2, s3, v18
	v_cmp_neq_f64_e64 s5, s[40:41], 0
	v_cmp_neq_f64_e64 s24, s[42:43], 0
	;; [unrolled: 1-line block ×3, first 2 shown]
	v_dual_add_nc_u32 v0, 16, v4 :: v_dual_ashrrev_i32 v3, 31, v2
	v_dual_ashrrev_i32 v5, 31, v4 :: v_dual_lshrrev_b32 v19, 3, v15
	s_delay_alu instid0(VALU_DEP_2) | instskip(SKIP_1) | instid1(VALU_DEP_4)
	v_dual_lshlrev_b32 v9, 4, v14 :: v_dual_ashrrev_i32 v1, 31, v0
	v_add_nc_u32_e32 v14, s3, v14
	v_mul_u64_e32 v[6:7], s[14:15], v[2:3]
	s_load_b32 s15, s[0:1], 0x0
	v_lshlrev_b32_e32 v3, 4, v8
	v_lshl_add_u32 v17, v10, 7, 0x1000
	v_mul_u64_e32 v[10:11], s[28:29], v[4:5]
	v_mul_u64_e32 v[12:13], s[28:29], v[0:1]
	v_add_nc_u32_e32 v20, s4, v19
	s_xor_b32 s14, s2, -1
	v_dual_lshrrev_b32 v16, 5, v15 :: v_dual_lshlrev_b32 v1, 4, v18
	v_cmp_le_i32_e32 vcc_lo, v4, v14
	s_delay_alu instid0(VALU_DEP_3)
	v_dual_add_nc_u32 v18, 16, v14 :: v_dual_ashrrev_i32 v21, 31, v20
	v_ashrrev_i32_e32 v15, 31, v14
	v_lshl_or_b32 v3, v19, 7, v3
	v_cmp_gt_i64_e64 s33, s[8:9], 0
	v_cmp_le_i32_e64 s4, v0, v14
	v_lshl_or_b32 v46, v16, 9, v1
	v_dual_ashrrev_i32 v19, 31, v18 :: v_dual_mov_b32 v25, 0
	v_add_nc_u32_e32 v47, 0x1000, v3
	s_wait_kmcnt 0x0
	v_cmp_gt_i32_e64 s2, s15, v14
	v_cmp_gt_i32_e64 s1, s15, v20
	v_lshl_add_u64 v[20:21], v[20:21], 4, s[18:19]
	s_or_b32 s18, s5, s24
	v_cmp_gt_i32_e64 s3, s15, v18
	s_and_b32 s11, vcc_lo, s2
	v_cmp_le_i32_e32 vcc_lo, v4, v18
	v_cmp_le_i32_e64 s5, v0, v18
	v_cmp_gt_i32_e64 s0, s15, v2
	s_or_b32 s14, s25, s14
	s_and_b32 s4, s4, s2
	v_lshl_add_u64 v[22:23], v[6:7], 4, s[12:13]
	s_and_b32 s12, s18, s33
	s_and_b32 s13, vcc_lo, s3
	s_and_b32 s5, s5, s3
	s_branch .LBB269_7
.LBB269_6:                              ;   in Loop: Header=BB269_7 Depth=1
	s_wait_xcnt 0x0
	s_or_b32 exec_lo, exec_lo, s2
	s_add_co_i32 s6, s6, 0x10000
	s_delay_alu instid0(SALU_CYCLE_1)
	s_cmp_lt_u32 s6, s10
	s_cbranch_scc0 .LBB269_37
.LBB269_7:                              ; =>This Loop Header: Depth=1
                                        ;     Child Loop BB269_10 Depth 2
	v_mov_b64_e32 v[42:43], 0
	v_mov_b64_e32 v[44:45], 0
	;; [unrolled: 1-line block ×8, first 2 shown]
	s_and_not1_b32 vcc_lo, exec_lo, s12
	s_cbranch_vccnz .LBB269_16
; %bb.8:                                ;   in Loop: Header=BB269_7 Depth=1
	s_mul_u64 s[2:3], s[22:23], s[6:7]
	s_mul_u64 s[18:19], s[16:17], s[6:7]
	v_mov_b64_e32 v[28:29], 0
	v_mov_b64_e32 v[26:27], 0
	;; [unrolled: 1-line block ×8, first 2 shown]
	v_lshl_add_u64 v[30:31], s[18:19], 4, v[22:23]
	v_lshl_add_u64 v[32:33], s[2:3], 4, v[20:21]
	s_mov_b64 s[2:3], 0
	s_branch .LBB269_10
.LBB269_9:                              ;   in Loop: Header=BB269_10 Depth=2
	s_wait_xcnt 0x0
	s_or_b32 exec_lo, exec_lo, s15
	ds_store_b128 v47, v[4:7]
	s_wait_dscnt 0x0
	s_barrier_signal -1
	s_barrier_wait -1
	ds_load_b128 v[0:3], v17
	ds_load_b128 v[4:7], v9
	ds_load_b128 v[48:51], v9 offset:256
	ds_load_b128 v[52:55], v17 offset:2048
	;; [unrolled: 1-line block ×10, first 2 shown]
	s_add_nc_u64 s[2:3], s[2:3], 8
	s_delay_alu instid0(SALU_CYCLE_1)
	v_cmp_gt_i64_e64 s15, s[8:9], s[2:3]
	s_and_b32 vcc_lo, exec_lo, s15
	s_wait_dscnt 0xa
	v_mul_f64_e32 v[88:89], v[2:3], v[6:7]
	v_mul_f64_e32 v[90:91], v[0:1], v[6:7]
	s_wait_dscnt 0x9
	v_mul_f64_e32 v[92:93], v[2:3], v[50:51]
	v_mul_f64_e32 v[94:95], v[0:1], v[50:51]
	s_wait_dscnt 0x8
	v_mul_f64_e32 v[96:97], v[54:55], v[6:7]
	v_mul_f64_e32 v[98:99], v[52:53], v[6:7]
	v_mul_f64_e32 v[6:7], v[54:55], v[50:51]
	v_mul_f64_e32 v[100:101], v[52:53], v[50:51]
	s_wait_dscnt 0x6
	v_mul_f64_e32 v[102:103], v[58:59], v[62:63]
	v_mul_f64_e32 v[104:105], v[56:57], v[62:63]
	s_wait_dscnt 0x5
	v_mul_f64_e32 v[106:107], v[58:59], v[66:67]
	v_mul_f64_e32 v[108:109], v[56:57], v[66:67]
	s_wait_dscnt 0x4
	v_mul_f64_e32 v[110:111], v[70:71], v[62:63]
	v_mul_f64_e32 v[62:63], v[68:69], v[62:63]
	v_mul_f64_e32 v[112:113], v[70:71], v[66:67]
	v_mul_f64_e32 v[66:67], v[68:69], v[66:67]
	;; [unrolled: 11-line block ×3, first 2 shown]
	v_fma_f64 v[88:89], v[0:1], v[4:5], -v[88:89]
	v_fmac_f64_e32 v[90:91], v[2:3], v[4:5]
	v_fma_f64 v[92:93], v[0:1], v[48:49], -v[92:93]
	v_fmac_f64_e32 v[94:95], v[2:3], v[48:49]
	;; [unrolled: 2-line block ×8, first 2 shown]
	ds_load_b128 v[0:3], v17 offset:48
	ds_load_b128 v[4:7], v17 offset:2096
	;; [unrolled: 1-line block ×4, first 2 shown]
	v_fma_f64 v[116:117], v[72:73], v[76:77], -v[116:117]
	v_fmac_f64_e32 v[118:119], v[74:75], v[76:77]
	v_fma_f64 v[72:73], v[72:73], v[80:81], -v[120:121]
	v_fmac_f64_e32 v[122:123], v[74:75], v[80:81]
	;; [unrolled: 2-line block ×4, first 2 shown]
	v_add_f64_e32 v[64:65], v[42:43], v[88:89]
	v_add_f64_e32 v[68:69], v[90:91], v[44:45]
	;; [unrolled: 1-line block ×8, first 2 shown]
	s_wait_dscnt 0x1
	v_mul_f64_e32 v[98:99], v[2:3], v[50:51]
	v_mul_f64_e32 v[100:101], v[0:1], v[50:51]
	s_wait_dscnt 0x0
	v_mul_f64_e32 v[106:107], v[2:3], v[54:55]
	v_mul_f64_e32 v[110:111], v[0:1], v[54:55]
	v_mul_f64_e32 v[112:113], v[6:7], v[50:51]
	v_mul_f64_e32 v[114:115], v[4:5], v[50:51]
	v_mul_f64_e32 v[50:51], v[6:7], v[54:55]
	v_mul_f64_e32 v[128:129], v[4:5], v[54:55]
	ds_load_b128 v[26:29], v17 offset:64
	ds_load_b128 v[34:37], v9 offset:2048
	;; [unrolled: 1-line block ×4, first 2 shown]
	v_add_f64_e32 v[80:81], v[64:65], v[102:103]
	v_add_f64_e32 v[84:85], v[104:105], v[68:69]
	;; [unrolled: 1-line block ×8, first 2 shown]
	s_wait_dscnt 0x2
	v_mul_f64_e32 v[96:97], v[28:29], v[36:37]
	v_mul_f64_e32 v[102:103], v[26:27], v[36:37]
	s_wait_dscnt 0x1
	v_mul_f64_e32 v[104:105], v[28:29], v[40:41]
	v_mul_f64_e32 v[108:109], v[26:27], v[40:41]
	;; [unrolled: 3-line block ×3, first 2 shown]
	v_mul_f64_e32 v[36:37], v[44:45], v[40:41]
	v_mul_f64_e32 v[126:127], v[42:43], v[40:41]
	v_fma_f64 v[40:41], v[0:1], v[48:49], -v[98:99]
	v_fmac_f64_e32 v[100:101], v[2:3], v[48:49]
	v_fma_f64 v[98:99], v[0:1], v[52:53], -v[106:107]
	v_fmac_f64_e32 v[110:111], v[2:3], v[52:53]
	;; [unrolled: 2-line block ×4, first 2 shown]
	ds_load_b128 v[54:57], v17 offset:80
	ds_load_b128 v[58:61], v17 offset:2128
	;; [unrolled: 1-line block ×4, first 2 shown]
	v_add_f64_e32 v[52:53], v[80:81], v[116:117]
	v_add_f64_e32 v[80:81], v[118:119], v[84:85]
	;; [unrolled: 1-line block ×8, first 2 shown]
	v_fma_f64 v[96:97], v[26:27], v[34:35], -v[96:97]
	v_fmac_f64_e32 v[102:103], v[28:29], v[34:35]
	v_fma_f64 v[104:105], v[26:27], v[38:39], -v[104:105]
	s_wait_dscnt 0x1
	v_mul_f64_e32 v[88:89], v[56:57], v[64:65]
	v_mul_f64_e32 v[90:91], v[54:55], v[64:65]
	s_wait_dscnt 0x0
	v_mul_f64_e32 v[92:93], v[56:57], v[68:69]
	v_mul_f64_e32 v[94:95], v[54:55], v[68:69]
	;; [unrolled: 1-line block ×6, first 2 shown]
	v_fmac_f64_e32 v[108:109], v[28:29], v[38:39]
	v_fma_f64 v[120:121], v[42:43], v[34:35], -v[120:121]
	v_fmac_f64_e32 v[124:125], v[44:45], v[34:35]
	v_fma_f64 v[122:123], v[42:43], v[38:39], -v[36:37]
	v_fmac_f64_e32 v[126:127], v[44:45], v[38:39]
	ds_load_b128 v[0:3], v17 offset:96
	ds_load_b128 v[4:7], v9 offset:3072
	;; [unrolled: 1-line block ×4, first 2 shown]
	v_add_f64_e32 v[52:53], v[52:53], v[40:41]
	v_add_f64_e32 v[80:81], v[100:101], v[80:81]
	;; [unrolled: 1-line block ×8, first 2 shown]
	ds_load_b128 v[26:29], v17 offset:112
	ds_load_b128 v[34:37], v17 offset:2160
	ds_load_b128 v[38:41], v9 offset:3584
	ds_load_b128 v[42:45], v9 offset:3840
	s_wait_dscnt 0x0
	v_mul_f64_e32 v[98:99], v[2:3], v[6:7]
	v_mul_f64_e32 v[100:101], v[0:1], v[6:7]
	;; [unrolled: 1-line block ×8, first 2 shown]
	v_fma_f64 v[88:89], v[54:55], v[62:63], -v[88:89]
	v_fmac_f64_e32 v[90:91], v[56:57], v[62:63]
	v_fma_f64 v[54:55], v[54:55], v[66:67], -v[92:93]
	v_fmac_f64_e32 v[94:95], v[56:57], v[66:67]
	;; [unrolled: 2-line block ×4, first 2 shown]
	s_barrier_signal -1
	s_barrier_wait -1
	v_mul_f64_e32 v[92:93], v[26:27], v[44:45]
	v_add_f64_e32 v[52:53], v[52:53], v[96:97]
	v_add_f64_e32 v[60:61], v[102:103], v[80:81]
	;; [unrolled: 1-line block ×8, first 2 shown]
	v_mul_f64_e32 v[82:83], v[28:29], v[40:41]
	v_mul_f64_e32 v[84:85], v[26:27], v[40:41]
	;; [unrolled: 1-line block ×7, first 2 shown]
	v_fma_f64 v[44:45], v[0:1], v[4:5], -v[98:99]
	v_fmac_f64_e32 v[100:101], v[2:3], v[4:5]
	v_fma_f64 v[0:1], v[0:1], v[48:49], -v[106:107]
	v_fmac_f64_e32 v[110:111], v[2:3], v[48:49]
	;; [unrolled: 2-line block ×4, first 2 shown]
	v_fmac_f64_e32 v[92:93], v[28:29], v[42:43]
	v_add_f64_e32 v[48:49], v[52:53], v[88:89]
	v_add_f64_e32 v[52:53], v[90:91], v[60:61]
	;; [unrolled: 1-line block ×8, first 2 shown]
	v_fma_f64 v[66:67], v[26:27], v[38:39], -v[82:83]
	v_fmac_f64_e32 v[84:85], v[28:29], v[38:39]
	v_fma_f64 v[26:27], v[26:27], v[42:43], -v[86:87]
	v_fma_f64 v[28:29], v[34:35], v[38:39], -v[96:97]
	v_fmac_f64_e32 v[102:103], v[36:37], v[38:39]
	v_fma_f64 v[68:69], v[34:35], v[42:43], -v[40:41]
	v_fmac_f64_e32 v[104:105], v[36:37], v[42:43]
	v_add_f64_e32 v[34:35], v[48:49], v[44:45]
	v_add_f64_e32 v[36:37], v[100:101], v[52:53]
	;; [unrolled: 1-line block ×16, first 2 shown]
	s_cbranch_vccz .LBB269_16
.LBB269_10:                             ;   Parent Loop BB269_7 Depth=1
                                        ; =>  This Inner Loop Header: Depth=2
	v_mov_b64_e32 v[0:1], 0
	v_mov_b64_e32 v[2:3], 0
	s_and_saveexec_b32 s15, s0
	s_cbranch_execz .LBB269_14
; %bb.11:                               ;   in Loop: Header=BB269_10 Depth=2
	v_mov_b64_e32 v[2:3], 0
	v_mov_b64_e32 v[0:1], 0
	v_add_nc_u32_e32 v24, s2, v16
	s_mov_b32 s18, exec_lo
	s_delay_alu instid0(VALU_DEP_1)
	v_cmpx_gt_u64_e64 s[8:9], v[24:25]
	s_cbranch_execz .LBB269_13
; %bb.12:                               ;   in Loop: Header=BB269_10 Depth=2
	v_lshl_add_u64 v[0:1], v[24:25], 4, v[30:31]
	global_load_b128 v[0:3], v[0:1], off
	s_wait_loadcnt 0x0
	v_xor_b32_e32 v3, 0x80000000, v3
.LBB269_13:                             ;   in Loop: Header=BB269_10 Depth=2
	s_wait_xcnt 0x0
	s_or_b32 exec_lo, exec_lo, s18
.LBB269_14:                             ;   in Loop: Header=BB269_10 Depth=2
	s_delay_alu instid0(SALU_CYCLE_1)
	s_or_b32 exec_lo, exec_lo, s15
	v_add_nc_u32_e32 v24, s2, v8
	v_mov_b64_e32 v[4:5], 0
	v_mov_b64_e32 v[6:7], 0
	ds_store_b128 v46, v[0:3]
	v_cmp_gt_u64_e32 vcc_lo, s[8:9], v[24:25]
	s_and_b32 s18, vcc_lo, s1
	s_delay_alu instid0(SALU_CYCLE_1)
	s_and_saveexec_b32 s15, s18
	s_cbranch_execz .LBB269_9
; %bb.15:                               ;   in Loop: Header=BB269_10 Depth=2
	v_mul_u64_e32 v[0:1], s[20:21], v[24:25]
	s_delay_alu instid0(VALU_DEP_1)
	v_lshl_add_u64 v[0:1], v[0:1], 4, v[32:33]
	global_load_b128 v[4:7], v[0:1], off
	s_wait_loadcnt 0x0
	v_xor_b32_e32 v7, 0x80000000, v7
	s_branch .LBB269_9
.LBB269_16:                             ;   in Loop: Header=BB269_7 Depth=1
	s_mul_u64 s[2:3], s[30:31], s[6:7]
	s_delay_alu instid0(SALU_CYCLE_1) | instskip(NEXT) | instid1(SALU_CYCLE_1)
	s_lshl_b64 s[2:3], s[2:3], 4
	s_add_nc_u64 s[2:3], s[26:27], s[2:3]
	s_delay_alu instid0(SALU_CYCLE_1)
	v_lshl_add_u64 v[4:5], v[10:11], 4, s[2:3]
	s_and_saveexec_b32 s15, s11
	s_cbranch_execz .LBB269_21
; %bb.17:                               ;   in Loop: Header=BB269_7 Depth=1
	v_mul_f64_e32 v[0:1], s[42:43], v[44:45]
	v_mul_f64_e32 v[2:3], s[40:41], v[44:45]
	v_lshl_add_u64 v[6:7], v[14:15], 4, v[4:5]
	s_and_b32 vcc_lo, exec_lo, s14
	s_mov_b32 s18, -1
	s_delay_alu instid0(VALU_DEP_3) | instskip(NEXT) | instid1(VALU_DEP_3)
	v_fma_f64 v[0:1], s[40:41], v[42:43], -v[0:1]
	v_fmac_f64_e32 v[2:3], s[42:43], v[42:43]
	s_cbranch_vccz .LBB269_19
; %bb.18:                               ;   in Loop: Header=BB269_7 Depth=1
	global_load_b128 v[30:33], v[6:7], off
	s_mov_b32 s18, 0
	s_wait_loadcnt 0x0
	v_mul_f64_e32 v[42:43], s[38:39], v[32:33]
	v_mul_f64_e32 v[32:33], s[36:37], v[32:33]
	s_delay_alu instid0(VALU_DEP_2) | instskip(NEXT) | instid1(VALU_DEP_2)
	v_fma_f64 v[42:43], s[36:37], v[30:31], -v[42:43]
	v_fmac_f64_e32 v[32:33], s[38:39], v[30:31]
	s_delay_alu instid0(VALU_DEP_2) | instskip(NEXT) | instid1(VALU_DEP_2)
	v_add_f64_e32 v[30:31], v[0:1], v[42:43]
	v_add_f64_e32 v[32:33], v[2:3], v[32:33]
	global_store_b128 v[6:7], v[30:33], off
.LBB269_19:                             ;   in Loop: Header=BB269_7 Depth=1
	s_and_not1_b32 vcc_lo, exec_lo, s18
	s_cbranch_vccnz .LBB269_21
; %bb.20:                               ;   in Loop: Header=BB269_7 Depth=1
	global_store_b128 v[6:7], v[0:3], off
.LBB269_21:                             ;   in Loop: Header=BB269_7 Depth=1
	s_wait_xcnt 0x0
	s_or_b32 exec_lo, exec_lo, s15
	s_and_saveexec_b32 s15, s13
	s_cbranch_execz .LBB269_26
; %bb.22:                               ;   in Loop: Header=BB269_7 Depth=1
	v_mul_f64_e32 v[0:1], s[42:43], v[40:41]
	v_mul_f64_e32 v[2:3], s[40:41], v[40:41]
	v_lshl_add_u64 v[4:5], v[18:19], 4, v[4:5]
	s_and_not1_b32 vcc_lo, exec_lo, s14
	s_mov_b32 s18, -1
	s_delay_alu instid0(VALU_DEP_3) | instskip(NEXT) | instid1(VALU_DEP_3)
	v_fma_f64 v[0:1], s[40:41], v[38:39], -v[0:1]
	v_fmac_f64_e32 v[2:3], s[42:43], v[38:39]
	s_cbranch_vccnz .LBB269_24
; %bb.23:                               ;   in Loop: Header=BB269_7 Depth=1
	global_load_b128 v[30:33], v[4:5], off
	s_mov_b32 s18, 0
	s_wait_loadcnt 0x0
	v_mul_f64_e32 v[6:7], s[38:39], v[32:33]
	v_mul_f64_e32 v[32:33], s[36:37], v[32:33]
	s_delay_alu instid0(VALU_DEP_2) | instskip(NEXT) | instid1(VALU_DEP_2)
	v_fma_f64 v[6:7], s[36:37], v[30:31], -v[6:7]
	v_fmac_f64_e32 v[32:33], s[38:39], v[30:31]
	s_delay_alu instid0(VALU_DEP_2) | instskip(NEXT) | instid1(VALU_DEP_2)
	v_add_f64_e32 v[30:31], v[0:1], v[6:7]
	v_add_f64_e32 v[32:33], v[2:3], v[32:33]
	global_store_b128 v[4:5], v[30:33], off
.LBB269_24:                             ;   in Loop: Header=BB269_7 Depth=1
	s_and_not1_b32 vcc_lo, exec_lo, s18
	s_cbranch_vccnz .LBB269_26
; %bb.25:                               ;   in Loop: Header=BB269_7 Depth=1
	global_store_b128 v[4:5], v[0:3], off
.LBB269_26:                             ;   in Loop: Header=BB269_7 Depth=1
	s_wait_xcnt 0x0
	s_or_b32 exec_lo, exec_lo, s15
	v_lshl_add_u64 v[4:5], v[12:13], 4, s[2:3]
	s_and_saveexec_b32 s2, s4
	s_cbranch_execz .LBB269_31
; %bb.27:                               ;   in Loop: Header=BB269_7 Depth=1
	v_mul_f64_e32 v[0:1], s[42:43], v[36:37]
	v_mul_f64_e32 v[2:3], s[40:41], v[36:37]
	v_lshl_add_u64 v[6:7], v[14:15], 4, v[4:5]
	s_and_not1_b32 vcc_lo, exec_lo, s14
	s_mov_b32 s3, -1
	s_delay_alu instid0(VALU_DEP_3) | instskip(NEXT) | instid1(VALU_DEP_3)
	v_fma_f64 v[0:1], s[40:41], v[34:35], -v[0:1]
	v_fmac_f64_e32 v[2:3], s[42:43], v[34:35]
	s_cbranch_vccnz .LBB269_29
; %bb.28:                               ;   in Loop: Header=BB269_7 Depth=1
	global_load_b128 v[30:33], v[6:7], off
	s_mov_b32 s3, 0
	s_wait_loadcnt 0x0
	v_mul_f64_e32 v[34:35], s[38:39], v[32:33]
	v_mul_f64_e32 v[32:33], s[36:37], v[32:33]
	s_delay_alu instid0(VALU_DEP_2) | instskip(NEXT) | instid1(VALU_DEP_2)
	v_fma_f64 v[34:35], s[36:37], v[30:31], -v[34:35]
	v_fmac_f64_e32 v[32:33], s[38:39], v[30:31]
	s_delay_alu instid0(VALU_DEP_2) | instskip(NEXT) | instid1(VALU_DEP_2)
	v_add_f64_e32 v[30:31], v[0:1], v[34:35]
	v_add_f64_e32 v[32:33], v[2:3], v[32:33]
	global_store_b128 v[6:7], v[30:33], off
.LBB269_29:                             ;   in Loop: Header=BB269_7 Depth=1
	s_and_not1_b32 vcc_lo, exec_lo, s3
	s_cbranch_vccnz .LBB269_31
; %bb.30:                               ;   in Loop: Header=BB269_7 Depth=1
	global_store_b128 v[6:7], v[0:3], off
.LBB269_31:                             ;   in Loop: Header=BB269_7 Depth=1
	s_wait_xcnt 0x0
	s_or_b32 exec_lo, exec_lo, s2
	s_and_saveexec_b32 s2, s5
	s_cbranch_execz .LBB269_6
; %bb.32:                               ;   in Loop: Header=BB269_7 Depth=1
	s_delay_alu instid0(VALU_DEP_3) | instskip(SKIP_4) | instid1(VALU_DEP_3)
	v_mul_f64_e32 v[0:1], s[42:43], v[28:29]
	v_mul_f64_e32 v[2:3], s[40:41], v[28:29]
	v_lshl_add_u64 v[4:5], v[18:19], 4, v[4:5]
	s_and_not1_b32 vcc_lo, exec_lo, s14
	s_mov_b32 s3, -1
	v_fma_f64 v[0:1], s[40:41], v[26:27], -v[0:1]
	s_delay_alu instid0(VALU_DEP_3)
	v_fmac_f64_e32 v[2:3], s[42:43], v[26:27]
	s_cbranch_vccnz .LBB269_34
; %bb.33:                               ;   in Loop: Header=BB269_7 Depth=1
	global_load_b128 v[26:29], v[4:5], off
	s_mov_b32 s3, 0
	s_wait_loadcnt 0x0
	v_mul_f64_e32 v[6:7], s[38:39], v[28:29]
	v_mul_f64_e32 v[28:29], s[36:37], v[28:29]
	s_delay_alu instid0(VALU_DEP_2) | instskip(NEXT) | instid1(VALU_DEP_2)
	v_fma_f64 v[6:7], s[36:37], v[26:27], -v[6:7]
	v_fmac_f64_e32 v[28:29], s[38:39], v[26:27]
	s_delay_alu instid0(VALU_DEP_2) | instskip(NEXT) | instid1(VALU_DEP_2)
	v_add_f64_e32 v[26:27], v[0:1], v[6:7]
	v_add_f64_e32 v[28:29], v[2:3], v[28:29]
	global_store_b128 v[4:5], v[26:29], off
.LBB269_34:                             ;   in Loop: Header=BB269_7 Depth=1
	s_and_not1_b32 vcc_lo, exec_lo, s3
	s_cbranch_vccnz .LBB269_6
; %bb.35:                               ;   in Loop: Header=BB269_7 Depth=1
	global_store_b128 v[4:5], v[0:3], off
	s_branch .LBB269_6
.LBB269_36:
.LBB269_37:
	s_sendmsg sendmsg(MSG_DEALLOC_VGPRS)
	s_endpgm
	.section	.rodata,"a",@progbits
	.p2align	6, 0x0
	.amdhsa_kernel _ZL29rocblas_internal_gemmt_kernelIlLi16ELi32ELi8ELc67ELc67ELc76ELb1ELb1E19rocblas_complex_numIdEPKS1_S3_PS1_EviT_T9_T10_S5_lS7_S5_lS6_T11_S5_li
		.amdhsa_group_segment_fixed_size 8192
		.amdhsa_private_segment_fixed_size 0
		.amdhsa_kernarg_size 108
		.amdhsa_user_sgpr_count 2
		.amdhsa_user_sgpr_dispatch_ptr 0
		.amdhsa_user_sgpr_queue_ptr 0
		.amdhsa_user_sgpr_kernarg_segment_ptr 1
		.amdhsa_user_sgpr_dispatch_id 0
		.amdhsa_user_sgpr_kernarg_preload_length 0
		.amdhsa_user_sgpr_kernarg_preload_offset 0
		.amdhsa_user_sgpr_private_segment_size 0
		.amdhsa_wavefront_size32 1
		.amdhsa_uses_dynamic_stack 0
		.amdhsa_enable_private_segment 0
		.amdhsa_system_sgpr_workgroup_id_x 1
		.amdhsa_system_sgpr_workgroup_id_y 1
		.amdhsa_system_sgpr_workgroup_id_z 1
		.amdhsa_system_sgpr_workgroup_info 0
		.amdhsa_system_vgpr_workitem_id 1
		.amdhsa_next_free_vgpr 130
		.amdhsa_next_free_sgpr 44
		.amdhsa_named_barrier_count 0
		.amdhsa_reserve_vcc 1
		.amdhsa_float_round_mode_32 0
		.amdhsa_float_round_mode_16_64 0
		.amdhsa_float_denorm_mode_32 3
		.amdhsa_float_denorm_mode_16_64 3
		.amdhsa_fp16_overflow 0
		.amdhsa_memory_ordered 1
		.amdhsa_forward_progress 1
		.amdhsa_inst_pref_size 23
		.amdhsa_round_robin_scheduling 0
		.amdhsa_exception_fp_ieee_invalid_op 0
		.amdhsa_exception_fp_denorm_src 0
		.amdhsa_exception_fp_ieee_div_zero 0
		.amdhsa_exception_fp_ieee_overflow 0
		.amdhsa_exception_fp_ieee_underflow 0
		.amdhsa_exception_fp_ieee_inexact 0
		.amdhsa_exception_int_div_zero 0
	.end_amdhsa_kernel
	.section	.text._ZL29rocblas_internal_gemmt_kernelIlLi16ELi32ELi8ELc67ELc67ELc76ELb1ELb1E19rocblas_complex_numIdEPKS1_S3_PS1_EviT_T9_T10_S5_lS7_S5_lS6_T11_S5_li,"axG",@progbits,_ZL29rocblas_internal_gemmt_kernelIlLi16ELi32ELi8ELc67ELc67ELc76ELb1ELb1E19rocblas_complex_numIdEPKS1_S3_PS1_EviT_T9_T10_S5_lS7_S5_lS6_T11_S5_li,comdat
.Lfunc_end269:
	.size	_ZL29rocblas_internal_gemmt_kernelIlLi16ELi32ELi8ELc67ELc67ELc76ELb1ELb1E19rocblas_complex_numIdEPKS1_S3_PS1_EviT_T9_T10_S5_lS7_S5_lS6_T11_S5_li, .Lfunc_end269-_ZL29rocblas_internal_gemmt_kernelIlLi16ELi32ELi8ELc67ELc67ELc76ELb1ELb1E19rocblas_complex_numIdEPKS1_S3_PS1_EviT_T9_T10_S5_lS7_S5_lS6_T11_S5_li
                                        ; -- End function
	.set _ZL29rocblas_internal_gemmt_kernelIlLi16ELi32ELi8ELc67ELc67ELc76ELb1ELb1E19rocblas_complex_numIdEPKS1_S3_PS1_EviT_T9_T10_S5_lS7_S5_lS6_T11_S5_li.num_vgpr, 130
	.set _ZL29rocblas_internal_gemmt_kernelIlLi16ELi32ELi8ELc67ELc67ELc76ELb1ELb1E19rocblas_complex_numIdEPKS1_S3_PS1_EviT_T9_T10_S5_lS7_S5_lS6_T11_S5_li.num_agpr, 0
	.set _ZL29rocblas_internal_gemmt_kernelIlLi16ELi32ELi8ELc67ELc67ELc76ELb1ELb1E19rocblas_complex_numIdEPKS1_S3_PS1_EviT_T9_T10_S5_lS7_S5_lS6_T11_S5_li.numbered_sgpr, 44
	.set _ZL29rocblas_internal_gemmt_kernelIlLi16ELi32ELi8ELc67ELc67ELc76ELb1ELb1E19rocblas_complex_numIdEPKS1_S3_PS1_EviT_T9_T10_S5_lS7_S5_lS6_T11_S5_li.num_named_barrier, 0
	.set _ZL29rocblas_internal_gemmt_kernelIlLi16ELi32ELi8ELc67ELc67ELc76ELb1ELb1E19rocblas_complex_numIdEPKS1_S3_PS1_EviT_T9_T10_S5_lS7_S5_lS6_T11_S5_li.private_seg_size, 0
	.set _ZL29rocblas_internal_gemmt_kernelIlLi16ELi32ELi8ELc67ELc67ELc76ELb1ELb1E19rocblas_complex_numIdEPKS1_S3_PS1_EviT_T9_T10_S5_lS7_S5_lS6_T11_S5_li.uses_vcc, 1
	.set _ZL29rocblas_internal_gemmt_kernelIlLi16ELi32ELi8ELc67ELc67ELc76ELb1ELb1E19rocblas_complex_numIdEPKS1_S3_PS1_EviT_T9_T10_S5_lS7_S5_lS6_T11_S5_li.uses_flat_scratch, 0
	.set _ZL29rocblas_internal_gemmt_kernelIlLi16ELi32ELi8ELc67ELc67ELc76ELb1ELb1E19rocblas_complex_numIdEPKS1_S3_PS1_EviT_T9_T10_S5_lS7_S5_lS6_T11_S5_li.has_dyn_sized_stack, 0
	.set _ZL29rocblas_internal_gemmt_kernelIlLi16ELi32ELi8ELc67ELc67ELc76ELb1ELb1E19rocblas_complex_numIdEPKS1_S3_PS1_EviT_T9_T10_S5_lS7_S5_lS6_T11_S5_li.has_recursion, 0
	.set _ZL29rocblas_internal_gemmt_kernelIlLi16ELi32ELi8ELc67ELc67ELc76ELb1ELb1E19rocblas_complex_numIdEPKS1_S3_PS1_EviT_T9_T10_S5_lS7_S5_lS6_T11_S5_li.has_indirect_call, 0
	.section	.AMDGPU.csdata,"",@progbits
; Kernel info:
; codeLenInByte = 2840
; TotalNumSgprs: 46
; NumVgprs: 130
; ScratchSize: 0
; MemoryBound: 1
; FloatMode: 240
; IeeeMode: 1
; LDSByteSize: 8192 bytes/workgroup (compile time only)
; SGPRBlocks: 0
; VGPRBlocks: 8
; NumSGPRsForWavesPerEU: 46
; NumVGPRsForWavesPerEU: 130
; NamedBarCnt: 0
; Occupancy: 7
; WaveLimiterHint : 0
; COMPUTE_PGM_RSRC2:SCRATCH_EN: 0
; COMPUTE_PGM_RSRC2:USER_SGPR: 2
; COMPUTE_PGM_RSRC2:TRAP_HANDLER: 0
; COMPUTE_PGM_RSRC2:TGID_X_EN: 1
; COMPUTE_PGM_RSRC2:TGID_Y_EN: 1
; COMPUTE_PGM_RSRC2:TGID_Z_EN: 1
; COMPUTE_PGM_RSRC2:TIDIG_COMP_CNT: 1
	.section	.text._ZL29rocblas_internal_gemmt_kernelIlLi16ELi32ELi8ELc78ELc78ELc85ELb0ELb0E19rocblas_complex_numIdES1_PKS1_PS1_EviT_T9_T10_S5_lS7_S5_lS6_T11_S5_li,"axG",@progbits,_ZL29rocblas_internal_gemmt_kernelIlLi16ELi32ELi8ELc78ELc78ELc85ELb0ELb0E19rocblas_complex_numIdES1_PKS1_PS1_EviT_T9_T10_S5_lS7_S5_lS6_T11_S5_li,comdat
	.globl	_ZL29rocblas_internal_gemmt_kernelIlLi16ELi32ELi8ELc78ELc78ELc85ELb0ELb0E19rocblas_complex_numIdES1_PKS1_PS1_EviT_T9_T10_S5_lS7_S5_lS6_T11_S5_li ; -- Begin function _ZL29rocblas_internal_gemmt_kernelIlLi16ELi32ELi8ELc78ELc78ELc85ELb0ELb0E19rocblas_complex_numIdES1_PKS1_PS1_EviT_T9_T10_S5_lS7_S5_lS6_T11_S5_li
	.p2align	8
	.type	_ZL29rocblas_internal_gemmt_kernelIlLi16ELi32ELi8ELc78ELc78ELc85ELb0ELb0E19rocblas_complex_numIdES1_PKS1_PS1_EviT_T9_T10_S5_lS7_S5_lS6_T11_S5_li,@function
_ZL29rocblas_internal_gemmt_kernelIlLi16ELi32ELi8ELc78ELc78ELc85ELb0ELb0E19rocblas_complex_numIdES1_PKS1_PS1_EviT_T9_T10_S5_lS7_S5_lS6_T11_S5_li: ; @_ZL29rocblas_internal_gemmt_kernelIlLi16ELi32ELi8ELc78ELc78ELc85ELb0ELb0E19rocblas_complex_numIdES1_PKS1_PS1_EviT_T9_T10_S5_lS7_S5_lS6_T11_S5_li
; %bb.0:
	s_clause 0x1
	s_load_b256 s[20:27], s[0:1], 0x48
	s_load_b512 s[4:19], s[0:1], 0x8
	s_wait_kmcnt 0x0
	v_cmp_eq_f64_e64 s3, s[22:23], 1.0
	v_cmp_eq_f64_e64 s2, s[24:25], 0
	s_and_b32 s3, s3, s2
	s_delay_alu instid0(SALU_CYCLE_1)
	s_and_not1_b32 vcc_lo, exec_lo, s3
	s_mov_b32 s3, -1
	s_cbranch_vccnz .LBB270_3
; %bb.1:
	s_cmp_lg_u64 s[4:5], 0
	s_cbranch_scc0 .LBB270_41
; %bb.2:
	v_cmp_neq_f64_e64 s3, s[6:7], 0
	v_cmp_neq_f64_e64 s28, s[8:9], 0
	s_or_b32 s3, s3, s28
.LBB270_3:
	s_delay_alu instid0(SALU_CYCLE_1)
	s_and_b32 vcc_lo, exec_lo, s3
	s_cbranch_vccz .LBB270_42
; %bb.4:
	s_load_b32 s33, s[0:1], 0x78
	s_bfe_u32 s3, ttmp6, 0x40014
	s_lshr_b32 s28, ttmp7, 16
	s_add_co_i32 s3, s3, 1
	s_bfe_u32 s30, ttmp6, 0x40008
	s_mul_i32 s29, s28, s3
	s_getreg_b32 s3, hwreg(HW_REG_IB_STS2, 6, 4)
	s_add_co_i32 s30, s30, s29
	s_cmp_eq_u32 s3, 0
	s_mov_b32 s35, 0
	s_cselect_b32 s34, s28, s30
	s_wait_kmcnt 0x0
	s_cmp_ge_u32 s34, s33
	s_cbranch_scc1 .LBB270_42
; %bb.5:
	v_and_b32_e32 v9, 0x3ff, v0
	v_bfe_u32 v11, v0, 10, 10
	s_bfe_u32 s28, ttmp6, 0x4000c
	s_bfe_u32 s30, ttmp6, 0x40010
	s_add_co_i32 s28, s28, 1
	s_and_b32 s31, ttmp7, 0xffff
	s_add_co_i32 s30, s30, 1
	v_lshl_add_u32 v8, v11, 4, v9
	s_and_b32 s29, ttmp6, 15
	s_mul_i32 s28, ttmp9, s28
	s_mul_i32 s30, s31, s30
	s_bfe_u32 s36, ttmp6, 0x40004
	s_add_co_i32 s29, s29, s28
	s_add_co_i32 s36, s36, s30
	s_cmp_eq_u32 s3, 0
	v_lshrrev_b32_e32 v16, 3, v8
	s_cselect_b32 s3, s31, s36
	s_cselect_b32 s36, ttmp9, s29
	s_lshl_b32 s3, s3, 5
	s_clause 0x1
	s_load_b128 s[28:31], s[0:1], 0x68
	s_load_b32 s37, s[0:1], 0x0
	v_dual_add_nc_u32 v2, s3, v16 :: v_dual_add_nc_u32 v4, s3, v11
	v_dual_lshlrev_b32 v7, 4, v9 :: v_dual_bitop2_b32 v6, 7, v0 bitop3:0x40
	s_wait_xcnt 0x0
	s_lshl_b32 s0, s36, 5
	s_delay_alu instid0(VALU_DEP_2) | instskip(SKIP_2) | instid1(VALU_DEP_3)
	v_dual_ashrrev_i32 v3, 31, v2 :: v_dual_add_nc_u32 v22, 16, v4
	v_and_b32_e32 v17, 31, v8
	v_dual_ashrrev_i32 v5, 31, v4 :: v_dual_add_nc_u32 v10, s0, v9
	v_mul_u64_e32 v[0:1], s[18:19], v[2:3]
	v_lshlrev_b32_e32 v3, 4, v6
	v_ashrrev_i32_e32 v23, 31, v22
	v_cmp_neq_f64_e64 s38, s[6:7], 0
	v_cmp_neq_f64_e64 s39, s[8:9], 0
	;; [unrolled: 1-line block ×3, first 2 shown]
	v_dual_lshrrev_b32 v8, 5, v8 :: v_dual_bitop2_b32 v18, s0, v17 bitop3:0x54
	s_wait_kmcnt 0x0
	v_mul_u64_e32 v[12:13], s[28:29], v[4:5]
	v_mul_u64_e32 v[14:15], s[28:29], v[22:23]
	v_lshlrev_b32_e32 v5, 4, v17
	v_lshl_or_b32 v3, v16, 7, v3
	v_add_nc_u32_e32 v16, 16, v10
	s_xor_b32 s41, s2, -1
	v_cmp_le_i32_e32 vcc_lo, v10, v4
	v_ashrrev_i32_e32 v19, 31, v18
	v_cmp_gt_i32_e64 s2, s37, v4
	v_cmp_le_i32_e64 s3, v16, v4
	v_cmp_gt_i64_e64 s40, s[4:5], 0
	v_cmp_gt_i32_e64 s0, s37, v18
	v_cmp_le_i32_e64 s18, s37, v18
	v_cmp_gt_i32_e64 s1, s37, v2
	v_ashrrev_i32_e32 v17, 31, v16
	v_lshl_add_u64 v[18:19], v[18:19], 4, s[10:11]
	s_and_b32 s11, s2, vcc_lo
	v_cmp_gt_i32_e32 vcc_lo, s37, v22
	v_lshl_or_b32 v9, v8, 9, v5
	v_add_nc_u32_e32 v42, 0x1000, v3
	v_lshl_add_u32 v43, v11, 7, 0x1000
	v_ashrrev_i32_e32 v11, 31, v10
	s_xor_b32 s1, s1, -1
	v_lshl_add_u64 v[20:21], v[0:1], 4, s[16:17]
	s_and_b32 s16, s2, s3
	v_cmp_le_i32_e64 s2, v10, v22
	v_cmp_le_i32_e64 s3, v16, v22
	v_mov_b32_e32 v1, 0
	s_or_b32 s28, s38, s39
	s_or_b32 s10, s19, s41
	s_and_b32 s17, s28, s40
	s_and_b32 s19, vcc_lo, s2
	s_and_b32 s28, vcc_lo, s3
                                        ; implicit-def: $vgpr22_vgpr23
	s_branch .LBB270_7
.LBB270_6:                              ;   in Loop: Header=BB270_7 Depth=1
	s_wait_xcnt 0x0
	s_or_b32 exec_lo, exec_lo, s2
	s_add_co_i32 s34, s34, 0x10000
	s_delay_alu instid0(SALU_CYCLE_1)
	s_cmp_lt_u32 s34, s33
	s_cbranch_scc0 .LBB270_42
.LBB270_7:                              ; =>This Loop Header: Depth=1
                                        ;     Child Loop BB270_10 Depth 2
	v_mov_b64_e32 v[34:35], 0
	s_and_not1_b32 vcc_lo, exec_lo, s17
	s_cbranch_vccnz .LBB270_20
; %bb.8:                                ;   in Loop: Header=BB270_7 Depth=1
	s_mul_u64 s[2:3], s[20:21], s[34:35]
	s_mul_u64 s[36:37], s[14:15], s[34:35]
	v_mov_b64_e32 v[38:39], 0
	v_mov_b64_e32 v[40:41], 0
	;; [unrolled: 1-line block ×8, first 2 shown]
	v_lshl_add_u64 v[4:5], s[36:37], 4, v[18:19]
	v_lshl_add_u64 v[24:25], s[2:3], 4, v[20:21]
	s_mov_b64 s[2:3], 0
	s_branch .LBB270_10
.LBB270_9:                              ;   in Loop: Header=BB270_10 Depth=2
	s_wait_xcnt 0x0
	s_or_b32 exec_lo, exec_lo, s29
	s_wait_dscnt 0x0
	s_barrier_signal -1
	s_barrier_wait -1
	ds_load_b128 v[44:47], v43
	ds_load_b128 v[48:51], v43 offset:16
	ds_load_b128 v[52:55], v43 offset:32
	;; [unrolled: 1-line block ×3, first 2 shown]
	ds_load_b128 v[60:63], v7
	s_add_nc_u64 s[2:3], s[2:3], 8
	s_delay_alu instid0(SALU_CYCLE_1) | instskip(SKIP_4) | instid1(VALU_DEP_2)
	v_cmp_gt_i64_e64 s29, s[4:5], s[2:3]
	s_and_b32 vcc_lo, exec_lo, s29
	s_wait_dscnt 0x0
	v_mul_f64_e32 v[2:3], v[46:47], v[62:63]
	v_mul_f64_e32 v[64:65], v[44:45], v[62:63]
	v_fma_f64 v[2:3], v[44:45], v[60:61], -v[2:3]
	s_delay_alu instid0(VALU_DEP_2) | instskip(NEXT) | instid1(VALU_DEP_2)
	v_fmac_f64_e32 v[64:65], v[46:47], v[60:61]
	v_add_f64_e32 v[2:3], v[34:35], v[2:3]
	s_delay_alu instid0(VALU_DEP_2) | instskip(SKIP_3) | instid1(VALU_DEP_1)
	v_add_f64_e32 v[64:65], v[64:65], v[36:37]
	ds_load_b128 v[34:37], v7 offset:256
	s_wait_dscnt 0x0
	v_mul_f64_e32 v[66:67], v[46:47], v[36:37]
	v_fma_f64 v[66:67], v[44:45], v[34:35], -v[66:67]
	v_mul_f64_e32 v[44:45], v[44:45], v[36:37]
	s_delay_alu instid0(VALU_DEP_1) | instskip(NEXT) | instid1(VALU_DEP_3)
	v_fmac_f64_e32 v[44:45], v[46:47], v[34:35]
	v_add_f64_e32 v[46:47], v[26:27], v[66:67]
	s_delay_alu instid0(VALU_DEP_2) | instskip(SKIP_4) | instid1(VALU_DEP_2)
	v_add_f64_e32 v[44:45], v[44:45], v[28:29]
	ds_load_b128 v[26:29], v43 offset:2048
	s_wait_dscnt 0x0
	v_mul_f64_e32 v[66:67], v[28:29], v[62:63]
	v_mul_f64_e32 v[62:63], v[26:27], v[62:63]
	v_fma_f64 v[66:67], v[26:27], v[60:61], -v[66:67]
	s_delay_alu instid0(VALU_DEP_2) | instskip(NEXT) | instid1(VALU_DEP_2)
	v_fmac_f64_e32 v[62:63], v[28:29], v[60:61]
	v_add_f64_e32 v[60:61], v[30:31], v[66:67]
	v_mul_f64_e32 v[30:31], v[28:29], v[36:37]
	s_delay_alu instid0(VALU_DEP_3) | instskip(NEXT) | instid1(VALU_DEP_2)
	v_add_f64_e32 v[62:63], v[62:63], v[32:33]
	v_fma_f64 v[30:31], v[26:27], v[34:35], -v[30:31]
	v_mul_f64_e32 v[26:27], v[26:27], v[36:37]
	s_delay_alu instid0(VALU_DEP_2) | instskip(NEXT) | instid1(VALU_DEP_2)
	v_add_f64_e32 v[40:41], v[40:41], v[30:31]
	v_fmac_f64_e32 v[26:27], v[28:29], v[34:35]
	s_delay_alu instid0(VALU_DEP_1) | instskip(SKIP_4) | instid1(VALU_DEP_2)
	v_add_f64_e32 v[38:39], v[26:27], v[38:39]
	ds_load_b128 v[26:29], v7 offset:512
	s_wait_dscnt 0x0
	v_mul_f64_e32 v[30:31], v[50:51], v[28:29]
	v_mul_f64_e32 v[32:33], v[48:49], v[28:29]
	v_fma_f64 v[30:31], v[48:49], v[26:27], -v[30:31]
	s_delay_alu instid0(VALU_DEP_2) | instskip(NEXT) | instid1(VALU_DEP_2)
	v_fmac_f64_e32 v[32:33], v[50:51], v[26:27]
	v_add_f64_e32 v[2:3], v[2:3], v[30:31]
	s_delay_alu instid0(VALU_DEP_2) | instskip(SKIP_4) | instid1(VALU_DEP_2)
	v_add_f64_e32 v[64:65], v[32:33], v[64:65]
	ds_load_b128 v[30:33], v7 offset:768
	s_wait_dscnt 0x0
	v_mul_f64_e32 v[34:35], v[50:51], v[32:33]
	v_mul_f64_e32 v[36:37], v[48:49], v[32:33]
	v_fma_f64 v[34:35], v[48:49], v[30:31], -v[34:35]
	s_delay_alu instid0(VALU_DEP_2) | instskip(NEXT) | instid1(VALU_DEP_2)
	v_fmac_f64_e32 v[36:37], v[50:51], v[30:31]
	v_add_f64_e32 v[46:47], v[46:47], v[34:35]
	s_delay_alu instid0(VALU_DEP_2) | instskip(SKIP_4) | instid1(VALU_DEP_2)
	v_add_f64_e32 v[44:45], v[36:37], v[44:45]
	ds_load_b128 v[34:37], v43 offset:2064
	s_wait_dscnt 0x0
	v_mul_f64_e32 v[48:49], v[36:37], v[28:29]
	v_mul_f64_e32 v[28:29], v[34:35], v[28:29]
	v_fma_f64 v[48:49], v[34:35], v[26:27], -v[48:49]
	s_delay_alu instid0(VALU_DEP_2) | instskip(SKIP_1) | instid1(VALU_DEP_3)
	v_fmac_f64_e32 v[28:29], v[36:37], v[26:27]
	v_mul_f64_e32 v[26:27], v[36:37], v[32:33]
	v_add_f64_e32 v[48:49], v[60:61], v[48:49]
	s_delay_alu instid0(VALU_DEP_3) | instskip(SKIP_1) | instid1(VALU_DEP_4)
	v_add_f64_e32 v[50:51], v[28:29], v[62:63]
	v_mul_f64_e32 v[28:29], v[34:35], v[32:33]
	v_fma_f64 v[26:27], v[34:35], v[30:31], -v[26:27]
	s_delay_alu instid0(VALU_DEP_2) | instskip(NEXT) | instid1(VALU_DEP_2)
	v_fmac_f64_e32 v[28:29], v[36:37], v[30:31]
	v_add_f64_e32 v[40:41], v[40:41], v[26:27]
	s_delay_alu instid0(VALU_DEP_2) | instskip(SKIP_4) | instid1(VALU_DEP_2)
	v_add_f64_e32 v[38:39], v[28:29], v[38:39]
	ds_load_b128 v[26:29], v7 offset:1024
	s_wait_dscnt 0x0
	v_mul_f64_e32 v[30:31], v[54:55], v[28:29]
	v_mul_f64_e32 v[32:33], v[52:53], v[28:29]
	v_fma_f64 v[30:31], v[52:53], v[26:27], -v[30:31]
	s_delay_alu instid0(VALU_DEP_2) | instskip(NEXT) | instid1(VALU_DEP_2)
	v_fmac_f64_e32 v[32:33], v[54:55], v[26:27]
	v_add_f64_e32 v[2:3], v[2:3], v[30:31]
	s_delay_alu instid0(VALU_DEP_2) | instskip(SKIP_4) | instid1(VALU_DEP_2)
	v_add_f64_e32 v[60:61], v[32:33], v[64:65]
	ds_load_b128 v[30:33], v7 offset:1280
	s_wait_dscnt 0x0
	v_mul_f64_e32 v[34:35], v[54:55], v[32:33]
	;; [unrolled: 10-line block ×3, first 2 shown]
	v_mul_f64_e32 v[28:29], v[34:35], v[28:29]
	v_fma_f64 v[52:53], v[34:35], v[26:27], -v[52:53]
	s_delay_alu instid0(VALU_DEP_2) | instskip(SKIP_1) | instid1(VALU_DEP_3)
	v_fmac_f64_e32 v[28:29], v[36:37], v[26:27]
	v_mul_f64_e32 v[26:27], v[36:37], v[32:33]
	v_add_f64_e32 v[48:49], v[48:49], v[52:53]
	s_delay_alu instid0(VALU_DEP_3) | instskip(SKIP_1) | instid1(VALU_DEP_4)
	v_add_f64_e32 v[50:51], v[28:29], v[50:51]
	v_mul_f64_e32 v[28:29], v[34:35], v[32:33]
	v_fma_f64 v[26:27], v[34:35], v[30:31], -v[26:27]
	s_delay_alu instid0(VALU_DEP_2) | instskip(NEXT) | instid1(VALU_DEP_2)
	v_fmac_f64_e32 v[28:29], v[36:37], v[30:31]
	v_add_f64_e32 v[40:41], v[40:41], v[26:27]
	s_delay_alu instid0(VALU_DEP_2) | instskip(SKIP_4) | instid1(VALU_DEP_2)
	v_add_f64_e32 v[38:39], v[28:29], v[38:39]
	ds_load_b128 v[26:29], v7 offset:1536
	s_wait_dscnt 0x0
	v_mul_f64_e32 v[30:31], v[58:59], v[28:29]
	v_mul_f64_e32 v[32:33], v[56:57], v[28:29]
	v_fma_f64 v[30:31], v[56:57], v[26:27], -v[30:31]
	s_delay_alu instid0(VALU_DEP_2) | instskip(NEXT) | instid1(VALU_DEP_2)
	v_fmac_f64_e32 v[32:33], v[58:59], v[26:27]
	v_add_f64_e32 v[2:3], v[2:3], v[30:31]
	s_delay_alu instid0(VALU_DEP_2) | instskip(SKIP_4) | instid1(VALU_DEP_2)
	v_add_f64_e32 v[52:53], v[32:33], v[60:61]
	ds_load_b128 v[30:33], v7 offset:1792
	s_wait_dscnt 0x0
	v_mul_f64_e32 v[34:35], v[58:59], v[32:33]
	;; [unrolled: 10-line block ×3, first 2 shown]
	v_mul_f64_e32 v[28:29], v[34:35], v[28:29]
	v_fma_f64 v[54:55], v[34:35], v[26:27], -v[54:55]
	s_delay_alu instid0(VALU_DEP_2) | instskip(SKIP_1) | instid1(VALU_DEP_3)
	v_fmac_f64_e32 v[28:29], v[36:37], v[26:27]
	v_mul_f64_e32 v[26:27], v[36:37], v[32:33]
	v_add_f64_e32 v[48:49], v[48:49], v[54:55]
	s_delay_alu instid0(VALU_DEP_3) | instskip(SKIP_1) | instid1(VALU_DEP_4)
	v_add_f64_e32 v[50:51], v[28:29], v[50:51]
	v_mul_f64_e32 v[28:29], v[34:35], v[32:33]
	v_fma_f64 v[26:27], v[34:35], v[30:31], -v[26:27]
	s_delay_alu instid0(VALU_DEP_2) | instskip(NEXT) | instid1(VALU_DEP_2)
	v_fmac_f64_e32 v[28:29], v[36:37], v[30:31]
	v_add_f64_e32 v[40:41], v[40:41], v[26:27]
	s_delay_alu instid0(VALU_DEP_2)
	v_add_f64_e32 v[38:39], v[28:29], v[38:39]
	ds_load_b128 v[26:29], v43 offset:64
	ds_load_b128 v[30:33], v7 offset:2048
	s_wait_dscnt 0x0
	v_mul_f64_e32 v[34:35], v[28:29], v[32:33]
	v_mul_f64_e32 v[36:37], v[26:27], v[32:33]
	s_delay_alu instid0(VALU_DEP_2) | instskip(NEXT) | instid1(VALU_DEP_2)
	v_fma_f64 v[34:35], v[26:27], v[30:31], -v[34:35]
	v_fmac_f64_e32 v[36:37], v[28:29], v[30:31]
	s_delay_alu instid0(VALU_DEP_2) | instskip(NEXT) | instid1(VALU_DEP_2)
	v_add_f64_e32 v[2:3], v[2:3], v[34:35]
	v_add_f64_e32 v[52:53], v[36:37], v[52:53]
	ds_load_b128 v[34:37], v7 offset:2304
	s_wait_dscnt 0x0
	v_mul_f64_e32 v[54:55], v[28:29], v[36:37]
	s_delay_alu instid0(VALU_DEP_1) | instskip(SKIP_1) | instid1(VALU_DEP_2)
	v_fma_f64 v[54:55], v[26:27], v[34:35], -v[54:55]
	v_mul_f64_e32 v[26:27], v[26:27], v[36:37]
	v_add_f64_e32 v[46:47], v[46:47], v[54:55]
	s_delay_alu instid0(VALU_DEP_2) | instskip(NEXT) | instid1(VALU_DEP_1)
	v_fmac_f64_e32 v[26:27], v[28:29], v[34:35]
	v_add_f64_e32 v[44:45], v[26:27], v[44:45]
	ds_load_b128 v[26:29], v43 offset:2112
	s_wait_dscnt 0x0
	v_mul_f64_e32 v[54:55], v[28:29], v[32:33]
	v_mul_f64_e32 v[32:33], v[26:27], v[32:33]
	s_delay_alu instid0(VALU_DEP_2) | instskip(NEXT) | instid1(VALU_DEP_2)
	v_fma_f64 v[54:55], v[26:27], v[30:31], -v[54:55]
	v_fmac_f64_e32 v[32:33], v[28:29], v[30:31]
	v_mul_f64_e32 v[30:31], v[28:29], v[36:37]
	s_delay_alu instid0(VALU_DEP_3) | instskip(NEXT) | instid1(VALU_DEP_3)
	v_add_f64_e32 v[48:49], v[48:49], v[54:55]
	v_add_f64_e32 v[50:51], v[32:33], v[50:51]
	s_delay_alu instid0(VALU_DEP_3) | instskip(SKIP_1) | instid1(VALU_DEP_2)
	v_fma_f64 v[30:31], v[26:27], v[34:35], -v[30:31]
	v_mul_f64_e32 v[26:27], v[26:27], v[36:37]
	v_add_f64_e32 v[40:41], v[40:41], v[30:31]
	s_delay_alu instid0(VALU_DEP_2) | instskip(NEXT) | instid1(VALU_DEP_1)
	v_fmac_f64_e32 v[26:27], v[28:29], v[34:35]
	v_add_f64_e32 v[38:39], v[26:27], v[38:39]
	ds_load_b128 v[26:29], v43 offset:80
	ds_load_b128 v[30:33], v7 offset:2560
	s_wait_dscnt 0x0
	v_mul_f64_e32 v[34:35], v[28:29], v[32:33]
	v_mul_f64_e32 v[36:37], v[26:27], v[32:33]
	s_delay_alu instid0(VALU_DEP_2) | instskip(NEXT) | instid1(VALU_DEP_2)
	v_fma_f64 v[34:35], v[26:27], v[30:31], -v[34:35]
	v_fmac_f64_e32 v[36:37], v[28:29], v[30:31]
	s_delay_alu instid0(VALU_DEP_2) | instskip(NEXT) | instid1(VALU_DEP_2)
	v_add_f64_e32 v[2:3], v[2:3], v[34:35]
	v_add_f64_e32 v[52:53], v[36:37], v[52:53]
	ds_load_b128 v[34:37], v7 offset:2816
	s_wait_dscnt 0x0
	v_mul_f64_e32 v[54:55], v[28:29], v[36:37]
	s_delay_alu instid0(VALU_DEP_1) | instskip(SKIP_1) | instid1(VALU_DEP_2)
	v_fma_f64 v[54:55], v[26:27], v[34:35], -v[54:55]
	v_mul_f64_e32 v[26:27], v[26:27], v[36:37]
	v_add_f64_e32 v[46:47], v[46:47], v[54:55]
	s_delay_alu instid0(VALU_DEP_2) | instskip(NEXT) | instid1(VALU_DEP_1)
	v_fmac_f64_e32 v[26:27], v[28:29], v[34:35]
	v_add_f64_e32 v[44:45], v[26:27], v[44:45]
	ds_load_b128 v[26:29], v43 offset:2128
	s_wait_dscnt 0x0
	v_mul_f64_e32 v[54:55], v[28:29], v[32:33]
	v_mul_f64_e32 v[32:33], v[26:27], v[32:33]
	s_delay_alu instid0(VALU_DEP_2) | instskip(NEXT) | instid1(VALU_DEP_2)
	v_fma_f64 v[54:55], v[26:27], v[30:31], -v[54:55]
	v_fmac_f64_e32 v[32:33], v[28:29], v[30:31]
	v_mul_f64_e32 v[30:31], v[28:29], v[36:37]
	s_delay_alu instid0(VALU_DEP_3) | instskip(NEXT) | instid1(VALU_DEP_3)
	v_add_f64_e32 v[48:49], v[48:49], v[54:55]
	v_add_f64_e32 v[50:51], v[32:33], v[50:51]
	s_delay_alu instid0(VALU_DEP_3) | instskip(SKIP_1) | instid1(VALU_DEP_2)
	v_fma_f64 v[30:31], v[26:27], v[34:35], -v[30:31]
	v_mul_f64_e32 v[26:27], v[26:27], v[36:37]
	v_add_f64_e32 v[40:41], v[40:41], v[30:31]
	s_delay_alu instid0(VALU_DEP_2) | instskip(NEXT) | instid1(VALU_DEP_1)
	v_fmac_f64_e32 v[26:27], v[28:29], v[34:35]
	v_add_f64_e32 v[38:39], v[26:27], v[38:39]
	ds_load_b128 v[26:29], v43 offset:96
	ds_load_b128 v[30:33], v7 offset:3072
	s_wait_dscnt 0x0
	v_mul_f64_e32 v[34:35], v[28:29], v[32:33]
	v_mul_f64_e32 v[36:37], v[26:27], v[32:33]
	s_delay_alu instid0(VALU_DEP_2) | instskip(NEXT) | instid1(VALU_DEP_2)
	v_fma_f64 v[34:35], v[26:27], v[30:31], -v[34:35]
	v_fmac_f64_e32 v[36:37], v[28:29], v[30:31]
	s_delay_alu instid0(VALU_DEP_2) | instskip(NEXT) | instid1(VALU_DEP_2)
	v_add_f64_e32 v[2:3], v[2:3], v[34:35]
	v_add_f64_e32 v[52:53], v[36:37], v[52:53]
	ds_load_b128 v[34:37], v7 offset:3328
	s_wait_dscnt 0x0
	v_mul_f64_e32 v[54:55], v[28:29], v[36:37]
	s_delay_alu instid0(VALU_DEP_1) | instskip(SKIP_1) | instid1(VALU_DEP_2)
	v_fma_f64 v[54:55], v[26:27], v[34:35], -v[54:55]
	v_mul_f64_e32 v[26:27], v[26:27], v[36:37]
	v_add_f64_e32 v[46:47], v[46:47], v[54:55]
	s_delay_alu instid0(VALU_DEP_2) | instskip(NEXT) | instid1(VALU_DEP_1)
	v_fmac_f64_e32 v[26:27], v[28:29], v[34:35]
	v_add_f64_e32 v[44:45], v[26:27], v[44:45]
	ds_load_b128 v[26:29], v43 offset:2144
	s_wait_dscnt 0x0
	v_mul_f64_e32 v[54:55], v[28:29], v[32:33]
	v_mul_f64_e32 v[32:33], v[26:27], v[32:33]
	s_delay_alu instid0(VALU_DEP_2) | instskip(NEXT) | instid1(VALU_DEP_2)
	v_fma_f64 v[54:55], v[26:27], v[30:31], -v[54:55]
	v_fmac_f64_e32 v[32:33], v[28:29], v[30:31]
	v_mul_f64_e32 v[30:31], v[28:29], v[36:37]
	s_delay_alu instid0(VALU_DEP_3) | instskip(NEXT) | instid1(VALU_DEP_3)
	v_add_f64_e32 v[48:49], v[48:49], v[54:55]
	v_add_f64_e32 v[50:51], v[32:33], v[50:51]
	s_delay_alu instid0(VALU_DEP_3) | instskip(SKIP_1) | instid1(VALU_DEP_2)
	v_fma_f64 v[30:31], v[26:27], v[34:35], -v[30:31]
	v_mul_f64_e32 v[26:27], v[26:27], v[36:37]
	v_add_f64_e32 v[54:55], v[40:41], v[30:31]
	s_delay_alu instid0(VALU_DEP_2) | instskip(NEXT) | instid1(VALU_DEP_1)
	v_fmac_f64_e32 v[26:27], v[28:29], v[34:35]
	v_add_f64_e32 v[56:57], v[26:27], v[38:39]
	ds_load_b128 v[26:29], v43 offset:112
	ds_load_b128 v[30:33], v7 offset:3584
	;; [unrolled: 1-line block ×3, first 2 shown]
	s_wait_dscnt 0x1
	v_mul_f64_e32 v[34:35], v[28:29], v[32:33]
	v_mul_f64_e32 v[36:37], v[26:27], v[32:33]
	s_delay_alu instid0(VALU_DEP_2) | instskip(NEXT) | instid1(VALU_DEP_2)
	v_fma_f64 v[34:35], v[26:27], v[30:31], -v[34:35]
	v_fmac_f64_e32 v[36:37], v[28:29], v[30:31]
	s_delay_alu instid0(VALU_DEP_2) | instskip(NEXT) | instid1(VALU_DEP_2)
	v_add_f64_e32 v[34:35], v[2:3], v[34:35]
	v_add_f64_e32 v[36:37], v[36:37], v[52:53]
	s_wait_dscnt 0x0
	v_mul_f64_e32 v[2:3], v[28:29], v[40:41]
	v_mul_f64_e32 v[52:53], v[26:27], v[40:41]
	s_delay_alu instid0(VALU_DEP_2) | instskip(NEXT) | instid1(VALU_DEP_2)
	v_fma_f64 v[2:3], v[26:27], v[38:39], -v[2:3]
	v_fmac_f64_e32 v[52:53], v[28:29], v[38:39]
	s_delay_alu instid0(VALU_DEP_2) | instskip(NEXT) | instid1(VALU_DEP_2)
	v_add_f64_e32 v[26:27], v[46:47], v[2:3]
	v_add_f64_e32 v[28:29], v[52:53], v[44:45]
	ds_load_b128 v[44:47], v43 offset:2160
	s_wait_dscnt 0x0
	s_barrier_signal -1
	s_barrier_wait -1
	v_mul_f64_e32 v[2:3], v[46:47], v[32:33]
	v_mul_f64_e32 v[32:33], v[44:45], v[32:33]
	s_delay_alu instid0(VALU_DEP_2) | instskip(NEXT) | instid1(VALU_DEP_2)
	v_fma_f64 v[2:3], v[44:45], v[30:31], -v[2:3]
	v_fmac_f64_e32 v[32:33], v[46:47], v[30:31]
	s_delay_alu instid0(VALU_DEP_2) | instskip(SKIP_1) | instid1(VALU_DEP_3)
	v_add_f64_e32 v[30:31], v[48:49], v[2:3]
	v_mul_f64_e32 v[2:3], v[46:47], v[40:41]
	v_add_f64_e32 v[32:33], v[32:33], v[50:51]
	s_delay_alu instid0(VALU_DEP_2) | instskip(SKIP_1) | instid1(VALU_DEP_2)
	v_fma_f64 v[2:3], v[44:45], v[38:39], -v[2:3]
	v_mul_f64_e32 v[44:45], v[44:45], v[40:41]
	v_add_f64_e32 v[40:41], v[54:55], v[2:3]
	s_delay_alu instid0(VALU_DEP_2) | instskip(NEXT) | instid1(VALU_DEP_1)
	v_fmac_f64_e32 v[44:45], v[46:47], v[38:39]
	v_add_f64_e32 v[38:39], v[44:45], v[56:57]
	s_cbranch_vccz .LBB270_21
.LBB270_10:                             ;   Parent Loop BB270_7 Depth=1
                                        ; =>  This Inner Loop Header: Depth=2
	s_mov_b32 s29, 0
	s_mov_b32 s37, s18
	s_and_saveexec_b32 s36, s0
	s_cbranch_execnz .LBB270_18
; %bb.11:                               ;   in Loop: Header=BB270_10 Depth=2
	s_or_b32 exec_lo, exec_lo, s36
	s_and_saveexec_b32 s36, s37
	s_delay_alu instid0(SALU_CYCLE_1)
	s_xor_b32 s36, exec_lo, s36
	s_cbranch_execnz .LBB270_19
.LBB270_12:                             ;   in Loop: Header=BB270_10 Depth=2
	s_or_b32 exec_lo, exec_lo, s36
	s_and_saveexec_b32 s36, s29
	s_cbranch_execz .LBB270_14
.LBB270_13:                             ;   in Loop: Header=BB270_10 Depth=2
	v_mul_u64_e32 v[2:3], s[12:13], v[22:23]
	s_delay_alu instid0(VALU_DEP_1)
	v_lshl_add_u64 v[2:3], v[2:3], 4, v[4:5]
	global_load_b128 v[44:47], v[2:3], off
	s_wait_loadcnt 0x0
	ds_store_2addr_b64 v9, v[44:45], v[46:47] offset1:1
.LBB270_14:                             ;   in Loop: Header=BB270_10 Depth=2
	s_wait_xcnt 0x0
	s_or_b32 exec_lo, exec_lo, s36
	v_add_nc_u32_e32 v0, s2, v6
	s_delay_alu instid0(VALU_DEP_1) | instskip(SKIP_1) | instid1(SALU_CYCLE_1)
	v_cmp_le_u64_e32 vcc_lo, s[4:5], v[0:1]
	s_or_b32 s29, vcc_lo, s1
	s_and_saveexec_b32 s36, s29
	s_delay_alu instid0(SALU_CYCLE_1)
	s_xor_b32 s29, exec_lo, s36
; %bb.15:                               ;   in Loop: Header=BB270_10 Depth=2
	v_dual_mov_b32 v0, v1 :: v_dual_mov_b32 v2, v1
	v_mov_b32_e32 v3, v1
	ds_store_b128 v42, v[0:3]
; %bb.16:                               ;   in Loop: Header=BB270_10 Depth=2
	s_and_not1_saveexec_b32 s29, s29
	s_cbranch_execz .LBB270_9
; %bb.17:                               ;   in Loop: Header=BB270_10 Depth=2
	v_lshl_add_u64 v[2:3], v[0:1], 4, v[24:25]
	global_load_b128 v[44:47], v[2:3], off
	s_wait_loadcnt 0x0
	ds_store_2addr_b64 v42, v[44:45], v[46:47] offset1:1
	s_branch .LBB270_9
.LBB270_18:                             ;   in Loop: Header=BB270_10 Depth=2
	v_add_nc_u32_e32 v0, s2, v8
	s_and_not1_b32 s37, s18, exec_lo
	s_mov_b32 s29, exec_lo
	s_delay_alu instid0(VALU_DEP_1) | instskip(SKIP_2) | instid1(SALU_CYCLE_1)
	v_cmp_le_u64_e32 vcc_lo, s[4:5], v[0:1]
	v_mov_b64_e32 v[22:23], v[0:1]
	s_and_b32 s38, vcc_lo, exec_lo
	s_or_b32 s37, s37, s38
	s_or_b32 exec_lo, exec_lo, s36
	s_and_saveexec_b32 s36, s37
	s_delay_alu instid0(SALU_CYCLE_1)
	s_xor_b32 s36, exec_lo, s36
	s_cbranch_execz .LBB270_12
.LBB270_19:                             ;   in Loop: Header=BB270_10 Depth=2
	v_dual_mov_b32 v0, v1 :: v_dual_mov_b32 v2, v1
	v_mov_b32_e32 v3, v1
	s_and_not1_b32 s29, s29, exec_lo
	ds_store_b128 v9, v[0:3]
	s_or_b32 exec_lo, exec_lo, s36
	s_and_saveexec_b32 s36, s29
	s_cbranch_execnz .LBB270_13
	s_branch .LBB270_14
.LBB270_20:                             ;   in Loop: Header=BB270_7 Depth=1
	v_mov_b64_e32 v[36:37], 0
	v_mov_b64_e32 v[26:27], 0
	;; [unrolled: 1-line block ×7, first 2 shown]
.LBB270_21:                             ;   in Loop: Header=BB270_7 Depth=1
	s_mul_u64 s[2:3], s[30:31], s[34:35]
	s_delay_alu instid0(SALU_CYCLE_1) | instskip(NEXT) | instid1(SALU_CYCLE_1)
	s_lshl_b64 s[2:3], s[2:3], 4
	s_add_nc_u64 s[2:3], s[26:27], s[2:3]
	s_delay_alu instid0(SALU_CYCLE_1)
	v_lshl_add_u64 v[24:25], v[12:13], 4, s[2:3]
	s_and_saveexec_b32 s29, s11
	s_cbranch_execz .LBB270_26
; %bb.22:                               ;   in Loop: Header=BB270_7 Depth=1
	v_mul_f64_e32 v[2:3], s[8:9], v[36:37]
	v_mul_f64_e32 v[4:5], s[6:7], v[36:37]
	s_and_b32 vcc_lo, exec_lo, s10
	s_mov_b32 s36, -1
	s_delay_alu instid0(VALU_DEP_2) | instskip(NEXT) | instid1(VALU_DEP_2)
	v_fma_f64 v[2:3], s[6:7], v[34:35], -v[2:3]
	v_fmac_f64_e32 v[4:5], s[8:9], v[34:35]
	v_lshl_add_u64 v[34:35], v[10:11], 4, v[24:25]
	s_cbranch_vccz .LBB270_24
; %bb.23:                               ;   in Loop: Header=BB270_7 Depth=1
	global_load_b128 v[44:47], v[34:35], off
	s_mov_b32 s36, 0
	s_wait_loadcnt 0x0
	v_mul_f64_e32 v[36:37], s[24:25], v[46:47]
	v_mul_f64_e32 v[46:47], s[22:23], v[46:47]
	s_delay_alu instid0(VALU_DEP_2) | instskip(NEXT) | instid1(VALU_DEP_2)
	v_fma_f64 v[36:37], s[22:23], v[44:45], -v[36:37]
	v_fmac_f64_e32 v[46:47], s[24:25], v[44:45]
	s_delay_alu instid0(VALU_DEP_2) | instskip(NEXT) | instid1(VALU_DEP_2)
	v_add_f64_e32 v[44:45], v[2:3], v[36:37]
	v_add_f64_e32 v[46:47], v[4:5], v[46:47]
	global_store_b128 v[34:35], v[44:47], off
.LBB270_24:                             ;   in Loop: Header=BB270_7 Depth=1
	s_and_not1_b32 vcc_lo, exec_lo, s36
	s_cbranch_vccnz .LBB270_26
; %bb.25:                               ;   in Loop: Header=BB270_7 Depth=1
	global_store_b128 v[34:35], v[2:5], off
.LBB270_26:                             ;   in Loop: Header=BB270_7 Depth=1
	s_wait_xcnt 0x0
	s_or_b32 exec_lo, exec_lo, s29
	s_and_saveexec_b32 s29, s16
	s_cbranch_execz .LBB270_31
; %bb.27:                               ;   in Loop: Header=BB270_7 Depth=1
	v_mul_f64_e32 v[2:3], s[8:9], v[28:29]
	v_mul_f64_e32 v[4:5], s[6:7], v[28:29]
	v_lshl_add_u64 v[24:25], v[16:17], 4, v[24:25]
	s_and_not1_b32 vcc_lo, exec_lo, s10
	s_mov_b32 s36, -1
	s_delay_alu instid0(VALU_DEP_3) | instskip(NEXT) | instid1(VALU_DEP_3)
	v_fma_f64 v[2:3], s[6:7], v[26:27], -v[2:3]
	v_fmac_f64_e32 v[4:5], s[8:9], v[26:27]
	s_cbranch_vccnz .LBB270_29
; %bb.28:                               ;   in Loop: Header=BB270_7 Depth=1
	global_load_b128 v[26:29], v[24:25], off
	s_mov_b32 s36, 0
	s_wait_loadcnt 0x0
	v_mul_f64_e32 v[34:35], s[24:25], v[28:29]
	v_mul_f64_e32 v[28:29], s[22:23], v[28:29]
	s_delay_alu instid0(VALU_DEP_2) | instskip(NEXT) | instid1(VALU_DEP_2)
	v_fma_f64 v[34:35], s[22:23], v[26:27], -v[34:35]
	v_fmac_f64_e32 v[28:29], s[24:25], v[26:27]
	s_delay_alu instid0(VALU_DEP_2) | instskip(NEXT) | instid1(VALU_DEP_2)
	v_add_f64_e32 v[26:27], v[2:3], v[34:35]
	v_add_f64_e32 v[28:29], v[4:5], v[28:29]
	global_store_b128 v[24:25], v[26:29], off
.LBB270_29:                             ;   in Loop: Header=BB270_7 Depth=1
	s_and_not1_b32 vcc_lo, exec_lo, s36
	s_cbranch_vccnz .LBB270_31
; %bb.30:                               ;   in Loop: Header=BB270_7 Depth=1
	global_store_b128 v[24:25], v[2:5], off
.LBB270_31:                             ;   in Loop: Header=BB270_7 Depth=1
	s_wait_xcnt 0x0
	s_or_b32 exec_lo, exec_lo, s29
	v_lshl_add_u64 v[24:25], v[14:15], 4, s[2:3]
	s_and_saveexec_b32 s2, s19
	s_cbranch_execz .LBB270_36
; %bb.32:                               ;   in Loop: Header=BB270_7 Depth=1
	v_mul_f64_e32 v[2:3], s[8:9], v[32:33]
	v_mul_f64_e32 v[4:5], s[6:7], v[32:33]
	v_lshl_add_u64 v[26:27], v[10:11], 4, v[24:25]
	s_and_not1_b32 vcc_lo, exec_lo, s10
	s_mov_b32 s3, -1
	s_delay_alu instid0(VALU_DEP_3) | instskip(NEXT) | instid1(VALU_DEP_3)
	v_fma_f64 v[2:3], s[6:7], v[30:31], -v[2:3]
	v_fmac_f64_e32 v[4:5], s[8:9], v[30:31]
	s_cbranch_vccnz .LBB270_34
; %bb.33:                               ;   in Loop: Header=BB270_7 Depth=1
	global_load_b128 v[28:31], v[26:27], off
	s_mov_b32 s3, 0
	s_wait_loadcnt 0x0
	v_mul_f64_e32 v[32:33], s[24:25], v[30:31]
	v_mul_f64_e32 v[30:31], s[22:23], v[30:31]
	s_delay_alu instid0(VALU_DEP_2) | instskip(NEXT) | instid1(VALU_DEP_2)
	v_fma_f64 v[32:33], s[22:23], v[28:29], -v[32:33]
	v_fmac_f64_e32 v[30:31], s[24:25], v[28:29]
	s_delay_alu instid0(VALU_DEP_2) | instskip(NEXT) | instid1(VALU_DEP_2)
	v_add_f64_e32 v[28:29], v[2:3], v[32:33]
	v_add_f64_e32 v[30:31], v[4:5], v[30:31]
	global_store_b128 v[26:27], v[28:31], off
.LBB270_34:                             ;   in Loop: Header=BB270_7 Depth=1
	s_and_not1_b32 vcc_lo, exec_lo, s3
	s_cbranch_vccnz .LBB270_36
; %bb.35:                               ;   in Loop: Header=BB270_7 Depth=1
	global_store_b128 v[26:27], v[2:5], off
.LBB270_36:                             ;   in Loop: Header=BB270_7 Depth=1
	s_wait_xcnt 0x0
	s_or_b32 exec_lo, exec_lo, s2
	s_and_saveexec_b32 s2, s28
	s_cbranch_execz .LBB270_6
; %bb.37:                               ;   in Loop: Header=BB270_7 Depth=1
	s_delay_alu instid0(VALU_DEP_3) | instskip(SKIP_4) | instid1(VALU_DEP_3)
	v_mul_f64_e32 v[2:3], s[8:9], v[38:39]
	v_mul_f64_e32 v[4:5], s[6:7], v[38:39]
	v_lshl_add_u64 v[24:25], v[16:17], 4, v[24:25]
	s_and_not1_b32 vcc_lo, exec_lo, s10
	s_mov_b32 s3, -1
	v_fma_f64 v[2:3], s[6:7], v[40:41], -v[2:3]
	s_delay_alu instid0(VALU_DEP_3)
	v_fmac_f64_e32 v[4:5], s[8:9], v[40:41]
	s_cbranch_vccnz .LBB270_39
; %bb.38:                               ;   in Loop: Header=BB270_7 Depth=1
	global_load_b128 v[26:29], v[24:25], off
	s_mov_b32 s3, 0
	s_wait_loadcnt 0x0
	v_mul_f64_e32 v[30:31], s[24:25], v[28:29]
	v_mul_f64_e32 v[28:29], s[22:23], v[28:29]
	s_delay_alu instid0(VALU_DEP_2) | instskip(NEXT) | instid1(VALU_DEP_2)
	v_fma_f64 v[30:31], s[22:23], v[26:27], -v[30:31]
	v_fmac_f64_e32 v[28:29], s[24:25], v[26:27]
	s_delay_alu instid0(VALU_DEP_2) | instskip(NEXT) | instid1(VALU_DEP_2)
	v_add_f64_e32 v[26:27], v[2:3], v[30:31]
	v_add_f64_e32 v[28:29], v[4:5], v[28:29]
	global_store_b128 v[24:25], v[26:29], off
.LBB270_39:                             ;   in Loop: Header=BB270_7 Depth=1
	s_and_not1_b32 vcc_lo, exec_lo, s3
	s_cbranch_vccnz .LBB270_6
; %bb.40:                               ;   in Loop: Header=BB270_7 Depth=1
	global_store_b128 v[24:25], v[2:5], off
	s_branch .LBB270_6
.LBB270_41:
.LBB270_42:
	s_sendmsg sendmsg(MSG_DEALLOC_VGPRS)
	s_endpgm
	.section	.rodata,"a",@progbits
	.p2align	6, 0x0
	.amdhsa_kernel _ZL29rocblas_internal_gemmt_kernelIlLi16ELi32ELi8ELc78ELc78ELc85ELb0ELb0E19rocblas_complex_numIdES1_PKS1_PS1_EviT_T9_T10_S5_lS7_S5_lS6_T11_S5_li
		.amdhsa_group_segment_fixed_size 8192
		.amdhsa_private_segment_fixed_size 0
		.amdhsa_kernarg_size 124
		.amdhsa_user_sgpr_count 2
		.amdhsa_user_sgpr_dispatch_ptr 0
		.amdhsa_user_sgpr_queue_ptr 0
		.amdhsa_user_sgpr_kernarg_segment_ptr 1
		.amdhsa_user_sgpr_dispatch_id 0
		.amdhsa_user_sgpr_kernarg_preload_length 0
		.amdhsa_user_sgpr_kernarg_preload_offset 0
		.amdhsa_user_sgpr_private_segment_size 0
		.amdhsa_wavefront_size32 1
		.amdhsa_uses_dynamic_stack 0
		.amdhsa_enable_private_segment 0
		.amdhsa_system_sgpr_workgroup_id_x 1
		.amdhsa_system_sgpr_workgroup_id_y 1
		.amdhsa_system_sgpr_workgroup_id_z 1
		.amdhsa_system_sgpr_workgroup_info 0
		.amdhsa_system_vgpr_workitem_id 1
		.amdhsa_next_free_vgpr 68
		.amdhsa_next_free_sgpr 42
		.amdhsa_named_barrier_count 0
		.amdhsa_reserve_vcc 1
		.amdhsa_float_round_mode_32 0
		.amdhsa_float_round_mode_16_64 0
		.amdhsa_float_denorm_mode_32 3
		.amdhsa_float_denorm_mode_16_64 3
		.amdhsa_fp16_overflow 0
		.amdhsa_memory_ordered 1
		.amdhsa_forward_progress 1
		.amdhsa_inst_pref_size 26
		.amdhsa_round_robin_scheduling 0
		.amdhsa_exception_fp_ieee_invalid_op 0
		.amdhsa_exception_fp_denorm_src 0
		.amdhsa_exception_fp_ieee_div_zero 0
		.amdhsa_exception_fp_ieee_overflow 0
		.amdhsa_exception_fp_ieee_underflow 0
		.amdhsa_exception_fp_ieee_inexact 0
		.amdhsa_exception_int_div_zero 0
	.end_amdhsa_kernel
	.section	.text._ZL29rocblas_internal_gemmt_kernelIlLi16ELi32ELi8ELc78ELc78ELc85ELb0ELb0E19rocblas_complex_numIdES1_PKS1_PS1_EviT_T9_T10_S5_lS7_S5_lS6_T11_S5_li,"axG",@progbits,_ZL29rocblas_internal_gemmt_kernelIlLi16ELi32ELi8ELc78ELc78ELc85ELb0ELb0E19rocblas_complex_numIdES1_PKS1_PS1_EviT_T9_T10_S5_lS7_S5_lS6_T11_S5_li,comdat
.Lfunc_end270:
	.size	_ZL29rocblas_internal_gemmt_kernelIlLi16ELi32ELi8ELc78ELc78ELc85ELb0ELb0E19rocblas_complex_numIdES1_PKS1_PS1_EviT_T9_T10_S5_lS7_S5_lS6_T11_S5_li, .Lfunc_end270-_ZL29rocblas_internal_gemmt_kernelIlLi16ELi32ELi8ELc78ELc78ELc85ELb0ELb0E19rocblas_complex_numIdES1_PKS1_PS1_EviT_T9_T10_S5_lS7_S5_lS6_T11_S5_li
                                        ; -- End function
	.set _ZL29rocblas_internal_gemmt_kernelIlLi16ELi32ELi8ELc78ELc78ELc85ELb0ELb0E19rocblas_complex_numIdES1_PKS1_PS1_EviT_T9_T10_S5_lS7_S5_lS6_T11_S5_li.num_vgpr, 68
	.set _ZL29rocblas_internal_gemmt_kernelIlLi16ELi32ELi8ELc78ELc78ELc85ELb0ELb0E19rocblas_complex_numIdES1_PKS1_PS1_EviT_T9_T10_S5_lS7_S5_lS6_T11_S5_li.num_agpr, 0
	.set _ZL29rocblas_internal_gemmt_kernelIlLi16ELi32ELi8ELc78ELc78ELc85ELb0ELb0E19rocblas_complex_numIdES1_PKS1_PS1_EviT_T9_T10_S5_lS7_S5_lS6_T11_S5_li.numbered_sgpr, 42
	.set _ZL29rocblas_internal_gemmt_kernelIlLi16ELi32ELi8ELc78ELc78ELc85ELb0ELb0E19rocblas_complex_numIdES1_PKS1_PS1_EviT_T9_T10_S5_lS7_S5_lS6_T11_S5_li.num_named_barrier, 0
	.set _ZL29rocblas_internal_gemmt_kernelIlLi16ELi32ELi8ELc78ELc78ELc85ELb0ELb0E19rocblas_complex_numIdES1_PKS1_PS1_EviT_T9_T10_S5_lS7_S5_lS6_T11_S5_li.private_seg_size, 0
	.set _ZL29rocblas_internal_gemmt_kernelIlLi16ELi32ELi8ELc78ELc78ELc85ELb0ELb0E19rocblas_complex_numIdES1_PKS1_PS1_EviT_T9_T10_S5_lS7_S5_lS6_T11_S5_li.uses_vcc, 1
	.set _ZL29rocblas_internal_gemmt_kernelIlLi16ELi32ELi8ELc78ELc78ELc85ELb0ELb0E19rocblas_complex_numIdES1_PKS1_PS1_EviT_T9_T10_S5_lS7_S5_lS6_T11_S5_li.uses_flat_scratch, 0
	.set _ZL29rocblas_internal_gemmt_kernelIlLi16ELi32ELi8ELc78ELc78ELc85ELb0ELb0E19rocblas_complex_numIdES1_PKS1_PS1_EviT_T9_T10_S5_lS7_S5_lS6_T11_S5_li.has_dyn_sized_stack, 0
	.set _ZL29rocblas_internal_gemmt_kernelIlLi16ELi32ELi8ELc78ELc78ELc85ELb0ELb0E19rocblas_complex_numIdES1_PKS1_PS1_EviT_T9_T10_S5_lS7_S5_lS6_T11_S5_li.has_recursion, 0
	.set _ZL29rocblas_internal_gemmt_kernelIlLi16ELi32ELi8ELc78ELc78ELc85ELb0ELb0E19rocblas_complex_numIdES1_PKS1_PS1_EviT_T9_T10_S5_lS7_S5_lS6_T11_S5_li.has_indirect_call, 0
	.section	.AMDGPU.csdata,"",@progbits
; Kernel info:
; codeLenInByte = 3216
; TotalNumSgprs: 44
; NumVgprs: 68
; ScratchSize: 0
; MemoryBound: 0
; FloatMode: 240
; IeeeMode: 1
; LDSByteSize: 8192 bytes/workgroup (compile time only)
; SGPRBlocks: 0
; VGPRBlocks: 4
; NumSGPRsForWavesPerEU: 44
; NumVGPRsForWavesPerEU: 68
; NamedBarCnt: 0
; Occupancy: 12
; WaveLimiterHint : 0
; COMPUTE_PGM_RSRC2:SCRATCH_EN: 0
; COMPUTE_PGM_RSRC2:USER_SGPR: 2
; COMPUTE_PGM_RSRC2:TRAP_HANDLER: 0
; COMPUTE_PGM_RSRC2:TGID_X_EN: 1
; COMPUTE_PGM_RSRC2:TGID_Y_EN: 1
; COMPUTE_PGM_RSRC2:TGID_Z_EN: 1
; COMPUTE_PGM_RSRC2:TIDIG_COMP_CNT: 1
	.section	.text._ZL29rocblas_internal_gemmt_kernelIlLi16ELi32ELi8ELc78ELc84ELc85ELb0ELb0E19rocblas_complex_numIdES1_PKS1_PS1_EviT_T9_T10_S5_lS7_S5_lS6_T11_S5_li,"axG",@progbits,_ZL29rocblas_internal_gemmt_kernelIlLi16ELi32ELi8ELc78ELc84ELc85ELb0ELb0E19rocblas_complex_numIdES1_PKS1_PS1_EviT_T9_T10_S5_lS7_S5_lS6_T11_S5_li,comdat
	.globl	_ZL29rocblas_internal_gemmt_kernelIlLi16ELi32ELi8ELc78ELc84ELc85ELb0ELb0E19rocblas_complex_numIdES1_PKS1_PS1_EviT_T9_T10_S5_lS7_S5_lS6_T11_S5_li ; -- Begin function _ZL29rocblas_internal_gemmt_kernelIlLi16ELi32ELi8ELc78ELc84ELc85ELb0ELb0E19rocblas_complex_numIdES1_PKS1_PS1_EviT_T9_T10_S5_lS7_S5_lS6_T11_S5_li
	.p2align	8
	.type	_ZL29rocblas_internal_gemmt_kernelIlLi16ELi32ELi8ELc78ELc84ELc85ELb0ELb0E19rocblas_complex_numIdES1_PKS1_PS1_EviT_T9_T10_S5_lS7_S5_lS6_T11_S5_li,@function
_ZL29rocblas_internal_gemmt_kernelIlLi16ELi32ELi8ELc78ELc84ELc85ELb0ELb0E19rocblas_complex_numIdES1_PKS1_PS1_EviT_T9_T10_S5_lS7_S5_lS6_T11_S5_li: ; @_ZL29rocblas_internal_gemmt_kernelIlLi16ELi32ELi8ELc78ELc84ELc85ELb0ELb0E19rocblas_complex_numIdES1_PKS1_PS1_EviT_T9_T10_S5_lS7_S5_lS6_T11_S5_li
; %bb.0:
	s_clause 0x1
	s_load_b256 s[20:27], s[0:1], 0x48
	s_load_b512 s[4:19], s[0:1], 0x8
	s_wait_kmcnt 0x0
	v_cmp_eq_f64_e64 s2, s[22:23], 1.0
	v_cmp_eq_f64_e64 s3, s[24:25], 0
	s_and_b32 s2, s2, s3
	s_delay_alu instid0(SALU_CYCLE_1)
	s_and_not1_b32 vcc_lo, exec_lo, s2
	s_mov_b32 s2, -1
	s_cbranch_vccnz .LBB271_3
; %bb.1:
	s_cmp_lg_u64 s[4:5], 0
	s_cbranch_scc0 .LBB271_41
; %bb.2:
	v_cmp_neq_f64_e64 s2, s[6:7], 0
	v_cmp_neq_f64_e64 s28, s[8:9], 0
	s_or_b32 s2, s2, s28
.LBB271_3:
	s_delay_alu instid0(SALU_CYCLE_1)
	s_and_b32 vcc_lo, exec_lo, s2
	s_cbranch_vccz .LBB271_42
; %bb.4:
	s_load_b32 s33, s[0:1], 0x78
	s_bfe_u32 s2, ttmp6, 0x40014
	s_lshr_b32 s28, ttmp7, 16
	s_add_co_i32 s2, s2, 1
	s_bfe_u32 s30, ttmp6, 0x40008
	s_mul_i32 s29, s28, s2
	s_getreg_b32 s2, hwreg(HW_REG_IB_STS2, 6, 4)
	s_add_co_i32 s30, s30, s29
	s_cmp_eq_u32 s2, 0
	s_mov_b32 s35, 0
	s_cselect_b32 s34, s28, s30
	s_wait_kmcnt 0x0
	s_cmp_ge_u32 s34, s33
	s_cbranch_scc1 .LBB271_42
; %bb.5:
	s_clause 0x1
	s_load_b128 s[28:31], s[0:1], 0x68
	s_load_b32 s38, s[0:1], 0x0
	s_wait_xcnt 0x0
	s_bfe_u32 s1, ttmp6, 0x4000c
	s_bfe_u32 s40, ttmp6, 0x40010
	s_and_b32 s39, ttmp7, 0xffff
	s_add_co_i32 s1, s1, 1
	s_add_co_i32 s40, s40, 1
	v_and_b32_e32 v15, 0x3ff, v0
	v_bfe_u32 v21, v0, 10, 10
	s_and_b32 s0, ttmp6, 15
	s_bfe_u32 s41, ttmp6, 0x40004
	s_mul_i32 s1, ttmp9, s1
	s_mul_i32 s40, s39, s40
	s_add_co_i32 s0, s0, s1
	s_add_co_i32 s41, s41, s40
	s_cmp_eq_u32 s2, 0
	v_lshl_add_u32 v1, v21, 4, v15
	s_cselect_b32 s1, s39, s41
	s_cselect_b32 s0, ttmp9, s0
	s_lshl_b32 s1, s1, 5
	s_delay_alu instid0(VALU_DEP_1) | instskip(SKIP_4) | instid1(VALU_DEP_3)
	v_dual_lshrrev_b32 v5, 3, v1 :: v_dual_bitop2_b32 v6, 7, v0 bitop3:0x40
	v_dual_lshrrev_b32 v8, 5, v1 :: v_dual_bitop2_b32 v3, 31, v1 bitop3:0x40
	s_lshl_b32 s2, s0, 5
	v_add_nc_u32_e32 v0, s1, v21
	v_cmp_neq_f64_e64 s36, s[6:7], 0
	v_dual_add_nc_u32 v4, s1, v5 :: v_dual_bitop2_b32 v2, s2, v3 bitop3:0x54
	v_cmp_neq_f64_e64 s37, s[8:9], 0
	s_delay_alu instid0(VALU_DEP_4) | instskip(SKIP_2) | instid1(VALU_DEP_3)
	v_dual_add_nc_u32 v22, 16, v0 :: v_dual_ashrrev_i32 v1, 31, v0
	v_cmp_neq_f64_e64 s40, s[22:23], 0
	v_dual_add_nc_u32 v14, s2, v15 :: v_dual_lshlrev_b32 v42, 4, v15
	v_ashrrev_i32_e32 v23, 31, v22
	s_wait_kmcnt 0x0
	v_mul_u64_e32 v[10:11], s[28:29], v[0:1]
	v_dual_lshlrev_b32 v7, 4, v3 :: v_dual_lshlrev_b32 v9, 4, v6
	v_ashrrev_i32_e32 v3, 31, v2
	v_mul_u64_e32 v[12:13], s[28:29], v[22:23]
	v_dual_add_nc_u32 v20, 16, v14 :: v_dual_ashrrev_i32 v15, 31, v14
	s_delay_alu instid0(VALU_DEP_4)
	v_lshl_or_b32 v1, v5, 7, v9
	v_ashrrev_i32_e32 v5, 31, v4
	v_lshl_add_u64 v[16:17], v[2:3], 4, s[10:11]
	v_cmp_gt_i32_e64 s1, s38, v0
	v_cmp_le_i32_e64 s2, v14, v0
	s_xor_b32 s10, s3, -1
	v_cmp_le_i32_e64 s3, v20, v0
	v_cmp_gt_i64_e64 s39, s[4:5], 0
	v_cmp_gt_i32_e32 vcc_lo, s38, v4
	v_lshl_add_u64 v[18:19], v[4:5], 4, s[16:17]
	s_and_b32 s11, s1, s2
	s_and_b32 s16, s1, s3
	v_cmp_gt_i32_e64 s1, s38, v22
	v_cmp_le_i32_e64 s2, v14, v22
	v_cmp_le_i32_e64 s3, v20, v22
	v_cmp_gt_i32_e64 s0, s38, v2
	v_lshl_or_b32 v7, v8, 9, v7
	v_add_nc_u32_e32 v9, 0x1000, v1
	s_or_b32 s37, s36, s37
	v_cmp_le_i32_e64 s36, s38, v2
	v_lshl_add_u32 v43, v21, 7, 0x1000
	v_dual_ashrrev_i32 v21, 31, v20 :: v_dual_mov_b32 v1, 0
	s_or_b32 s10, s40, s10
	s_and_b32 s17, s37, s39
	s_and_b32 s28, s1, s2
	;; [unrolled: 1-line block ×3, first 2 shown]
	s_xor_b32 s29, vcc_lo, -1
                                        ; implicit-def: $vgpr22_vgpr23
	s_branch .LBB271_7
.LBB271_6:                              ;   in Loop: Header=BB271_7 Depth=1
	s_wait_xcnt 0x0
	s_or_b32 exec_lo, exec_lo, s2
	s_add_co_i32 s34, s34, 0x10000
	s_delay_alu instid0(SALU_CYCLE_1)
	s_cmp_lt_u32 s34, s33
	s_cbranch_scc0 .LBB271_42
.LBB271_7:                              ; =>This Loop Header: Depth=1
                                        ;     Child Loop BB271_10 Depth 2
	v_mov_b64_e32 v[34:35], 0
	s_and_not1_b32 vcc_lo, exec_lo, s17
	s_cbranch_vccnz .LBB271_20
; %bb.8:                                ;   in Loop: Header=BB271_7 Depth=1
	s_mul_u64 s[2:3], s[20:21], s[34:35]
	s_mul_u64 s[38:39], s[14:15], s[34:35]
	v_mov_b64_e32 v[38:39], 0
	v_mov_b64_e32 v[40:41], 0
	v_mov_b64_e32 v[32:33], 0
	v_mov_b64_e32 v[30:31], 0
	v_mov_b64_e32 v[28:29], 0
	v_mov_b64_e32 v[26:27], 0
	v_mov_b64_e32 v[36:37], 0
	v_mov_b64_e32 v[34:35], 0
	v_lshl_add_u64 v[4:5], s[38:39], 4, v[16:17]
	v_lshl_add_u64 v[24:25], s[2:3], 4, v[18:19]
	s_mov_b64 s[2:3], 0
	s_branch .LBB271_10
.LBB271_9:                              ;   in Loop: Header=BB271_10 Depth=2
	s_wait_xcnt 0x0
	s_or_b32 exec_lo, exec_lo, s37
	s_wait_dscnt 0x0
	s_barrier_signal -1
	s_barrier_wait -1
	ds_load_b128 v[44:47], v43
	ds_load_b128 v[48:51], v43 offset:16
	ds_load_b128 v[52:55], v43 offset:32
	;; [unrolled: 1-line block ×3, first 2 shown]
	ds_load_b128 v[60:63], v42
	s_add_nc_u64 s[2:3], s[2:3], 8
	s_delay_alu instid0(SALU_CYCLE_1) | instskip(SKIP_4) | instid1(VALU_DEP_2)
	v_cmp_gt_i64_e64 s37, s[4:5], s[2:3]
	s_and_b32 vcc_lo, exec_lo, s37
	s_wait_dscnt 0x0
	v_mul_f64_e32 v[2:3], v[46:47], v[62:63]
	v_mul_f64_e32 v[64:65], v[44:45], v[62:63]
	v_fma_f64 v[2:3], v[44:45], v[60:61], -v[2:3]
	s_delay_alu instid0(VALU_DEP_2) | instskip(NEXT) | instid1(VALU_DEP_2)
	v_fmac_f64_e32 v[64:65], v[46:47], v[60:61]
	v_add_f64_e32 v[2:3], v[34:35], v[2:3]
	s_delay_alu instid0(VALU_DEP_2) | instskip(SKIP_3) | instid1(VALU_DEP_1)
	v_add_f64_e32 v[64:65], v[64:65], v[36:37]
	ds_load_b128 v[34:37], v42 offset:256
	s_wait_dscnt 0x0
	v_mul_f64_e32 v[66:67], v[46:47], v[36:37]
	v_fma_f64 v[66:67], v[44:45], v[34:35], -v[66:67]
	v_mul_f64_e32 v[44:45], v[44:45], v[36:37]
	s_delay_alu instid0(VALU_DEP_1) | instskip(NEXT) | instid1(VALU_DEP_3)
	v_fmac_f64_e32 v[44:45], v[46:47], v[34:35]
	v_add_f64_e32 v[46:47], v[26:27], v[66:67]
	s_delay_alu instid0(VALU_DEP_2) | instskip(SKIP_4) | instid1(VALU_DEP_2)
	v_add_f64_e32 v[44:45], v[44:45], v[28:29]
	ds_load_b128 v[26:29], v43 offset:2048
	s_wait_dscnt 0x0
	v_mul_f64_e32 v[66:67], v[28:29], v[62:63]
	v_mul_f64_e32 v[62:63], v[26:27], v[62:63]
	v_fma_f64 v[66:67], v[26:27], v[60:61], -v[66:67]
	s_delay_alu instid0(VALU_DEP_2) | instskip(NEXT) | instid1(VALU_DEP_2)
	v_fmac_f64_e32 v[62:63], v[28:29], v[60:61]
	v_add_f64_e32 v[60:61], v[30:31], v[66:67]
	v_mul_f64_e32 v[30:31], v[28:29], v[36:37]
	s_delay_alu instid0(VALU_DEP_3) | instskip(NEXT) | instid1(VALU_DEP_2)
	v_add_f64_e32 v[62:63], v[62:63], v[32:33]
	v_fma_f64 v[30:31], v[26:27], v[34:35], -v[30:31]
	v_mul_f64_e32 v[26:27], v[26:27], v[36:37]
	s_delay_alu instid0(VALU_DEP_2) | instskip(NEXT) | instid1(VALU_DEP_2)
	v_add_f64_e32 v[40:41], v[40:41], v[30:31]
	v_fmac_f64_e32 v[26:27], v[28:29], v[34:35]
	s_delay_alu instid0(VALU_DEP_1) | instskip(SKIP_4) | instid1(VALU_DEP_2)
	v_add_f64_e32 v[38:39], v[26:27], v[38:39]
	ds_load_b128 v[26:29], v42 offset:512
	s_wait_dscnt 0x0
	v_mul_f64_e32 v[30:31], v[50:51], v[28:29]
	v_mul_f64_e32 v[32:33], v[48:49], v[28:29]
	v_fma_f64 v[30:31], v[48:49], v[26:27], -v[30:31]
	s_delay_alu instid0(VALU_DEP_2) | instskip(NEXT) | instid1(VALU_DEP_2)
	v_fmac_f64_e32 v[32:33], v[50:51], v[26:27]
	v_add_f64_e32 v[2:3], v[2:3], v[30:31]
	s_delay_alu instid0(VALU_DEP_2) | instskip(SKIP_4) | instid1(VALU_DEP_2)
	v_add_f64_e32 v[64:65], v[32:33], v[64:65]
	ds_load_b128 v[30:33], v42 offset:768
	s_wait_dscnt 0x0
	v_mul_f64_e32 v[34:35], v[50:51], v[32:33]
	v_mul_f64_e32 v[36:37], v[48:49], v[32:33]
	v_fma_f64 v[34:35], v[48:49], v[30:31], -v[34:35]
	s_delay_alu instid0(VALU_DEP_2) | instskip(NEXT) | instid1(VALU_DEP_2)
	v_fmac_f64_e32 v[36:37], v[50:51], v[30:31]
	v_add_f64_e32 v[46:47], v[46:47], v[34:35]
	s_delay_alu instid0(VALU_DEP_2) | instskip(SKIP_4) | instid1(VALU_DEP_2)
	v_add_f64_e32 v[44:45], v[36:37], v[44:45]
	ds_load_b128 v[34:37], v43 offset:2064
	s_wait_dscnt 0x0
	v_mul_f64_e32 v[48:49], v[36:37], v[28:29]
	v_mul_f64_e32 v[28:29], v[34:35], v[28:29]
	v_fma_f64 v[48:49], v[34:35], v[26:27], -v[48:49]
	s_delay_alu instid0(VALU_DEP_2) | instskip(SKIP_1) | instid1(VALU_DEP_3)
	v_fmac_f64_e32 v[28:29], v[36:37], v[26:27]
	v_mul_f64_e32 v[26:27], v[36:37], v[32:33]
	v_add_f64_e32 v[48:49], v[60:61], v[48:49]
	s_delay_alu instid0(VALU_DEP_3) | instskip(SKIP_1) | instid1(VALU_DEP_4)
	v_add_f64_e32 v[50:51], v[28:29], v[62:63]
	v_mul_f64_e32 v[28:29], v[34:35], v[32:33]
	v_fma_f64 v[26:27], v[34:35], v[30:31], -v[26:27]
	s_delay_alu instid0(VALU_DEP_2) | instskip(NEXT) | instid1(VALU_DEP_2)
	v_fmac_f64_e32 v[28:29], v[36:37], v[30:31]
	v_add_f64_e32 v[40:41], v[40:41], v[26:27]
	s_delay_alu instid0(VALU_DEP_2) | instskip(SKIP_4) | instid1(VALU_DEP_2)
	v_add_f64_e32 v[38:39], v[28:29], v[38:39]
	ds_load_b128 v[26:29], v42 offset:1024
	s_wait_dscnt 0x0
	v_mul_f64_e32 v[30:31], v[54:55], v[28:29]
	v_mul_f64_e32 v[32:33], v[52:53], v[28:29]
	v_fma_f64 v[30:31], v[52:53], v[26:27], -v[30:31]
	s_delay_alu instid0(VALU_DEP_2) | instskip(NEXT) | instid1(VALU_DEP_2)
	v_fmac_f64_e32 v[32:33], v[54:55], v[26:27]
	v_add_f64_e32 v[2:3], v[2:3], v[30:31]
	s_delay_alu instid0(VALU_DEP_2) | instskip(SKIP_4) | instid1(VALU_DEP_2)
	v_add_f64_e32 v[60:61], v[32:33], v[64:65]
	ds_load_b128 v[30:33], v42 offset:1280
	s_wait_dscnt 0x0
	v_mul_f64_e32 v[34:35], v[54:55], v[32:33]
	;; [unrolled: 10-line block ×3, first 2 shown]
	v_mul_f64_e32 v[28:29], v[34:35], v[28:29]
	v_fma_f64 v[52:53], v[34:35], v[26:27], -v[52:53]
	s_delay_alu instid0(VALU_DEP_2) | instskip(SKIP_1) | instid1(VALU_DEP_3)
	v_fmac_f64_e32 v[28:29], v[36:37], v[26:27]
	v_mul_f64_e32 v[26:27], v[36:37], v[32:33]
	v_add_f64_e32 v[48:49], v[48:49], v[52:53]
	s_delay_alu instid0(VALU_DEP_3) | instskip(SKIP_1) | instid1(VALU_DEP_4)
	v_add_f64_e32 v[50:51], v[28:29], v[50:51]
	v_mul_f64_e32 v[28:29], v[34:35], v[32:33]
	v_fma_f64 v[26:27], v[34:35], v[30:31], -v[26:27]
	s_delay_alu instid0(VALU_DEP_2) | instskip(NEXT) | instid1(VALU_DEP_2)
	v_fmac_f64_e32 v[28:29], v[36:37], v[30:31]
	v_add_f64_e32 v[40:41], v[40:41], v[26:27]
	s_delay_alu instid0(VALU_DEP_2) | instskip(SKIP_4) | instid1(VALU_DEP_2)
	v_add_f64_e32 v[38:39], v[28:29], v[38:39]
	ds_load_b128 v[26:29], v42 offset:1536
	s_wait_dscnt 0x0
	v_mul_f64_e32 v[30:31], v[58:59], v[28:29]
	v_mul_f64_e32 v[32:33], v[56:57], v[28:29]
	v_fma_f64 v[30:31], v[56:57], v[26:27], -v[30:31]
	s_delay_alu instid0(VALU_DEP_2) | instskip(NEXT) | instid1(VALU_DEP_2)
	v_fmac_f64_e32 v[32:33], v[58:59], v[26:27]
	v_add_f64_e32 v[2:3], v[2:3], v[30:31]
	s_delay_alu instid0(VALU_DEP_2) | instskip(SKIP_4) | instid1(VALU_DEP_2)
	v_add_f64_e32 v[52:53], v[32:33], v[60:61]
	ds_load_b128 v[30:33], v42 offset:1792
	s_wait_dscnt 0x0
	v_mul_f64_e32 v[34:35], v[58:59], v[32:33]
	;; [unrolled: 10-line block ×3, first 2 shown]
	v_mul_f64_e32 v[28:29], v[34:35], v[28:29]
	v_fma_f64 v[54:55], v[34:35], v[26:27], -v[54:55]
	s_delay_alu instid0(VALU_DEP_2) | instskip(SKIP_1) | instid1(VALU_DEP_3)
	v_fmac_f64_e32 v[28:29], v[36:37], v[26:27]
	v_mul_f64_e32 v[26:27], v[36:37], v[32:33]
	v_add_f64_e32 v[48:49], v[48:49], v[54:55]
	s_delay_alu instid0(VALU_DEP_3) | instskip(SKIP_1) | instid1(VALU_DEP_4)
	v_add_f64_e32 v[50:51], v[28:29], v[50:51]
	v_mul_f64_e32 v[28:29], v[34:35], v[32:33]
	v_fma_f64 v[26:27], v[34:35], v[30:31], -v[26:27]
	s_delay_alu instid0(VALU_DEP_2) | instskip(NEXT) | instid1(VALU_DEP_2)
	v_fmac_f64_e32 v[28:29], v[36:37], v[30:31]
	v_add_f64_e32 v[40:41], v[40:41], v[26:27]
	s_delay_alu instid0(VALU_DEP_2)
	v_add_f64_e32 v[38:39], v[28:29], v[38:39]
	ds_load_b128 v[26:29], v43 offset:64
	ds_load_b128 v[30:33], v42 offset:2048
	s_wait_dscnt 0x0
	v_mul_f64_e32 v[34:35], v[28:29], v[32:33]
	v_mul_f64_e32 v[36:37], v[26:27], v[32:33]
	s_delay_alu instid0(VALU_DEP_2) | instskip(NEXT) | instid1(VALU_DEP_2)
	v_fma_f64 v[34:35], v[26:27], v[30:31], -v[34:35]
	v_fmac_f64_e32 v[36:37], v[28:29], v[30:31]
	s_delay_alu instid0(VALU_DEP_2) | instskip(NEXT) | instid1(VALU_DEP_2)
	v_add_f64_e32 v[2:3], v[2:3], v[34:35]
	v_add_f64_e32 v[52:53], v[36:37], v[52:53]
	ds_load_b128 v[34:37], v42 offset:2304
	s_wait_dscnt 0x0
	v_mul_f64_e32 v[54:55], v[28:29], v[36:37]
	s_delay_alu instid0(VALU_DEP_1) | instskip(SKIP_1) | instid1(VALU_DEP_2)
	v_fma_f64 v[54:55], v[26:27], v[34:35], -v[54:55]
	v_mul_f64_e32 v[26:27], v[26:27], v[36:37]
	v_add_f64_e32 v[46:47], v[46:47], v[54:55]
	s_delay_alu instid0(VALU_DEP_2) | instskip(NEXT) | instid1(VALU_DEP_1)
	v_fmac_f64_e32 v[26:27], v[28:29], v[34:35]
	v_add_f64_e32 v[44:45], v[26:27], v[44:45]
	ds_load_b128 v[26:29], v43 offset:2112
	s_wait_dscnt 0x0
	v_mul_f64_e32 v[54:55], v[28:29], v[32:33]
	v_mul_f64_e32 v[32:33], v[26:27], v[32:33]
	s_delay_alu instid0(VALU_DEP_2) | instskip(NEXT) | instid1(VALU_DEP_2)
	v_fma_f64 v[54:55], v[26:27], v[30:31], -v[54:55]
	v_fmac_f64_e32 v[32:33], v[28:29], v[30:31]
	v_mul_f64_e32 v[30:31], v[28:29], v[36:37]
	s_delay_alu instid0(VALU_DEP_3) | instskip(NEXT) | instid1(VALU_DEP_3)
	v_add_f64_e32 v[48:49], v[48:49], v[54:55]
	v_add_f64_e32 v[50:51], v[32:33], v[50:51]
	s_delay_alu instid0(VALU_DEP_3) | instskip(SKIP_1) | instid1(VALU_DEP_2)
	v_fma_f64 v[30:31], v[26:27], v[34:35], -v[30:31]
	v_mul_f64_e32 v[26:27], v[26:27], v[36:37]
	v_add_f64_e32 v[40:41], v[40:41], v[30:31]
	s_delay_alu instid0(VALU_DEP_2) | instskip(NEXT) | instid1(VALU_DEP_1)
	v_fmac_f64_e32 v[26:27], v[28:29], v[34:35]
	v_add_f64_e32 v[38:39], v[26:27], v[38:39]
	ds_load_b128 v[26:29], v43 offset:80
	ds_load_b128 v[30:33], v42 offset:2560
	s_wait_dscnt 0x0
	v_mul_f64_e32 v[34:35], v[28:29], v[32:33]
	v_mul_f64_e32 v[36:37], v[26:27], v[32:33]
	s_delay_alu instid0(VALU_DEP_2) | instskip(NEXT) | instid1(VALU_DEP_2)
	v_fma_f64 v[34:35], v[26:27], v[30:31], -v[34:35]
	v_fmac_f64_e32 v[36:37], v[28:29], v[30:31]
	s_delay_alu instid0(VALU_DEP_2) | instskip(NEXT) | instid1(VALU_DEP_2)
	v_add_f64_e32 v[2:3], v[2:3], v[34:35]
	v_add_f64_e32 v[52:53], v[36:37], v[52:53]
	ds_load_b128 v[34:37], v42 offset:2816
	s_wait_dscnt 0x0
	v_mul_f64_e32 v[54:55], v[28:29], v[36:37]
	s_delay_alu instid0(VALU_DEP_1) | instskip(SKIP_1) | instid1(VALU_DEP_2)
	v_fma_f64 v[54:55], v[26:27], v[34:35], -v[54:55]
	v_mul_f64_e32 v[26:27], v[26:27], v[36:37]
	v_add_f64_e32 v[46:47], v[46:47], v[54:55]
	s_delay_alu instid0(VALU_DEP_2) | instskip(NEXT) | instid1(VALU_DEP_1)
	v_fmac_f64_e32 v[26:27], v[28:29], v[34:35]
	v_add_f64_e32 v[44:45], v[26:27], v[44:45]
	ds_load_b128 v[26:29], v43 offset:2128
	s_wait_dscnt 0x0
	v_mul_f64_e32 v[54:55], v[28:29], v[32:33]
	v_mul_f64_e32 v[32:33], v[26:27], v[32:33]
	s_delay_alu instid0(VALU_DEP_2) | instskip(NEXT) | instid1(VALU_DEP_2)
	v_fma_f64 v[54:55], v[26:27], v[30:31], -v[54:55]
	v_fmac_f64_e32 v[32:33], v[28:29], v[30:31]
	v_mul_f64_e32 v[30:31], v[28:29], v[36:37]
	s_delay_alu instid0(VALU_DEP_3) | instskip(NEXT) | instid1(VALU_DEP_3)
	v_add_f64_e32 v[48:49], v[48:49], v[54:55]
	v_add_f64_e32 v[50:51], v[32:33], v[50:51]
	s_delay_alu instid0(VALU_DEP_3) | instskip(SKIP_1) | instid1(VALU_DEP_2)
	v_fma_f64 v[30:31], v[26:27], v[34:35], -v[30:31]
	v_mul_f64_e32 v[26:27], v[26:27], v[36:37]
	v_add_f64_e32 v[40:41], v[40:41], v[30:31]
	s_delay_alu instid0(VALU_DEP_2) | instskip(NEXT) | instid1(VALU_DEP_1)
	v_fmac_f64_e32 v[26:27], v[28:29], v[34:35]
	;; [unrolled: 39-line block ×3, first 2 shown]
	v_add_f64_e32 v[56:57], v[26:27], v[38:39]
	ds_load_b128 v[26:29], v43 offset:112
	ds_load_b128 v[30:33], v42 offset:3584
	;; [unrolled: 1-line block ×3, first 2 shown]
	s_wait_dscnt 0x1
	v_mul_f64_e32 v[34:35], v[28:29], v[32:33]
	v_mul_f64_e32 v[36:37], v[26:27], v[32:33]
	s_delay_alu instid0(VALU_DEP_2) | instskip(NEXT) | instid1(VALU_DEP_2)
	v_fma_f64 v[34:35], v[26:27], v[30:31], -v[34:35]
	v_fmac_f64_e32 v[36:37], v[28:29], v[30:31]
	s_delay_alu instid0(VALU_DEP_2) | instskip(NEXT) | instid1(VALU_DEP_2)
	v_add_f64_e32 v[34:35], v[2:3], v[34:35]
	v_add_f64_e32 v[36:37], v[36:37], v[52:53]
	s_wait_dscnt 0x0
	v_mul_f64_e32 v[2:3], v[28:29], v[40:41]
	v_mul_f64_e32 v[52:53], v[26:27], v[40:41]
	s_delay_alu instid0(VALU_DEP_2) | instskip(NEXT) | instid1(VALU_DEP_2)
	v_fma_f64 v[2:3], v[26:27], v[38:39], -v[2:3]
	v_fmac_f64_e32 v[52:53], v[28:29], v[38:39]
	s_delay_alu instid0(VALU_DEP_2) | instskip(NEXT) | instid1(VALU_DEP_2)
	v_add_f64_e32 v[26:27], v[46:47], v[2:3]
	v_add_f64_e32 v[28:29], v[52:53], v[44:45]
	ds_load_b128 v[44:47], v43 offset:2160
	s_wait_dscnt 0x0
	s_barrier_signal -1
	s_barrier_wait -1
	v_mul_f64_e32 v[2:3], v[46:47], v[32:33]
	v_mul_f64_e32 v[32:33], v[44:45], v[32:33]
	s_delay_alu instid0(VALU_DEP_2) | instskip(NEXT) | instid1(VALU_DEP_2)
	v_fma_f64 v[2:3], v[44:45], v[30:31], -v[2:3]
	v_fmac_f64_e32 v[32:33], v[46:47], v[30:31]
	s_delay_alu instid0(VALU_DEP_2) | instskip(SKIP_1) | instid1(VALU_DEP_3)
	v_add_f64_e32 v[30:31], v[48:49], v[2:3]
	v_mul_f64_e32 v[2:3], v[46:47], v[40:41]
	v_add_f64_e32 v[32:33], v[32:33], v[50:51]
	s_delay_alu instid0(VALU_DEP_2) | instskip(SKIP_1) | instid1(VALU_DEP_2)
	v_fma_f64 v[2:3], v[44:45], v[38:39], -v[2:3]
	v_mul_f64_e32 v[44:45], v[44:45], v[40:41]
	v_add_f64_e32 v[40:41], v[54:55], v[2:3]
	s_delay_alu instid0(VALU_DEP_2) | instskip(NEXT) | instid1(VALU_DEP_1)
	v_fmac_f64_e32 v[44:45], v[46:47], v[38:39]
	v_add_f64_e32 v[38:39], v[44:45], v[56:57]
	s_cbranch_vccz .LBB271_21
.LBB271_10:                             ;   Parent Loop BB271_7 Depth=1
                                        ; =>  This Inner Loop Header: Depth=2
	s_mov_b32 s37, 0
	s_mov_b32 s39, s36
	s_and_saveexec_b32 s38, s0
	s_cbranch_execnz .LBB271_18
; %bb.11:                               ;   in Loop: Header=BB271_10 Depth=2
	s_or_b32 exec_lo, exec_lo, s38
	s_and_saveexec_b32 s38, s39
	s_delay_alu instid0(SALU_CYCLE_1)
	s_xor_b32 s38, exec_lo, s38
	s_cbranch_execnz .LBB271_19
.LBB271_12:                             ;   in Loop: Header=BB271_10 Depth=2
	s_or_b32 exec_lo, exec_lo, s38
	s_and_saveexec_b32 s38, s37
	s_cbranch_execz .LBB271_14
.LBB271_13:                             ;   in Loop: Header=BB271_10 Depth=2
	v_mul_u64_e32 v[2:3], s[12:13], v[22:23]
	s_delay_alu instid0(VALU_DEP_1)
	v_lshl_add_u64 v[2:3], v[2:3], 4, v[4:5]
	global_load_b128 v[44:47], v[2:3], off
	s_wait_loadcnt 0x0
	ds_store_2addr_b64 v7, v[44:45], v[46:47] offset1:1
.LBB271_14:                             ;   in Loop: Header=BB271_10 Depth=2
	s_wait_xcnt 0x0
	s_or_b32 exec_lo, exec_lo, s38
	v_add_nc_u32_e32 v0, s2, v6
	s_delay_alu instid0(VALU_DEP_1) | instskip(SKIP_1) | instid1(SALU_CYCLE_1)
	v_cmp_le_u64_e32 vcc_lo, s[4:5], v[0:1]
	s_or_b32 s37, vcc_lo, s29
	s_and_saveexec_b32 s38, s37
	s_delay_alu instid0(SALU_CYCLE_1)
	s_xor_b32 s37, exec_lo, s38
; %bb.15:                               ;   in Loop: Header=BB271_10 Depth=2
	v_dual_mov_b32 v0, v1 :: v_dual_mov_b32 v2, v1
	v_mov_b32_e32 v3, v1
	ds_store_b128 v9, v[0:3]
; %bb.16:                               ;   in Loop: Header=BB271_10 Depth=2
	s_and_not1_saveexec_b32 s37, s37
	s_cbranch_execz .LBB271_9
; %bb.17:                               ;   in Loop: Header=BB271_10 Depth=2
	v_mul_u64_e32 v[2:3], s[18:19], v[0:1]
	s_delay_alu instid0(VALU_DEP_1)
	v_lshl_add_u64 v[2:3], v[2:3], 4, v[24:25]
	global_load_b128 v[44:47], v[2:3], off
	s_wait_loadcnt 0x0
	ds_store_2addr_b64 v9, v[44:45], v[46:47] offset1:1
	s_branch .LBB271_9
.LBB271_18:                             ;   in Loop: Header=BB271_10 Depth=2
	v_add_nc_u32_e32 v0, s2, v8
	s_and_not1_b32 s39, s36, exec_lo
	s_mov_b32 s37, exec_lo
	s_delay_alu instid0(VALU_DEP_1) | instskip(SKIP_2) | instid1(SALU_CYCLE_1)
	v_cmp_le_u64_e32 vcc_lo, s[4:5], v[0:1]
	v_mov_b64_e32 v[22:23], v[0:1]
	s_and_b32 s40, vcc_lo, exec_lo
	s_or_b32 s39, s39, s40
	s_or_b32 exec_lo, exec_lo, s38
	s_and_saveexec_b32 s38, s39
	s_delay_alu instid0(SALU_CYCLE_1)
	s_xor_b32 s38, exec_lo, s38
	s_cbranch_execz .LBB271_12
.LBB271_19:                             ;   in Loop: Header=BB271_10 Depth=2
	v_dual_mov_b32 v0, v1 :: v_dual_mov_b32 v2, v1
	v_mov_b32_e32 v3, v1
	s_and_not1_b32 s37, s37, exec_lo
	ds_store_b128 v7, v[0:3]
	s_or_b32 exec_lo, exec_lo, s38
	s_and_saveexec_b32 s38, s37
	s_cbranch_execnz .LBB271_13
	s_branch .LBB271_14
.LBB271_20:                             ;   in Loop: Header=BB271_7 Depth=1
	v_mov_b64_e32 v[36:37], 0
	v_mov_b64_e32 v[26:27], 0
	;; [unrolled: 1-line block ×7, first 2 shown]
.LBB271_21:                             ;   in Loop: Header=BB271_7 Depth=1
	s_mul_u64 s[2:3], s[30:31], s[34:35]
	s_delay_alu instid0(SALU_CYCLE_1) | instskip(NEXT) | instid1(SALU_CYCLE_1)
	s_lshl_b64 s[2:3], s[2:3], 4
	s_add_nc_u64 s[2:3], s[26:27], s[2:3]
	s_delay_alu instid0(SALU_CYCLE_1)
	v_lshl_add_u64 v[24:25], v[10:11], 4, s[2:3]
	s_and_saveexec_b32 s37, s11
	s_cbranch_execz .LBB271_26
; %bb.22:                               ;   in Loop: Header=BB271_7 Depth=1
	v_mul_f64_e32 v[2:3], s[8:9], v[36:37]
	v_mul_f64_e32 v[4:5], s[6:7], v[36:37]
	s_and_b32 vcc_lo, exec_lo, s10
	s_mov_b32 s38, -1
	s_delay_alu instid0(VALU_DEP_2) | instskip(NEXT) | instid1(VALU_DEP_2)
	v_fma_f64 v[2:3], s[6:7], v[34:35], -v[2:3]
	v_fmac_f64_e32 v[4:5], s[8:9], v[34:35]
	v_lshl_add_u64 v[34:35], v[14:15], 4, v[24:25]
	s_cbranch_vccz .LBB271_24
; %bb.23:                               ;   in Loop: Header=BB271_7 Depth=1
	global_load_b128 v[44:47], v[34:35], off
	s_mov_b32 s38, 0
	s_wait_loadcnt 0x0
	v_mul_f64_e32 v[36:37], s[24:25], v[46:47]
	v_mul_f64_e32 v[46:47], s[22:23], v[46:47]
	s_delay_alu instid0(VALU_DEP_2) | instskip(NEXT) | instid1(VALU_DEP_2)
	v_fma_f64 v[36:37], s[22:23], v[44:45], -v[36:37]
	v_fmac_f64_e32 v[46:47], s[24:25], v[44:45]
	s_delay_alu instid0(VALU_DEP_2) | instskip(NEXT) | instid1(VALU_DEP_2)
	v_add_f64_e32 v[44:45], v[2:3], v[36:37]
	v_add_f64_e32 v[46:47], v[4:5], v[46:47]
	global_store_b128 v[34:35], v[44:47], off
.LBB271_24:                             ;   in Loop: Header=BB271_7 Depth=1
	s_and_not1_b32 vcc_lo, exec_lo, s38
	s_cbranch_vccnz .LBB271_26
; %bb.25:                               ;   in Loop: Header=BB271_7 Depth=1
	global_store_b128 v[34:35], v[2:5], off
.LBB271_26:                             ;   in Loop: Header=BB271_7 Depth=1
	s_wait_xcnt 0x0
	s_or_b32 exec_lo, exec_lo, s37
	s_and_saveexec_b32 s37, s16
	s_cbranch_execz .LBB271_31
; %bb.27:                               ;   in Loop: Header=BB271_7 Depth=1
	v_mul_f64_e32 v[2:3], s[8:9], v[28:29]
	v_mul_f64_e32 v[4:5], s[6:7], v[28:29]
	v_lshl_add_u64 v[24:25], v[20:21], 4, v[24:25]
	s_and_not1_b32 vcc_lo, exec_lo, s10
	s_mov_b32 s38, -1
	s_delay_alu instid0(VALU_DEP_3) | instskip(NEXT) | instid1(VALU_DEP_3)
	v_fma_f64 v[2:3], s[6:7], v[26:27], -v[2:3]
	v_fmac_f64_e32 v[4:5], s[8:9], v[26:27]
	s_cbranch_vccnz .LBB271_29
; %bb.28:                               ;   in Loop: Header=BB271_7 Depth=1
	global_load_b128 v[26:29], v[24:25], off
	s_mov_b32 s38, 0
	s_wait_loadcnt 0x0
	v_mul_f64_e32 v[34:35], s[24:25], v[28:29]
	v_mul_f64_e32 v[28:29], s[22:23], v[28:29]
	s_delay_alu instid0(VALU_DEP_2) | instskip(NEXT) | instid1(VALU_DEP_2)
	v_fma_f64 v[34:35], s[22:23], v[26:27], -v[34:35]
	v_fmac_f64_e32 v[28:29], s[24:25], v[26:27]
	s_delay_alu instid0(VALU_DEP_2) | instskip(NEXT) | instid1(VALU_DEP_2)
	v_add_f64_e32 v[26:27], v[2:3], v[34:35]
	v_add_f64_e32 v[28:29], v[4:5], v[28:29]
	global_store_b128 v[24:25], v[26:29], off
.LBB271_29:                             ;   in Loop: Header=BB271_7 Depth=1
	s_and_not1_b32 vcc_lo, exec_lo, s38
	s_cbranch_vccnz .LBB271_31
; %bb.30:                               ;   in Loop: Header=BB271_7 Depth=1
	global_store_b128 v[24:25], v[2:5], off
.LBB271_31:                             ;   in Loop: Header=BB271_7 Depth=1
	s_wait_xcnt 0x0
	s_or_b32 exec_lo, exec_lo, s37
	v_lshl_add_u64 v[24:25], v[12:13], 4, s[2:3]
	s_and_saveexec_b32 s2, s28
	s_cbranch_execz .LBB271_36
; %bb.32:                               ;   in Loop: Header=BB271_7 Depth=1
	v_mul_f64_e32 v[2:3], s[8:9], v[32:33]
	v_mul_f64_e32 v[4:5], s[6:7], v[32:33]
	v_lshl_add_u64 v[26:27], v[14:15], 4, v[24:25]
	s_and_not1_b32 vcc_lo, exec_lo, s10
	s_mov_b32 s3, -1
	s_delay_alu instid0(VALU_DEP_3) | instskip(NEXT) | instid1(VALU_DEP_3)
	v_fma_f64 v[2:3], s[6:7], v[30:31], -v[2:3]
	v_fmac_f64_e32 v[4:5], s[8:9], v[30:31]
	s_cbranch_vccnz .LBB271_34
; %bb.33:                               ;   in Loop: Header=BB271_7 Depth=1
	global_load_b128 v[28:31], v[26:27], off
	s_mov_b32 s3, 0
	s_wait_loadcnt 0x0
	v_mul_f64_e32 v[32:33], s[24:25], v[30:31]
	v_mul_f64_e32 v[30:31], s[22:23], v[30:31]
	s_delay_alu instid0(VALU_DEP_2) | instskip(NEXT) | instid1(VALU_DEP_2)
	v_fma_f64 v[32:33], s[22:23], v[28:29], -v[32:33]
	v_fmac_f64_e32 v[30:31], s[24:25], v[28:29]
	s_delay_alu instid0(VALU_DEP_2) | instskip(NEXT) | instid1(VALU_DEP_2)
	v_add_f64_e32 v[28:29], v[2:3], v[32:33]
	v_add_f64_e32 v[30:31], v[4:5], v[30:31]
	global_store_b128 v[26:27], v[28:31], off
.LBB271_34:                             ;   in Loop: Header=BB271_7 Depth=1
	s_and_not1_b32 vcc_lo, exec_lo, s3
	s_cbranch_vccnz .LBB271_36
; %bb.35:                               ;   in Loop: Header=BB271_7 Depth=1
	global_store_b128 v[26:27], v[2:5], off
.LBB271_36:                             ;   in Loop: Header=BB271_7 Depth=1
	s_wait_xcnt 0x0
	s_or_b32 exec_lo, exec_lo, s2
	s_and_saveexec_b32 s2, s1
	s_cbranch_execz .LBB271_6
; %bb.37:                               ;   in Loop: Header=BB271_7 Depth=1
	s_delay_alu instid0(VALU_DEP_3) | instskip(SKIP_4) | instid1(VALU_DEP_3)
	v_mul_f64_e32 v[2:3], s[8:9], v[38:39]
	v_mul_f64_e32 v[4:5], s[6:7], v[38:39]
	v_lshl_add_u64 v[24:25], v[20:21], 4, v[24:25]
	s_and_not1_b32 vcc_lo, exec_lo, s10
	s_mov_b32 s3, -1
	v_fma_f64 v[2:3], s[6:7], v[40:41], -v[2:3]
	s_delay_alu instid0(VALU_DEP_3)
	v_fmac_f64_e32 v[4:5], s[8:9], v[40:41]
	s_cbranch_vccnz .LBB271_39
; %bb.38:                               ;   in Loop: Header=BB271_7 Depth=1
	global_load_b128 v[26:29], v[24:25], off
	s_mov_b32 s3, 0
	s_wait_loadcnt 0x0
	v_mul_f64_e32 v[30:31], s[24:25], v[28:29]
	v_mul_f64_e32 v[28:29], s[22:23], v[28:29]
	s_delay_alu instid0(VALU_DEP_2) | instskip(NEXT) | instid1(VALU_DEP_2)
	v_fma_f64 v[30:31], s[22:23], v[26:27], -v[30:31]
	v_fmac_f64_e32 v[28:29], s[24:25], v[26:27]
	s_delay_alu instid0(VALU_DEP_2) | instskip(NEXT) | instid1(VALU_DEP_2)
	v_add_f64_e32 v[26:27], v[2:3], v[30:31]
	v_add_f64_e32 v[28:29], v[4:5], v[28:29]
	global_store_b128 v[24:25], v[26:29], off
.LBB271_39:                             ;   in Loop: Header=BB271_7 Depth=1
	s_and_not1_b32 vcc_lo, exec_lo, s3
	s_cbranch_vccnz .LBB271_6
; %bb.40:                               ;   in Loop: Header=BB271_7 Depth=1
	global_store_b128 v[24:25], v[2:5], off
	s_branch .LBB271_6
.LBB271_41:
.LBB271_42:
	s_sendmsg sendmsg(MSG_DEALLOC_VGPRS)
	s_endpgm
	.section	.rodata,"a",@progbits
	.p2align	6, 0x0
	.amdhsa_kernel _ZL29rocblas_internal_gemmt_kernelIlLi16ELi32ELi8ELc78ELc84ELc85ELb0ELb0E19rocblas_complex_numIdES1_PKS1_PS1_EviT_T9_T10_S5_lS7_S5_lS6_T11_S5_li
		.amdhsa_group_segment_fixed_size 8192
		.amdhsa_private_segment_fixed_size 0
		.amdhsa_kernarg_size 124
		.amdhsa_user_sgpr_count 2
		.amdhsa_user_sgpr_dispatch_ptr 0
		.amdhsa_user_sgpr_queue_ptr 0
		.amdhsa_user_sgpr_kernarg_segment_ptr 1
		.amdhsa_user_sgpr_dispatch_id 0
		.amdhsa_user_sgpr_kernarg_preload_length 0
		.amdhsa_user_sgpr_kernarg_preload_offset 0
		.amdhsa_user_sgpr_private_segment_size 0
		.amdhsa_wavefront_size32 1
		.amdhsa_uses_dynamic_stack 0
		.amdhsa_enable_private_segment 0
		.amdhsa_system_sgpr_workgroup_id_x 1
		.amdhsa_system_sgpr_workgroup_id_y 1
		.amdhsa_system_sgpr_workgroup_id_z 1
		.amdhsa_system_sgpr_workgroup_info 0
		.amdhsa_system_vgpr_workitem_id 1
		.amdhsa_next_free_vgpr 68
		.amdhsa_next_free_sgpr 42
		.amdhsa_named_barrier_count 0
		.amdhsa_reserve_vcc 1
		.amdhsa_float_round_mode_32 0
		.amdhsa_float_round_mode_16_64 0
		.amdhsa_float_denorm_mode_32 3
		.amdhsa_float_denorm_mode_16_64 3
		.amdhsa_fp16_overflow 0
		.amdhsa_memory_ordered 1
		.amdhsa_forward_progress 1
		.amdhsa_inst_pref_size 26
		.amdhsa_round_robin_scheduling 0
		.amdhsa_exception_fp_ieee_invalid_op 0
		.amdhsa_exception_fp_denorm_src 0
		.amdhsa_exception_fp_ieee_div_zero 0
		.amdhsa_exception_fp_ieee_overflow 0
		.amdhsa_exception_fp_ieee_underflow 0
		.amdhsa_exception_fp_ieee_inexact 0
		.amdhsa_exception_int_div_zero 0
	.end_amdhsa_kernel
	.section	.text._ZL29rocblas_internal_gemmt_kernelIlLi16ELi32ELi8ELc78ELc84ELc85ELb0ELb0E19rocblas_complex_numIdES1_PKS1_PS1_EviT_T9_T10_S5_lS7_S5_lS6_T11_S5_li,"axG",@progbits,_ZL29rocblas_internal_gemmt_kernelIlLi16ELi32ELi8ELc78ELc84ELc85ELb0ELb0E19rocblas_complex_numIdES1_PKS1_PS1_EviT_T9_T10_S5_lS7_S5_lS6_T11_S5_li,comdat
.Lfunc_end271:
	.size	_ZL29rocblas_internal_gemmt_kernelIlLi16ELi32ELi8ELc78ELc84ELc85ELb0ELb0E19rocblas_complex_numIdES1_PKS1_PS1_EviT_T9_T10_S5_lS7_S5_lS6_T11_S5_li, .Lfunc_end271-_ZL29rocblas_internal_gemmt_kernelIlLi16ELi32ELi8ELc78ELc84ELc85ELb0ELb0E19rocblas_complex_numIdES1_PKS1_PS1_EviT_T9_T10_S5_lS7_S5_lS6_T11_S5_li
                                        ; -- End function
	.set _ZL29rocblas_internal_gemmt_kernelIlLi16ELi32ELi8ELc78ELc84ELc85ELb0ELb0E19rocblas_complex_numIdES1_PKS1_PS1_EviT_T9_T10_S5_lS7_S5_lS6_T11_S5_li.num_vgpr, 68
	.set _ZL29rocblas_internal_gemmt_kernelIlLi16ELi32ELi8ELc78ELc84ELc85ELb0ELb0E19rocblas_complex_numIdES1_PKS1_PS1_EviT_T9_T10_S5_lS7_S5_lS6_T11_S5_li.num_agpr, 0
	.set _ZL29rocblas_internal_gemmt_kernelIlLi16ELi32ELi8ELc78ELc84ELc85ELb0ELb0E19rocblas_complex_numIdES1_PKS1_PS1_EviT_T9_T10_S5_lS7_S5_lS6_T11_S5_li.numbered_sgpr, 42
	.set _ZL29rocblas_internal_gemmt_kernelIlLi16ELi32ELi8ELc78ELc84ELc85ELb0ELb0E19rocblas_complex_numIdES1_PKS1_PS1_EviT_T9_T10_S5_lS7_S5_lS6_T11_S5_li.num_named_barrier, 0
	.set _ZL29rocblas_internal_gemmt_kernelIlLi16ELi32ELi8ELc78ELc84ELc85ELb0ELb0E19rocblas_complex_numIdES1_PKS1_PS1_EviT_T9_T10_S5_lS7_S5_lS6_T11_S5_li.private_seg_size, 0
	.set _ZL29rocblas_internal_gemmt_kernelIlLi16ELi32ELi8ELc78ELc84ELc85ELb0ELb0E19rocblas_complex_numIdES1_PKS1_PS1_EviT_T9_T10_S5_lS7_S5_lS6_T11_S5_li.uses_vcc, 1
	.set _ZL29rocblas_internal_gemmt_kernelIlLi16ELi32ELi8ELc78ELc84ELc85ELb0ELb0E19rocblas_complex_numIdES1_PKS1_PS1_EviT_T9_T10_S5_lS7_S5_lS6_T11_S5_li.uses_flat_scratch, 0
	.set _ZL29rocblas_internal_gemmt_kernelIlLi16ELi32ELi8ELc78ELc84ELc85ELb0ELb0E19rocblas_complex_numIdES1_PKS1_PS1_EviT_T9_T10_S5_lS7_S5_lS6_T11_S5_li.has_dyn_sized_stack, 0
	.set _ZL29rocblas_internal_gemmt_kernelIlLi16ELi32ELi8ELc78ELc84ELc85ELb0ELb0E19rocblas_complex_numIdES1_PKS1_PS1_EviT_T9_T10_S5_lS7_S5_lS6_T11_S5_li.has_recursion, 0
	.set _ZL29rocblas_internal_gemmt_kernelIlLi16ELi32ELi8ELc78ELc84ELc85ELb0ELb0E19rocblas_complex_numIdES1_PKS1_PS1_EviT_T9_T10_S5_lS7_S5_lS6_T11_S5_li.has_indirect_call, 0
	.section	.AMDGPU.csdata,"",@progbits
; Kernel info:
; codeLenInByte = 3244
; TotalNumSgprs: 44
; NumVgprs: 68
; ScratchSize: 0
; MemoryBound: 0
; FloatMode: 240
; IeeeMode: 1
; LDSByteSize: 8192 bytes/workgroup (compile time only)
; SGPRBlocks: 0
; VGPRBlocks: 4
; NumSGPRsForWavesPerEU: 44
; NumVGPRsForWavesPerEU: 68
; NamedBarCnt: 0
; Occupancy: 12
; WaveLimiterHint : 0
; COMPUTE_PGM_RSRC2:SCRATCH_EN: 0
; COMPUTE_PGM_RSRC2:USER_SGPR: 2
; COMPUTE_PGM_RSRC2:TRAP_HANDLER: 0
; COMPUTE_PGM_RSRC2:TGID_X_EN: 1
; COMPUTE_PGM_RSRC2:TGID_Y_EN: 1
; COMPUTE_PGM_RSRC2:TGID_Z_EN: 1
; COMPUTE_PGM_RSRC2:TIDIG_COMP_CNT: 1
	.section	.text._ZL29rocblas_internal_gemmt_kernelIlLi16ELi32ELi8ELc78ELc67ELc85ELb0ELb1E19rocblas_complex_numIdES1_PKS1_PS1_EviT_T9_T10_S5_lS7_S5_lS6_T11_S5_li,"axG",@progbits,_ZL29rocblas_internal_gemmt_kernelIlLi16ELi32ELi8ELc78ELc67ELc85ELb0ELb1E19rocblas_complex_numIdES1_PKS1_PS1_EviT_T9_T10_S5_lS7_S5_lS6_T11_S5_li,comdat
	.globl	_ZL29rocblas_internal_gemmt_kernelIlLi16ELi32ELi8ELc78ELc67ELc85ELb0ELb1E19rocblas_complex_numIdES1_PKS1_PS1_EviT_T9_T10_S5_lS7_S5_lS6_T11_S5_li ; -- Begin function _ZL29rocblas_internal_gemmt_kernelIlLi16ELi32ELi8ELc78ELc67ELc85ELb0ELb1E19rocblas_complex_numIdES1_PKS1_PS1_EviT_T9_T10_S5_lS7_S5_lS6_T11_S5_li
	.p2align	8
	.type	_ZL29rocblas_internal_gemmt_kernelIlLi16ELi32ELi8ELc78ELc67ELc85ELb0ELb1E19rocblas_complex_numIdES1_PKS1_PS1_EviT_T9_T10_S5_lS7_S5_lS6_T11_S5_li,@function
_ZL29rocblas_internal_gemmt_kernelIlLi16ELi32ELi8ELc78ELc67ELc85ELb0ELb1E19rocblas_complex_numIdES1_PKS1_PS1_EviT_T9_T10_S5_lS7_S5_lS6_T11_S5_li: ; @_ZL29rocblas_internal_gemmt_kernelIlLi16ELi32ELi8ELc78ELc67ELc85ELb0ELb1E19rocblas_complex_numIdES1_PKS1_PS1_EviT_T9_T10_S5_lS7_S5_lS6_T11_S5_li
; %bb.0:
	s_clause 0x1
	s_load_b256 s[24:31], s[0:1], 0x48
	s_load_b512 s[8:23], s[0:1], 0x8
	s_wait_kmcnt 0x0
	v_cmp_eq_f64_e64 s2, s[26:27], 1.0
	v_cmp_eq_f64_e64 s3, s[28:29], 0
	s_and_b32 s2, s2, s3
	s_delay_alu instid0(SALU_CYCLE_1)
	s_and_not1_b32 vcc_lo, exec_lo, s2
	s_mov_b32 s2, -1
	s_cbranch_vccnz .LBB272_3
; %bb.1:
	s_cmp_lg_u64 s[8:9], 0
	s_cbranch_scc0 .LBB272_39
; %bb.2:
	v_cmp_neq_f64_e64 s2, s[10:11], 0
	v_cmp_neq_f64_e64 s4, s[12:13], 0
	s_or_b32 s2, s2, s4
.LBB272_3:
	s_delay_alu instid0(SALU_CYCLE_1)
	s_and_b32 vcc_lo, exec_lo, s2
	s_cbranch_vccz .LBB272_40
; %bb.4:
	s_load_b32 s33, s[0:1], 0x78
	s_bfe_u32 s2, ttmp6, 0x40014
	s_lshr_b32 s4, ttmp7, 16
	s_add_co_i32 s2, s2, 1
	s_bfe_u32 s6, ttmp6, 0x40008
	s_mul_i32 s5, s4, s2
	s_getreg_b32 s2, hwreg(HW_REG_IB_STS2, 6, 4)
	s_add_co_i32 s6, s6, s5
	s_cmp_eq_u32 s2, 0
	s_mov_b32 s35, 0
	s_cselect_b32 s34, s4, s6
	s_wait_kmcnt 0x0
	s_cmp_ge_u32 s34, s33
	s_cbranch_scc1 .LBB272_40
; %bb.5:
	s_clause 0x1
	s_load_b128 s[4:7], s[0:1], 0x68
	s_load_b32 s38, s[0:1], 0x0
	s_wait_xcnt 0x0
	s_bfe_u32 s1, ttmp6, 0x4000c
	s_bfe_u32 s40, ttmp6, 0x40010
	s_and_b32 s39, ttmp7, 0xffff
	s_add_co_i32 s1, s1, 1
	s_add_co_i32 s40, s40, 1
	s_and_b32 s0, ttmp6, 15
	s_bfe_u32 s41, ttmp6, 0x40004
	s_mul_i32 s1, ttmp9, s1
	s_mul_i32 s40, s39, s40
	s_add_co_i32 s0, s0, s1
	s_add_co_i32 s41, s41, s40
	s_cmp_eq_u32 s2, 0
	v_and_b32_e32 v17, 0x3ff, v0
	v_bfe_u32 v21, v0, 10, 10
	s_cselect_b32 s1, s39, s41
	s_cselect_b32 s0, ttmp9, s0
	s_lshl_b32 s1, s1, 5
	s_delay_alu instid0(VALU_DEP_1) | instid1(SALU_CYCLE_1)
	v_dual_add_nc_u32 v0, s1, v21 :: v_dual_bitop2_b32 v6, 7, v0 bitop3:0x40
	v_lshl_add_u32 v1, v21, 4, v17
	v_cmp_neq_f64_e64 s40, s[26:27], 0
	v_cmp_neq_f64_e64 s36, s[10:11], 0
	;; [unrolled: 1-line block ×3, first 2 shown]
	s_lshl_b32 s2, s0, 5
	v_dual_lshrrev_b32 v9, 3, v1 :: v_dual_bitop2_b32 v3, 31, v1 bitop3:0x40
	v_dual_add_nc_u32 v4, 16, v0 :: v_dual_lshrrev_b32 v8, 5, v1
	s_delay_alu instid0(VALU_DEP_2) | instskip(NEXT) | instid1(VALU_DEP_2)
	v_dual_ashrrev_i32 v1, 31, v0 :: v_dual_lshlrev_b32 v7, 4, v3
	v_dual_add_nc_u32 v18, s1, v9 :: v_dual_ashrrev_i32 v5, 31, v4
	v_lshlrev_b32_e32 v14, 4, v6
	s_wait_kmcnt 0x0
	s_delay_alu instid0(VALU_DEP_3) | instskip(SKIP_4) | instid1(VALU_DEP_4)
	v_mul_u64_e32 v[10:11], s[4:5], v[0:1]
	v_dual_add_nc_u32 v16, s2, v17 :: v_dual_bitop2_b32 v2, s2, v3 bitop3:0x54
	v_mul_u64_e32 v[12:13], s[4:5], v[4:5]
	v_cmp_gt_i32_e32 vcc_lo, s38, v0
	v_lshl_or_b32 v1, v9, 7, v14
	v_ashrrev_i32_e32 v3, 31, v2
	v_cmp_le_i32_e64 s2, v16, v0
	v_dual_add_nc_u32 v20, 16, v16 :: v_dual_ashrrev_i32 v19, 31, v18
	v_lshlrev_b32_e32 v44, 4, v17
	v_cmp_gt_i64_e64 s39, s[8:9], 0
	s_xor_b32 s3, s3, -1
	v_lshl_add_u64 v[14:15], v[2:3], 4, s[14:15]
	s_and_b32 s15, vcc_lo, s2
	v_ashrrev_i32_e32 v17, 31, v16
	v_cmp_le_i32_e64 s2, v20, v0
	v_cmp_le_i32_e64 s4, v16, v4
	v_cmp_le_i32_e64 s5, v20, v4
	s_or_b32 s14, s40, s3
	v_cmp_gt_i32_e64 s3, s38, v4
	s_or_b32 s37, s36, s37
	v_cmp_gt_i32_e64 s0, s38, v2
	v_cmp_le_i32_e64 s36, s38, v2
	v_lshl_or_b32 v7, v8, 9, v7
	v_cmp_gt_i32_e64 s1, s38, v18
	v_add_nc_u32_e32 v9, 0x1000, v1
	v_lshl_add_u64 v[18:19], v[18:19], 4, s[20:21]
	v_lshl_add_u32 v45, v21, 7, 0x1000
	v_dual_ashrrev_i32 v21, 31, v20 :: v_dual_mov_b32 v1, 0
	s_and_b32 s20, s37, s39
	s_and_b32 s21, vcc_lo, s2
	s_and_b32 s4, s3, s4
	s_and_b32 s5, s3, s5
                                        ; implicit-def: $vgpr22_vgpr23
	s_branch .LBB272_7
.LBB272_6:                              ;   in Loop: Header=BB272_7 Depth=1
	s_wait_xcnt 0x0
	s_or_b32 exec_lo, exec_lo, s2
	s_add_co_i32 s34, s34, 0x10000
	s_delay_alu instid0(SALU_CYCLE_1)
	s_cmp_lt_u32 s34, s33
	s_cbranch_scc0 .LBB272_40
.LBB272_7:                              ; =>This Loop Header: Depth=1
                                        ;     Child Loop BB272_10 Depth 2
	v_mov_b64_e32 v[40:41], 0
	s_and_not1_b32 vcc_lo, exec_lo, s20
	s_cbranch_vccnz .LBB272_18
; %bb.8:                                ;   in Loop: Header=BB272_7 Depth=1
	s_mul_u64 s[2:3], s[24:25], s[34:35]
	s_mul_u64 s[38:39], s[18:19], s[34:35]
	v_mov_b64_e32 v[24:25], 0
	v_mov_b64_e32 v[26:27], 0
	;; [unrolled: 1-line block ×8, first 2 shown]
	v_lshl_add_u64 v[28:29], s[38:39], 4, v[14:15]
	v_lshl_add_u64 v[30:31], s[2:3], 4, v[18:19]
	s_mov_b64 s[2:3], 0
	s_branch .LBB272_10
.LBB272_9:                              ;   in Loop: Header=BB272_10 Depth=2
	s_wait_xcnt 0x0
	s_or_b32 exec_lo, exec_lo, s37
	ds_store_b128 v9, v[2:5]
	s_wait_dscnt 0x0
	s_barrier_signal -1
	s_barrier_wait -1
	ds_load_b128 v[2:5], v45
	ds_load_b128 v[46:49], v44
	ds_load_b128 v[50:53], v44 offset:256
	ds_load_b128 v[54:57], v45 offset:2048
	;; [unrolled: 1-line block ×10, first 2 shown]
	s_add_nc_u64 s[2:3], s[2:3], 8
	s_delay_alu instid0(SALU_CYCLE_1)
	v_cmp_gt_i64_e64 s37, s[8:9], s[2:3]
	s_and_b32 vcc_lo, exec_lo, s37
	s_wait_dscnt 0xa
	v_mul_f64_e32 v[90:91], v[4:5], v[48:49]
	v_mul_f64_e32 v[92:93], v[2:3], v[48:49]
	s_wait_dscnt 0x9
	v_mul_f64_e32 v[94:95], v[4:5], v[52:53]
	v_mul_f64_e32 v[96:97], v[2:3], v[52:53]
	s_wait_dscnt 0x8
	v_mul_f64_e32 v[98:99], v[56:57], v[48:49]
	v_mul_f64_e32 v[100:101], v[54:55], v[48:49]
	v_mul_f64_e32 v[48:49], v[56:57], v[52:53]
	v_mul_f64_e32 v[102:103], v[54:55], v[52:53]
	s_wait_dscnt 0x6
	v_mul_f64_e32 v[104:105], v[60:61], v[64:65]
	v_mul_f64_e32 v[106:107], v[58:59], v[64:65]
	s_wait_dscnt 0x5
	v_mul_f64_e32 v[108:109], v[60:61], v[68:69]
	v_mul_f64_e32 v[110:111], v[58:59], v[68:69]
	s_wait_dscnt 0x4
	v_mul_f64_e32 v[112:113], v[72:73], v[64:65]
	v_mul_f64_e32 v[64:65], v[70:71], v[64:65]
	v_mul_f64_e32 v[114:115], v[72:73], v[68:69]
	v_mul_f64_e32 v[68:69], v[70:71], v[68:69]
	;; [unrolled: 11-line block ×3, first 2 shown]
	v_fma_f64 v[90:91], v[2:3], v[46:47], -v[90:91]
	v_fmac_f64_e32 v[92:93], v[4:5], v[46:47]
	v_fma_f64 v[94:95], v[2:3], v[50:51], -v[94:95]
	v_fmac_f64_e32 v[96:97], v[4:5], v[50:51]
	;; [unrolled: 2-line block ×8, first 2 shown]
	ds_load_b128 v[2:5], v45 offset:48
	ds_load_b128 v[46:49], v45 offset:2096
	;; [unrolled: 1-line block ×4, first 2 shown]
	v_fma_f64 v[118:119], v[74:75], v[78:79], -v[118:119]
	v_fmac_f64_e32 v[120:121], v[76:77], v[78:79]
	v_fma_f64 v[74:75], v[74:75], v[82:83], -v[122:123]
	v_fmac_f64_e32 v[124:125], v[76:77], v[82:83]
	;; [unrolled: 2-line block ×4, first 2 shown]
	v_add_f64_e32 v[66:67], v[40:41], v[90:91]
	v_add_f64_e32 v[70:71], v[92:93], v[42:43]
	v_add_f64_e32 v[72:73], v[36:37], v[94:95]
	v_add_f64_e32 v[90:91], v[96:97], v[38:39]
	v_add_f64_e32 v[92:93], v[32:33], v[98:99]
	v_add_f64_e32 v[94:95], v[100:101], v[34:35]
	v_add_f64_e32 v[96:97], v[26:27], v[116:117]
	v_add_f64_e32 v[98:99], v[102:103], v[24:25]
	s_wait_dscnt 0x1
	v_mul_f64_e32 v[100:101], v[4:5], v[52:53]
	v_mul_f64_e32 v[102:103], v[2:3], v[52:53]
	s_wait_dscnt 0x0
	v_mul_f64_e32 v[108:109], v[4:5], v[56:57]
	v_mul_f64_e32 v[112:113], v[2:3], v[56:57]
	;; [unrolled: 1-line block ×6, first 2 shown]
	ds_load_b128 v[24:27], v45 offset:64
	ds_load_b128 v[32:35], v44 offset:2048
	;; [unrolled: 1-line block ×4, first 2 shown]
	v_add_f64_e32 v[82:83], v[66:67], v[104:105]
	v_add_f64_e32 v[86:87], v[106:107], v[70:71]
	;; [unrolled: 1-line block ×8, first 2 shown]
	s_wait_dscnt 0x2
	v_mul_f64_e32 v[98:99], v[26:27], v[34:35]
	v_mul_f64_e32 v[104:105], v[24:25], v[34:35]
	s_wait_dscnt 0x1
	v_mul_f64_e32 v[106:107], v[26:27], v[38:39]
	v_mul_f64_e32 v[110:111], v[24:25], v[38:39]
	;; [unrolled: 3-line block ×3, first 2 shown]
	v_mul_f64_e32 v[34:35], v[42:43], v[38:39]
	v_mul_f64_e32 v[128:129], v[40:41], v[38:39]
	v_fma_f64 v[38:39], v[2:3], v[50:51], -v[100:101]
	v_fmac_f64_e32 v[102:103], v[4:5], v[50:51]
	v_fma_f64 v[100:101], v[2:3], v[54:55], -v[108:109]
	v_fmac_f64_e32 v[112:113], v[4:5], v[54:55]
	;; [unrolled: 2-line block ×4, first 2 shown]
	ds_load_b128 v[56:59], v45 offset:80
	ds_load_b128 v[60:63], v45 offset:2128
	ds_load_b128 v[64:67], v44 offset:2560
	ds_load_b128 v[68:71], v44 offset:2816
	v_add_f64_e32 v[54:55], v[82:83], v[118:119]
	v_add_f64_e32 v[82:83], v[120:121], v[86:87]
	;; [unrolled: 1-line block ×8, first 2 shown]
	v_fma_f64 v[98:99], v[24:25], v[32:33], -v[98:99]
	v_fmac_f64_e32 v[104:105], v[26:27], v[32:33]
	v_fma_f64 v[106:107], v[24:25], v[36:37], -v[106:107]
	s_wait_dscnt 0x1
	v_mul_f64_e32 v[90:91], v[58:59], v[66:67]
	v_mul_f64_e32 v[92:93], v[56:57], v[66:67]
	s_wait_dscnt 0x0
	v_mul_f64_e32 v[94:95], v[58:59], v[70:71]
	v_mul_f64_e32 v[96:97], v[56:57], v[70:71]
	;; [unrolled: 1-line block ×6, first 2 shown]
	v_fmac_f64_e32 v[110:111], v[26:27], v[36:37]
	v_fma_f64 v[122:123], v[40:41], v[32:33], -v[122:123]
	v_fmac_f64_e32 v[126:127], v[42:43], v[32:33]
	v_fma_f64 v[124:125], v[40:41], v[36:37], -v[34:35]
	v_fmac_f64_e32 v[128:129], v[42:43], v[36:37]
	ds_load_b128 v[2:5], v45 offset:96
	ds_load_b128 v[46:49], v44 offset:3072
	;; [unrolled: 1-line block ×4, first 2 shown]
	v_add_f64_e32 v[54:55], v[54:55], v[38:39]
	v_add_f64_e32 v[82:83], v[102:103], v[82:83]
	;; [unrolled: 1-line block ×8, first 2 shown]
	ds_load_b128 v[24:27], v45 offset:112
	ds_load_b128 v[32:35], v45 offset:2160
	;; [unrolled: 1-line block ×4, first 2 shown]
	s_wait_dscnt 0x0
	v_mul_f64_e32 v[100:101], v[4:5], v[48:49]
	v_mul_f64_e32 v[102:103], v[2:3], v[48:49]
	;; [unrolled: 1-line block ×8, first 2 shown]
	v_fma_f64 v[90:91], v[56:57], v[64:65], -v[90:91]
	v_fmac_f64_e32 v[92:93], v[58:59], v[64:65]
	v_fma_f64 v[56:57], v[56:57], v[68:69], -v[94:95]
	v_fmac_f64_e32 v[96:97], v[58:59], v[68:69]
	;; [unrolled: 2-line block ×4, first 2 shown]
	s_barrier_signal -1
	s_barrier_wait -1
	v_mul_f64_e32 v[94:95], v[24:25], v[42:43]
	v_add_f64_e32 v[54:55], v[54:55], v[98:99]
	v_add_f64_e32 v[62:63], v[104:105], v[82:83]
	v_add_f64_e32 v[64:65], v[86:87], v[106:107]
	v_add_f64_e32 v[68:69], v[110:111], v[88:89]
	v_add_f64_e32 v[76:77], v[76:77], v[122:123]
	v_add_f64_e32 v[80:81], v[126:127], v[80:81]
	v_add_f64_e32 v[78:79], v[78:79], v[124:125]
	v_add_f64_e32 v[82:83], v[128:129], v[84:85]
	v_mul_f64_e32 v[84:85], v[26:27], v[38:39]
	v_mul_f64_e32 v[86:87], v[24:25], v[38:39]
	;; [unrolled: 1-line block ×7, first 2 shown]
	v_fma_f64 v[42:43], v[2:3], v[46:47], -v[100:101]
	v_fmac_f64_e32 v[102:103], v[4:5], v[46:47]
	v_fma_f64 v[2:3], v[2:3], v[50:51], -v[108:109]
	v_fmac_f64_e32 v[112:113], v[4:5], v[50:51]
	;; [unrolled: 2-line block ×4, first 2 shown]
	v_fmac_f64_e32 v[94:95], v[26:27], v[40:41]
	v_add_f64_e32 v[50:51], v[54:55], v[90:91]
	v_add_f64_e32 v[54:55], v[92:93], v[62:63]
	;; [unrolled: 1-line block ×8, first 2 shown]
	v_fma_f64 v[68:69], v[24:25], v[36:37], -v[84:85]
	v_fmac_f64_e32 v[86:87], v[26:27], v[36:37]
	v_fma_f64 v[24:25], v[24:25], v[40:41], -v[88:89]
	v_fma_f64 v[26:27], v[32:33], v[36:37], -v[98:99]
	v_fmac_f64_e32 v[104:105], v[34:35], v[36:37]
	v_fma_f64 v[70:71], v[32:33], v[40:41], -v[38:39]
	v_fmac_f64_e32 v[106:107], v[34:35], v[40:41]
	v_add_f64_e32 v[32:33], v[50:51], v[42:43]
	v_add_f64_e32 v[34:35], v[102:103], v[54:55]
	v_add_f64_e32 v[2:3], v[56:57], v[2:3]
	v_add_f64_e32 v[38:39], v[112:113], v[62:63]
	v_add_f64_e32 v[4:5], v[58:59], v[4:5]
	v_add_f64_e32 v[48:49], v[48:49], v[64:65]
	v_add_f64_e32 v[46:47], v[60:61], v[46:47]
	v_add_f64_e32 v[50:51], v[52:53], v[66:67]
	v_add_f64_e32 v[40:41], v[32:33], v[68:69]
	v_add_f64_e32 v[42:43], v[86:87], v[34:35]
	v_add_f64_e32 v[36:37], v[2:3], v[24:25]
	v_add_f64_e32 v[38:39], v[94:95], v[38:39]
	v_add_f64_e32 v[32:33], v[4:5], v[26:27]
	v_add_f64_e32 v[34:35], v[104:105], v[48:49]
	v_add_f64_e32 v[26:27], v[46:47], v[70:71]
	v_add_f64_e32 v[24:25], v[106:107], v[50:51]
	s_cbranch_vccz .LBB272_19
.LBB272_10:                             ;   Parent Loop BB272_7 Depth=1
                                        ; =>  This Inner Loop Header: Depth=2
	s_mov_b32 s37, 0
	s_mov_b32 s39, s36
	s_and_saveexec_b32 s38, s0
	s_cbranch_execnz .LBB272_16
; %bb.11:                               ;   in Loop: Header=BB272_10 Depth=2
	s_or_b32 exec_lo, exec_lo, s38
	s_and_saveexec_b32 s38, s39
	s_delay_alu instid0(SALU_CYCLE_1)
	s_xor_b32 s38, exec_lo, s38
	s_cbranch_execnz .LBB272_17
.LBB272_12:                             ;   in Loop: Header=BB272_10 Depth=2
	s_or_b32 exec_lo, exec_lo, s38
	s_and_saveexec_b32 s38, s37
	s_cbranch_execz .LBB272_14
.LBB272_13:                             ;   in Loop: Header=BB272_10 Depth=2
	v_mul_u64_e32 v[2:3], s[16:17], v[22:23]
	s_delay_alu instid0(VALU_DEP_1)
	v_lshl_add_u64 v[2:3], v[2:3], 4, v[28:29]
	global_load_b128 v[2:5], v[2:3], off
	s_wait_loadcnt 0x0
	ds_store_2addr_b64 v7, v[2:3], v[4:5] offset1:1
.LBB272_14:                             ;   in Loop: Header=BB272_10 Depth=2
	s_wait_xcnt 0x0
	s_or_b32 exec_lo, exec_lo, s38
	v_add_nc_u32_e32 v0, s2, v6
	v_mov_b64_e32 v[2:3], 0
	v_mov_b64_e32 v[4:5], 0
	s_delay_alu instid0(VALU_DEP_3) | instskip(SKIP_1) | instid1(SALU_CYCLE_1)
	v_cmp_gt_u64_e32 vcc_lo, s[8:9], v[0:1]
	s_and_b32 s38, vcc_lo, s1
	s_and_saveexec_b32 s37, s38
	s_cbranch_execz .LBB272_9
; %bb.15:                               ;   in Loop: Header=BB272_10 Depth=2
	v_mul_u64_e32 v[2:3], s[22:23], v[0:1]
	s_delay_alu instid0(VALU_DEP_1)
	v_lshl_add_u64 v[2:3], v[2:3], 4, v[30:31]
	global_load_b128 v[2:5], v[2:3], off
	s_wait_loadcnt 0x0
	v_xor_b32_e32 v5, 0x80000000, v5
	s_branch .LBB272_9
.LBB272_16:                             ;   in Loop: Header=BB272_10 Depth=2
	v_add_nc_u32_e32 v0, s2, v8
	s_and_not1_b32 s39, s36, exec_lo
	s_mov_b32 s37, exec_lo
	s_delay_alu instid0(VALU_DEP_1) | instskip(SKIP_2) | instid1(SALU_CYCLE_1)
	v_cmp_le_u64_e32 vcc_lo, s[8:9], v[0:1]
	v_mov_b64_e32 v[22:23], v[0:1]
	s_and_b32 s40, vcc_lo, exec_lo
	s_or_b32 s39, s39, s40
	s_or_b32 exec_lo, exec_lo, s38
	s_and_saveexec_b32 s38, s39
	s_delay_alu instid0(SALU_CYCLE_1)
	s_xor_b32 s38, exec_lo, s38
	s_cbranch_execz .LBB272_12
.LBB272_17:                             ;   in Loop: Header=BB272_10 Depth=2
	v_dual_mov_b32 v0, v1 :: v_dual_mov_b32 v2, v1
	v_mov_b32_e32 v3, v1
	s_and_not1_b32 s37, s37, exec_lo
	ds_store_b128 v7, v[0:3]
	s_or_b32 exec_lo, exec_lo, s38
	s_and_saveexec_b32 s38, s37
	s_cbranch_execnz .LBB272_13
	s_branch .LBB272_14
.LBB272_18:                             ;   in Loop: Header=BB272_7 Depth=1
	v_mov_b64_e32 v[42:43], 0
	v_mov_b64_e32 v[36:37], 0
	;; [unrolled: 1-line block ×7, first 2 shown]
.LBB272_19:                             ;   in Loop: Header=BB272_7 Depth=1
	s_mul_u64 s[2:3], s[6:7], s[34:35]
	s_delay_alu instid0(SALU_CYCLE_1) | instskip(NEXT) | instid1(SALU_CYCLE_1)
	s_lshl_b64 s[2:3], s[2:3], 4
	s_add_nc_u64 s[2:3], s[30:31], s[2:3]
	s_delay_alu instid0(SALU_CYCLE_1)
	v_lshl_add_u64 v[28:29], v[10:11], 4, s[2:3]
	s_and_saveexec_b32 s37, s15
	s_cbranch_execz .LBB272_24
; %bb.20:                               ;   in Loop: Header=BB272_7 Depth=1
	v_mul_f64_e32 v[2:3], s[12:13], v[42:43]
	v_mul_f64_e32 v[4:5], s[10:11], v[42:43]
	v_lshl_add_u64 v[30:31], v[16:17], 4, v[28:29]
	s_and_b32 vcc_lo, exec_lo, s14
	s_mov_b32 s38, -1
	s_delay_alu instid0(VALU_DEP_3) | instskip(NEXT) | instid1(VALU_DEP_3)
	v_fma_f64 v[2:3], s[10:11], v[40:41], -v[2:3]
	v_fmac_f64_e32 v[4:5], s[12:13], v[40:41]
	s_cbranch_vccz .LBB272_22
; %bb.21:                               ;   in Loop: Header=BB272_7 Depth=1
	global_load_b128 v[40:43], v[30:31], off
	s_mov_b32 s38, 0
	s_wait_loadcnt 0x0
	v_mul_f64_e32 v[46:47], s[28:29], v[42:43]
	v_mul_f64_e32 v[42:43], s[26:27], v[42:43]
	s_delay_alu instid0(VALU_DEP_2) | instskip(NEXT) | instid1(VALU_DEP_2)
	v_fma_f64 v[46:47], s[26:27], v[40:41], -v[46:47]
	v_fmac_f64_e32 v[42:43], s[28:29], v[40:41]
	s_delay_alu instid0(VALU_DEP_2) | instskip(NEXT) | instid1(VALU_DEP_2)
	v_add_f64_e32 v[40:41], v[2:3], v[46:47]
	v_add_f64_e32 v[42:43], v[4:5], v[42:43]
	global_store_b128 v[30:31], v[40:43], off
.LBB272_22:                             ;   in Loop: Header=BB272_7 Depth=1
	s_and_not1_b32 vcc_lo, exec_lo, s38
	s_cbranch_vccnz .LBB272_24
; %bb.23:                               ;   in Loop: Header=BB272_7 Depth=1
	global_store_b128 v[30:31], v[2:5], off
.LBB272_24:                             ;   in Loop: Header=BB272_7 Depth=1
	s_wait_xcnt 0x0
	s_or_b32 exec_lo, exec_lo, s37
	s_and_saveexec_b32 s37, s21
	s_cbranch_execz .LBB272_29
; %bb.25:                               ;   in Loop: Header=BB272_7 Depth=1
	v_mul_f64_e32 v[2:3], s[12:13], v[38:39]
	v_mul_f64_e32 v[4:5], s[10:11], v[38:39]
	v_lshl_add_u64 v[28:29], v[20:21], 4, v[28:29]
	s_and_not1_b32 vcc_lo, exec_lo, s14
	s_mov_b32 s38, -1
	s_delay_alu instid0(VALU_DEP_3) | instskip(NEXT) | instid1(VALU_DEP_3)
	v_fma_f64 v[2:3], s[10:11], v[36:37], -v[2:3]
	v_fmac_f64_e32 v[4:5], s[12:13], v[36:37]
	s_cbranch_vccnz .LBB272_27
; %bb.26:                               ;   in Loop: Header=BB272_7 Depth=1
	global_load_b128 v[36:39], v[28:29], off
	s_mov_b32 s38, 0
	s_wait_loadcnt 0x0
	v_mul_f64_e32 v[30:31], s[28:29], v[38:39]
	v_mul_f64_e32 v[38:39], s[26:27], v[38:39]
	s_delay_alu instid0(VALU_DEP_2) | instskip(NEXT) | instid1(VALU_DEP_2)
	v_fma_f64 v[30:31], s[26:27], v[36:37], -v[30:31]
	v_fmac_f64_e32 v[38:39], s[28:29], v[36:37]
	s_delay_alu instid0(VALU_DEP_2) | instskip(NEXT) | instid1(VALU_DEP_2)
	v_add_f64_e32 v[36:37], v[2:3], v[30:31]
	v_add_f64_e32 v[38:39], v[4:5], v[38:39]
	global_store_b128 v[28:29], v[36:39], off
.LBB272_27:                             ;   in Loop: Header=BB272_7 Depth=1
	s_and_not1_b32 vcc_lo, exec_lo, s38
	s_cbranch_vccnz .LBB272_29
; %bb.28:                               ;   in Loop: Header=BB272_7 Depth=1
	global_store_b128 v[28:29], v[2:5], off
.LBB272_29:                             ;   in Loop: Header=BB272_7 Depth=1
	s_wait_xcnt 0x0
	s_or_b32 exec_lo, exec_lo, s37
	v_lshl_add_u64 v[28:29], v[12:13], 4, s[2:3]
	s_and_saveexec_b32 s2, s4
	s_cbranch_execz .LBB272_34
; %bb.30:                               ;   in Loop: Header=BB272_7 Depth=1
	v_mul_f64_e32 v[2:3], s[12:13], v[34:35]
	v_mul_f64_e32 v[4:5], s[10:11], v[34:35]
	v_lshl_add_u64 v[30:31], v[16:17], 4, v[28:29]
	s_and_not1_b32 vcc_lo, exec_lo, s14
	s_mov_b32 s3, -1
	s_delay_alu instid0(VALU_DEP_3) | instskip(NEXT) | instid1(VALU_DEP_3)
	v_fma_f64 v[2:3], s[10:11], v[32:33], -v[2:3]
	v_fmac_f64_e32 v[4:5], s[12:13], v[32:33]
	s_cbranch_vccnz .LBB272_32
; %bb.31:                               ;   in Loop: Header=BB272_7 Depth=1
	global_load_b128 v[32:35], v[30:31], off
	s_mov_b32 s3, 0
	s_wait_loadcnt 0x0
	v_mul_f64_e32 v[36:37], s[28:29], v[34:35]
	v_mul_f64_e32 v[34:35], s[26:27], v[34:35]
	s_delay_alu instid0(VALU_DEP_2) | instskip(NEXT) | instid1(VALU_DEP_2)
	v_fma_f64 v[36:37], s[26:27], v[32:33], -v[36:37]
	v_fmac_f64_e32 v[34:35], s[28:29], v[32:33]
	s_delay_alu instid0(VALU_DEP_2) | instskip(NEXT) | instid1(VALU_DEP_2)
	v_add_f64_e32 v[32:33], v[2:3], v[36:37]
	v_add_f64_e32 v[34:35], v[4:5], v[34:35]
	global_store_b128 v[30:31], v[32:35], off
.LBB272_32:                             ;   in Loop: Header=BB272_7 Depth=1
	s_and_not1_b32 vcc_lo, exec_lo, s3
	s_cbranch_vccnz .LBB272_34
; %bb.33:                               ;   in Loop: Header=BB272_7 Depth=1
	global_store_b128 v[30:31], v[2:5], off
.LBB272_34:                             ;   in Loop: Header=BB272_7 Depth=1
	s_wait_xcnt 0x0
	s_or_b32 exec_lo, exec_lo, s2
	s_and_saveexec_b32 s2, s5
	s_cbranch_execz .LBB272_6
; %bb.35:                               ;   in Loop: Header=BB272_7 Depth=1
	s_delay_alu instid0(VALU_DEP_3) | instskip(SKIP_4) | instid1(VALU_DEP_3)
	v_mul_f64_e32 v[2:3], s[12:13], v[24:25]
	v_mul_f64_e32 v[4:5], s[10:11], v[24:25]
	v_lshl_add_u64 v[24:25], v[20:21], 4, v[28:29]
	s_and_not1_b32 vcc_lo, exec_lo, s14
	s_mov_b32 s3, -1
	v_fma_f64 v[2:3], s[10:11], v[26:27], -v[2:3]
	s_delay_alu instid0(VALU_DEP_3)
	v_fmac_f64_e32 v[4:5], s[12:13], v[26:27]
	s_cbranch_vccnz .LBB272_37
; %bb.36:                               ;   in Loop: Header=BB272_7 Depth=1
	global_load_b128 v[26:29], v[24:25], off
	s_mov_b32 s3, 0
	s_wait_loadcnt 0x0
	v_mul_f64_e32 v[30:31], s[28:29], v[28:29]
	v_mul_f64_e32 v[28:29], s[26:27], v[28:29]
	s_delay_alu instid0(VALU_DEP_2) | instskip(NEXT) | instid1(VALU_DEP_2)
	v_fma_f64 v[30:31], s[26:27], v[26:27], -v[30:31]
	v_fmac_f64_e32 v[28:29], s[28:29], v[26:27]
	s_delay_alu instid0(VALU_DEP_2) | instskip(NEXT) | instid1(VALU_DEP_2)
	v_add_f64_e32 v[26:27], v[2:3], v[30:31]
	v_add_f64_e32 v[28:29], v[4:5], v[28:29]
	global_store_b128 v[24:25], v[26:29], off
.LBB272_37:                             ;   in Loop: Header=BB272_7 Depth=1
	s_and_not1_b32 vcc_lo, exec_lo, s3
	s_cbranch_vccnz .LBB272_6
; %bb.38:                               ;   in Loop: Header=BB272_7 Depth=1
	global_store_b128 v[24:25], v[2:5], off
	s_branch .LBB272_6
.LBB272_39:
.LBB272_40:
	s_sendmsg sendmsg(MSG_DEALLOC_VGPRS)
	s_endpgm
	.section	.rodata,"a",@progbits
	.p2align	6, 0x0
	.amdhsa_kernel _ZL29rocblas_internal_gemmt_kernelIlLi16ELi32ELi8ELc78ELc67ELc85ELb0ELb1E19rocblas_complex_numIdES1_PKS1_PS1_EviT_T9_T10_S5_lS7_S5_lS6_T11_S5_li
		.amdhsa_group_segment_fixed_size 8192
		.amdhsa_private_segment_fixed_size 0
		.amdhsa_kernarg_size 124
		.amdhsa_user_sgpr_count 2
		.amdhsa_user_sgpr_dispatch_ptr 0
		.amdhsa_user_sgpr_queue_ptr 0
		.amdhsa_user_sgpr_kernarg_segment_ptr 1
		.amdhsa_user_sgpr_dispatch_id 0
		.amdhsa_user_sgpr_kernarg_preload_length 0
		.amdhsa_user_sgpr_kernarg_preload_offset 0
		.amdhsa_user_sgpr_private_segment_size 0
		.amdhsa_wavefront_size32 1
		.amdhsa_uses_dynamic_stack 0
		.amdhsa_enable_private_segment 0
		.amdhsa_system_sgpr_workgroup_id_x 1
		.amdhsa_system_sgpr_workgroup_id_y 1
		.amdhsa_system_sgpr_workgroup_id_z 1
		.amdhsa_system_sgpr_workgroup_info 0
		.amdhsa_system_vgpr_workitem_id 1
		.amdhsa_next_free_vgpr 132
		.amdhsa_next_free_sgpr 42
		.amdhsa_named_barrier_count 0
		.amdhsa_reserve_vcc 1
		.amdhsa_float_round_mode_32 0
		.amdhsa_float_round_mode_16_64 0
		.amdhsa_float_denorm_mode_32 3
		.amdhsa_float_denorm_mode_16_64 3
		.amdhsa_fp16_overflow 0
		.amdhsa_memory_ordered 1
		.amdhsa_forward_progress 1
		.amdhsa_inst_pref_size 23
		.amdhsa_round_robin_scheduling 0
		.amdhsa_exception_fp_ieee_invalid_op 0
		.amdhsa_exception_fp_denorm_src 0
		.amdhsa_exception_fp_ieee_div_zero 0
		.amdhsa_exception_fp_ieee_overflow 0
		.amdhsa_exception_fp_ieee_underflow 0
		.amdhsa_exception_fp_ieee_inexact 0
		.amdhsa_exception_int_div_zero 0
	.end_amdhsa_kernel
	.section	.text._ZL29rocblas_internal_gemmt_kernelIlLi16ELi32ELi8ELc78ELc67ELc85ELb0ELb1E19rocblas_complex_numIdES1_PKS1_PS1_EviT_T9_T10_S5_lS7_S5_lS6_T11_S5_li,"axG",@progbits,_ZL29rocblas_internal_gemmt_kernelIlLi16ELi32ELi8ELc78ELc67ELc85ELb0ELb1E19rocblas_complex_numIdES1_PKS1_PS1_EviT_T9_T10_S5_lS7_S5_lS6_T11_S5_li,comdat
.Lfunc_end272:
	.size	_ZL29rocblas_internal_gemmt_kernelIlLi16ELi32ELi8ELc78ELc67ELc85ELb0ELb1E19rocblas_complex_numIdES1_PKS1_PS1_EviT_T9_T10_S5_lS7_S5_lS6_T11_S5_li, .Lfunc_end272-_ZL29rocblas_internal_gemmt_kernelIlLi16ELi32ELi8ELc78ELc67ELc85ELb0ELb1E19rocblas_complex_numIdES1_PKS1_PS1_EviT_T9_T10_S5_lS7_S5_lS6_T11_S5_li
                                        ; -- End function
	.set _ZL29rocblas_internal_gemmt_kernelIlLi16ELi32ELi8ELc78ELc67ELc85ELb0ELb1E19rocblas_complex_numIdES1_PKS1_PS1_EviT_T9_T10_S5_lS7_S5_lS6_T11_S5_li.num_vgpr, 132
	.set _ZL29rocblas_internal_gemmt_kernelIlLi16ELi32ELi8ELc78ELc67ELc85ELb0ELb1E19rocblas_complex_numIdES1_PKS1_PS1_EviT_T9_T10_S5_lS7_S5_lS6_T11_S5_li.num_agpr, 0
	.set _ZL29rocblas_internal_gemmt_kernelIlLi16ELi32ELi8ELc78ELc67ELc85ELb0ELb1E19rocblas_complex_numIdES1_PKS1_PS1_EviT_T9_T10_S5_lS7_S5_lS6_T11_S5_li.numbered_sgpr, 42
	.set _ZL29rocblas_internal_gemmt_kernelIlLi16ELi32ELi8ELc78ELc67ELc85ELb0ELb1E19rocblas_complex_numIdES1_PKS1_PS1_EviT_T9_T10_S5_lS7_S5_lS6_T11_S5_li.num_named_barrier, 0
	.set _ZL29rocblas_internal_gemmt_kernelIlLi16ELi32ELi8ELc78ELc67ELc85ELb0ELb1E19rocblas_complex_numIdES1_PKS1_PS1_EviT_T9_T10_S5_lS7_S5_lS6_T11_S5_li.private_seg_size, 0
	.set _ZL29rocblas_internal_gemmt_kernelIlLi16ELi32ELi8ELc78ELc67ELc85ELb0ELb1E19rocblas_complex_numIdES1_PKS1_PS1_EviT_T9_T10_S5_lS7_S5_lS6_T11_S5_li.uses_vcc, 1
	.set _ZL29rocblas_internal_gemmt_kernelIlLi16ELi32ELi8ELc78ELc67ELc85ELb0ELb1E19rocblas_complex_numIdES1_PKS1_PS1_EviT_T9_T10_S5_lS7_S5_lS6_T11_S5_li.uses_flat_scratch, 0
	.set _ZL29rocblas_internal_gemmt_kernelIlLi16ELi32ELi8ELc78ELc67ELc85ELb0ELb1E19rocblas_complex_numIdES1_PKS1_PS1_EviT_T9_T10_S5_lS7_S5_lS6_T11_S5_li.has_dyn_sized_stack, 0
	.set _ZL29rocblas_internal_gemmt_kernelIlLi16ELi32ELi8ELc78ELc67ELc85ELb0ELb1E19rocblas_complex_numIdES1_PKS1_PS1_EviT_T9_T10_S5_lS7_S5_lS6_T11_S5_li.has_recursion, 0
	.set _ZL29rocblas_internal_gemmt_kernelIlLi16ELi32ELi8ELc78ELc67ELc85ELb0ELb1E19rocblas_complex_numIdES1_PKS1_PS1_EviT_T9_T10_S5_lS7_S5_lS6_T11_S5_li.has_indirect_call, 0
	.section	.AMDGPU.csdata,"",@progbits
; Kernel info:
; codeLenInByte = 2936
; TotalNumSgprs: 44
; NumVgprs: 132
; ScratchSize: 0
; MemoryBound: 1
; FloatMode: 240
; IeeeMode: 1
; LDSByteSize: 8192 bytes/workgroup (compile time only)
; SGPRBlocks: 0
; VGPRBlocks: 8
; NumSGPRsForWavesPerEU: 44
; NumVGPRsForWavesPerEU: 132
; NamedBarCnt: 0
; Occupancy: 7
; WaveLimiterHint : 0
; COMPUTE_PGM_RSRC2:SCRATCH_EN: 0
; COMPUTE_PGM_RSRC2:USER_SGPR: 2
; COMPUTE_PGM_RSRC2:TRAP_HANDLER: 0
; COMPUTE_PGM_RSRC2:TGID_X_EN: 1
; COMPUTE_PGM_RSRC2:TGID_Y_EN: 1
; COMPUTE_PGM_RSRC2:TGID_Z_EN: 1
; COMPUTE_PGM_RSRC2:TIDIG_COMP_CNT: 1
	.section	.text._ZL29rocblas_internal_gemmt_kernelIlLi16ELi32ELi8ELc84ELc78ELc85ELb0ELb0E19rocblas_complex_numIdES1_PKS1_PS1_EviT_T9_T10_S5_lS7_S5_lS6_T11_S5_li,"axG",@progbits,_ZL29rocblas_internal_gemmt_kernelIlLi16ELi32ELi8ELc84ELc78ELc85ELb0ELb0E19rocblas_complex_numIdES1_PKS1_PS1_EviT_T9_T10_S5_lS7_S5_lS6_T11_S5_li,comdat
	.globl	_ZL29rocblas_internal_gemmt_kernelIlLi16ELi32ELi8ELc84ELc78ELc85ELb0ELb0E19rocblas_complex_numIdES1_PKS1_PS1_EviT_T9_T10_S5_lS7_S5_lS6_T11_S5_li ; -- Begin function _ZL29rocblas_internal_gemmt_kernelIlLi16ELi32ELi8ELc84ELc78ELc85ELb0ELb0E19rocblas_complex_numIdES1_PKS1_PS1_EviT_T9_T10_S5_lS7_S5_lS6_T11_S5_li
	.p2align	8
	.type	_ZL29rocblas_internal_gemmt_kernelIlLi16ELi32ELi8ELc84ELc78ELc85ELb0ELb0E19rocblas_complex_numIdES1_PKS1_PS1_EviT_T9_T10_S5_lS7_S5_lS6_T11_S5_li,@function
_ZL29rocblas_internal_gemmt_kernelIlLi16ELi32ELi8ELc84ELc78ELc85ELb0ELb0E19rocblas_complex_numIdES1_PKS1_PS1_EviT_T9_T10_S5_lS7_S5_lS6_T11_S5_li: ; @_ZL29rocblas_internal_gemmt_kernelIlLi16ELi32ELi8ELc84ELc78ELc85ELb0ELb0E19rocblas_complex_numIdES1_PKS1_PS1_EviT_T9_T10_S5_lS7_S5_lS6_T11_S5_li
; %bb.0:
	s_clause 0x1
	s_load_b256 s[20:27], s[0:1], 0x48
	s_load_b512 s[4:19], s[0:1], 0x8
	s_wait_kmcnt 0x0
	v_cmp_eq_f64_e64 s3, s[22:23], 1.0
	v_cmp_eq_f64_e64 s2, s[24:25], 0
	s_and_b32 s3, s3, s2
	s_delay_alu instid0(SALU_CYCLE_1)
	s_and_not1_b32 vcc_lo, exec_lo, s3
	s_mov_b32 s3, -1
	s_cbranch_vccnz .LBB273_3
; %bb.1:
	s_cmp_lg_u64 s[4:5], 0
	s_cbranch_scc0 .LBB273_41
; %bb.2:
	v_cmp_neq_f64_e64 s3, s[6:7], 0
	v_cmp_neq_f64_e64 s28, s[8:9], 0
	s_or_b32 s3, s3, s28
.LBB273_3:
	s_delay_alu instid0(SALU_CYCLE_1)
	s_and_b32 vcc_lo, exec_lo, s3
	s_cbranch_vccz .LBB273_42
; %bb.4:
	s_load_b32 s33, s[0:1], 0x78
	s_bfe_u32 s3, ttmp6, 0x40014
	s_lshr_b32 s28, ttmp7, 16
	s_add_co_i32 s3, s3, 1
	s_bfe_u32 s30, ttmp6, 0x40008
	s_mul_i32 s29, s28, s3
	s_getreg_b32 s3, hwreg(HW_REG_IB_STS2, 6, 4)
	s_add_co_i32 s30, s30, s29
	s_cmp_eq_u32 s3, 0
	s_mov_b32 s35, 0
	s_cselect_b32 s34, s28, s30
	s_wait_kmcnt 0x0
	s_cmp_ge_u32 s34, s33
	s_cbranch_scc1 .LBB273_42
; %bb.5:
	v_and_b32_e32 v8, 0x3ff, v0
	v_bfe_u32 v9, v0, 10, 10
	s_bfe_u32 s29, ttmp6, 0x4000c
	s_bfe_u32 s31, ttmp6, 0x40010
	s_and_b32 s30, ttmp7, 0xffff
	s_add_co_i32 s29, s29, 1
	s_add_co_i32 s31, s31, 1
	s_and_b32 s28, ttmp6, 15
	v_lshl_add_u32 v14, v9, 4, v8
	s_mul_i32 s29, ttmp9, s29
	s_mul_i32 s31, s30, s31
	s_bfe_u32 s36, ttmp6, 0x40004
	s_add_co_i32 s28, s28, s29
	s_add_co_i32 s36, s36, s31
	s_cmp_eq_u32 s3, 0
	v_dual_lshrrev_b32 v15, 3, v14 :: v_dual_bitop2_b32 v16, 31, v14 bitop3:0x40
	s_cselect_b32 s3, ttmp9, s28
	s_cselect_b32 s28, s30, s36
	s_lshl_b32 s3, s3, 5
	s_lshl_b32 s36, s28, 5
	s_load_b128 s[28:31], s[0:1], 0x68
	v_dual_add_nc_u32 v4, s36, v15 :: v_dual_bitop2_b32 v2, s3, v16 bitop3:0x54
	v_dual_add_nc_u32 v22, s36, v9 :: v_dual_bitop2_b32 v6, 7, v0 bitop3:0x40
	v_cmp_neq_f64_e64 s37, s[6:7], 0
	s_delay_alu instid0(VALU_DEP_3) | instskip(NEXT) | instid1(VALU_DEP_3)
	v_dual_ashrrev_i32 v3, 31, v2 :: v_dual_ashrrev_i32 v5, 31, v4
	v_dual_add_nc_u32 v0, 16, v22 :: v_dual_ashrrev_i32 v23, 31, v22
	v_cmp_neq_f64_e64 s38, s[8:9], 0
	s_delay_alu instid0(VALU_DEP_3)
	v_mul_u64_e32 v[18:19], s[12:13], v[2:3]
	v_cmp_neq_f64_e64 s13, s[22:23], 0
	v_mul_u64_e32 v[20:21], s[18:19], v[4:5]
	v_dual_lshlrev_b32 v3, 4, v6 :: v_dual_ashrrev_i32 v1, 31, v0
	s_load_b32 s18, s[0:1], 0x0
	v_dual_lshlrev_b32 v7, 4, v8 :: v_dual_add_nc_u32 v8, s3, v8
	v_lshrrev_b32_e32 v14, 5, v14
	s_wait_kmcnt 0x0
	v_mul_u64_e32 v[10:11], s[28:29], v[22:23]
	v_mul_u64_e32 v[12:13], s[28:29], v[0:1]
	v_lshlrev_b32_e32 v1, 4, v16
	v_add_nc_u32_e32 v16, 16, v8
	s_xor_b32 s36, s2, -1
	v_cmp_le_i32_e32 vcc_lo, v8, v22
	v_lshl_add_u32 v43, v9, 7, 0x1000
	v_ashrrev_i32_e32 v9, 31, v8
	v_cmp_le_i32_e64 s3, v16, v22
	v_lshl_or_b32 v3, v15, 7, v3
	v_cmp_gt_i64_e64 s19, s[4:5], 0
	v_lshl_or_b32 v15, v14, 9, v1
	v_dual_ashrrev_i32 v17, 31, v16 :: v_dual_mov_b32 v1, 0
	s_delay_alu instid0(VALU_DEP_4)
	v_add_nc_u32_e32 v42, 0x1000, v3
	v_cmp_gt_i32_e64 s2, s18, v22
	v_cmp_gt_i32_e64 s1, s18, v4
	;; [unrolled: 1-line block ×3, first 2 shown]
	v_cmp_le_i32_e64 s12, s18, v2
                                        ; implicit-def: $vgpr22_vgpr23
	s_or_b32 s28, s37, s38
	v_lshl_add_u64 v[18:19], v[18:19], 4, s[10:11]
	s_or_b32 s10, s13, s36
	s_and_b32 s11, s2, vcc_lo
	s_and_b32 s13, s2, s3
	v_cmp_gt_i32_e32 vcc_lo, s18, v0
	v_cmp_le_i32_e64 s2, v8, v0
	v_cmp_le_i32_e64 s3, v16, v0
	v_lshl_add_u64 v[20:21], v[20:21], 4, s[16:17]
	s_and_b32 s16, s28, s19
	s_xor_b32 s1, s1, -1
	s_and_b32 s17, vcc_lo, s2
	s_and_b32 s18, vcc_lo, s3
	s_branch .LBB273_7
.LBB273_6:                              ;   in Loop: Header=BB273_7 Depth=1
	s_wait_xcnt 0x0
	s_or_b32 exec_lo, exec_lo, s2
	s_add_co_i32 s34, s34, 0x10000
	s_delay_alu instid0(SALU_CYCLE_1)
	s_cmp_lt_u32 s34, s33
	s_cbranch_scc0 .LBB273_42
.LBB273_7:                              ; =>This Loop Header: Depth=1
                                        ;     Child Loop BB273_10 Depth 2
	v_mov_b64_e32 v[34:35], 0
	s_and_not1_b32 vcc_lo, exec_lo, s16
	s_cbranch_vccnz .LBB273_20
; %bb.8:                                ;   in Loop: Header=BB273_7 Depth=1
	s_mul_u64 s[2:3], s[20:21], s[34:35]
	s_mul_u64 s[28:29], s[14:15], s[34:35]
	v_mov_b64_e32 v[38:39], 0
	v_mov_b64_e32 v[40:41], 0
	;; [unrolled: 1-line block ×8, first 2 shown]
	v_lshl_add_u64 v[4:5], s[28:29], 4, v[18:19]
	v_lshl_add_u64 v[24:25], s[2:3], 4, v[20:21]
	s_mov_b64 s[2:3], 0
	s_branch .LBB273_10
.LBB273_9:                              ;   in Loop: Header=BB273_10 Depth=2
	s_wait_xcnt 0x0
	s_or_b32 exec_lo, exec_lo, s19
	s_wait_dscnt 0x0
	s_barrier_signal -1
	s_barrier_wait -1
	ds_load_b128 v[44:47], v43
	ds_load_b128 v[48:51], v43 offset:16
	ds_load_b128 v[52:55], v43 offset:32
	;; [unrolled: 1-line block ×3, first 2 shown]
	ds_load_b128 v[60:63], v7
	s_add_nc_u64 s[2:3], s[2:3], 8
	s_delay_alu instid0(SALU_CYCLE_1) | instskip(SKIP_4) | instid1(VALU_DEP_2)
	v_cmp_gt_i64_e64 s19, s[4:5], s[2:3]
	s_and_b32 vcc_lo, exec_lo, s19
	s_wait_dscnt 0x0
	v_mul_f64_e32 v[2:3], v[46:47], v[62:63]
	v_mul_f64_e32 v[64:65], v[44:45], v[62:63]
	v_fma_f64 v[2:3], v[44:45], v[60:61], -v[2:3]
	s_delay_alu instid0(VALU_DEP_2) | instskip(NEXT) | instid1(VALU_DEP_2)
	v_fmac_f64_e32 v[64:65], v[46:47], v[60:61]
	v_add_f64_e32 v[2:3], v[34:35], v[2:3]
	s_delay_alu instid0(VALU_DEP_2) | instskip(SKIP_3) | instid1(VALU_DEP_1)
	v_add_f64_e32 v[64:65], v[64:65], v[36:37]
	ds_load_b128 v[34:37], v7 offset:256
	s_wait_dscnt 0x0
	v_mul_f64_e32 v[66:67], v[46:47], v[36:37]
	v_fma_f64 v[66:67], v[44:45], v[34:35], -v[66:67]
	v_mul_f64_e32 v[44:45], v[44:45], v[36:37]
	s_delay_alu instid0(VALU_DEP_1) | instskip(NEXT) | instid1(VALU_DEP_3)
	v_fmac_f64_e32 v[44:45], v[46:47], v[34:35]
	v_add_f64_e32 v[46:47], v[26:27], v[66:67]
	s_delay_alu instid0(VALU_DEP_2) | instskip(SKIP_4) | instid1(VALU_DEP_2)
	v_add_f64_e32 v[44:45], v[44:45], v[28:29]
	ds_load_b128 v[26:29], v43 offset:2048
	s_wait_dscnt 0x0
	v_mul_f64_e32 v[66:67], v[28:29], v[62:63]
	v_mul_f64_e32 v[62:63], v[26:27], v[62:63]
	v_fma_f64 v[66:67], v[26:27], v[60:61], -v[66:67]
	s_delay_alu instid0(VALU_DEP_2) | instskip(NEXT) | instid1(VALU_DEP_2)
	v_fmac_f64_e32 v[62:63], v[28:29], v[60:61]
	v_add_f64_e32 v[60:61], v[30:31], v[66:67]
	v_mul_f64_e32 v[30:31], v[28:29], v[36:37]
	s_delay_alu instid0(VALU_DEP_3) | instskip(NEXT) | instid1(VALU_DEP_2)
	v_add_f64_e32 v[62:63], v[62:63], v[32:33]
	v_fma_f64 v[30:31], v[26:27], v[34:35], -v[30:31]
	v_mul_f64_e32 v[26:27], v[26:27], v[36:37]
	s_delay_alu instid0(VALU_DEP_2) | instskip(NEXT) | instid1(VALU_DEP_2)
	v_add_f64_e32 v[40:41], v[40:41], v[30:31]
	v_fmac_f64_e32 v[26:27], v[28:29], v[34:35]
	s_delay_alu instid0(VALU_DEP_1) | instskip(SKIP_4) | instid1(VALU_DEP_2)
	v_add_f64_e32 v[38:39], v[26:27], v[38:39]
	ds_load_b128 v[26:29], v7 offset:512
	s_wait_dscnt 0x0
	v_mul_f64_e32 v[30:31], v[50:51], v[28:29]
	v_mul_f64_e32 v[32:33], v[48:49], v[28:29]
	v_fma_f64 v[30:31], v[48:49], v[26:27], -v[30:31]
	s_delay_alu instid0(VALU_DEP_2) | instskip(NEXT) | instid1(VALU_DEP_2)
	v_fmac_f64_e32 v[32:33], v[50:51], v[26:27]
	v_add_f64_e32 v[2:3], v[2:3], v[30:31]
	s_delay_alu instid0(VALU_DEP_2) | instskip(SKIP_4) | instid1(VALU_DEP_2)
	v_add_f64_e32 v[64:65], v[32:33], v[64:65]
	ds_load_b128 v[30:33], v7 offset:768
	s_wait_dscnt 0x0
	v_mul_f64_e32 v[34:35], v[50:51], v[32:33]
	v_mul_f64_e32 v[36:37], v[48:49], v[32:33]
	v_fma_f64 v[34:35], v[48:49], v[30:31], -v[34:35]
	s_delay_alu instid0(VALU_DEP_2) | instskip(NEXT) | instid1(VALU_DEP_2)
	v_fmac_f64_e32 v[36:37], v[50:51], v[30:31]
	v_add_f64_e32 v[46:47], v[46:47], v[34:35]
	s_delay_alu instid0(VALU_DEP_2) | instskip(SKIP_4) | instid1(VALU_DEP_2)
	v_add_f64_e32 v[44:45], v[36:37], v[44:45]
	ds_load_b128 v[34:37], v43 offset:2064
	s_wait_dscnt 0x0
	v_mul_f64_e32 v[48:49], v[36:37], v[28:29]
	v_mul_f64_e32 v[28:29], v[34:35], v[28:29]
	v_fma_f64 v[48:49], v[34:35], v[26:27], -v[48:49]
	s_delay_alu instid0(VALU_DEP_2) | instskip(SKIP_1) | instid1(VALU_DEP_3)
	v_fmac_f64_e32 v[28:29], v[36:37], v[26:27]
	v_mul_f64_e32 v[26:27], v[36:37], v[32:33]
	v_add_f64_e32 v[48:49], v[60:61], v[48:49]
	s_delay_alu instid0(VALU_DEP_3) | instskip(SKIP_1) | instid1(VALU_DEP_4)
	v_add_f64_e32 v[50:51], v[28:29], v[62:63]
	v_mul_f64_e32 v[28:29], v[34:35], v[32:33]
	v_fma_f64 v[26:27], v[34:35], v[30:31], -v[26:27]
	s_delay_alu instid0(VALU_DEP_2) | instskip(NEXT) | instid1(VALU_DEP_2)
	v_fmac_f64_e32 v[28:29], v[36:37], v[30:31]
	v_add_f64_e32 v[40:41], v[40:41], v[26:27]
	s_delay_alu instid0(VALU_DEP_2) | instskip(SKIP_4) | instid1(VALU_DEP_2)
	v_add_f64_e32 v[38:39], v[28:29], v[38:39]
	ds_load_b128 v[26:29], v7 offset:1024
	s_wait_dscnt 0x0
	v_mul_f64_e32 v[30:31], v[54:55], v[28:29]
	v_mul_f64_e32 v[32:33], v[52:53], v[28:29]
	v_fma_f64 v[30:31], v[52:53], v[26:27], -v[30:31]
	s_delay_alu instid0(VALU_DEP_2) | instskip(NEXT) | instid1(VALU_DEP_2)
	v_fmac_f64_e32 v[32:33], v[54:55], v[26:27]
	v_add_f64_e32 v[2:3], v[2:3], v[30:31]
	s_delay_alu instid0(VALU_DEP_2) | instskip(SKIP_4) | instid1(VALU_DEP_2)
	v_add_f64_e32 v[60:61], v[32:33], v[64:65]
	ds_load_b128 v[30:33], v7 offset:1280
	s_wait_dscnt 0x0
	v_mul_f64_e32 v[34:35], v[54:55], v[32:33]
	;; [unrolled: 10-line block ×3, first 2 shown]
	v_mul_f64_e32 v[28:29], v[34:35], v[28:29]
	v_fma_f64 v[52:53], v[34:35], v[26:27], -v[52:53]
	s_delay_alu instid0(VALU_DEP_2) | instskip(SKIP_1) | instid1(VALU_DEP_3)
	v_fmac_f64_e32 v[28:29], v[36:37], v[26:27]
	v_mul_f64_e32 v[26:27], v[36:37], v[32:33]
	v_add_f64_e32 v[48:49], v[48:49], v[52:53]
	s_delay_alu instid0(VALU_DEP_3) | instskip(SKIP_1) | instid1(VALU_DEP_4)
	v_add_f64_e32 v[50:51], v[28:29], v[50:51]
	v_mul_f64_e32 v[28:29], v[34:35], v[32:33]
	v_fma_f64 v[26:27], v[34:35], v[30:31], -v[26:27]
	s_delay_alu instid0(VALU_DEP_2) | instskip(NEXT) | instid1(VALU_DEP_2)
	v_fmac_f64_e32 v[28:29], v[36:37], v[30:31]
	v_add_f64_e32 v[40:41], v[40:41], v[26:27]
	s_delay_alu instid0(VALU_DEP_2) | instskip(SKIP_4) | instid1(VALU_DEP_2)
	v_add_f64_e32 v[38:39], v[28:29], v[38:39]
	ds_load_b128 v[26:29], v7 offset:1536
	s_wait_dscnt 0x0
	v_mul_f64_e32 v[30:31], v[58:59], v[28:29]
	v_mul_f64_e32 v[32:33], v[56:57], v[28:29]
	v_fma_f64 v[30:31], v[56:57], v[26:27], -v[30:31]
	s_delay_alu instid0(VALU_DEP_2) | instskip(NEXT) | instid1(VALU_DEP_2)
	v_fmac_f64_e32 v[32:33], v[58:59], v[26:27]
	v_add_f64_e32 v[2:3], v[2:3], v[30:31]
	s_delay_alu instid0(VALU_DEP_2) | instskip(SKIP_4) | instid1(VALU_DEP_2)
	v_add_f64_e32 v[52:53], v[32:33], v[60:61]
	ds_load_b128 v[30:33], v7 offset:1792
	s_wait_dscnt 0x0
	v_mul_f64_e32 v[34:35], v[58:59], v[32:33]
	;; [unrolled: 10-line block ×3, first 2 shown]
	v_mul_f64_e32 v[28:29], v[34:35], v[28:29]
	v_fma_f64 v[54:55], v[34:35], v[26:27], -v[54:55]
	s_delay_alu instid0(VALU_DEP_2) | instskip(SKIP_1) | instid1(VALU_DEP_3)
	v_fmac_f64_e32 v[28:29], v[36:37], v[26:27]
	v_mul_f64_e32 v[26:27], v[36:37], v[32:33]
	v_add_f64_e32 v[48:49], v[48:49], v[54:55]
	s_delay_alu instid0(VALU_DEP_3) | instskip(SKIP_1) | instid1(VALU_DEP_4)
	v_add_f64_e32 v[50:51], v[28:29], v[50:51]
	v_mul_f64_e32 v[28:29], v[34:35], v[32:33]
	v_fma_f64 v[26:27], v[34:35], v[30:31], -v[26:27]
	s_delay_alu instid0(VALU_DEP_2) | instskip(NEXT) | instid1(VALU_DEP_2)
	v_fmac_f64_e32 v[28:29], v[36:37], v[30:31]
	v_add_f64_e32 v[40:41], v[40:41], v[26:27]
	s_delay_alu instid0(VALU_DEP_2)
	v_add_f64_e32 v[38:39], v[28:29], v[38:39]
	ds_load_b128 v[26:29], v43 offset:64
	ds_load_b128 v[30:33], v7 offset:2048
	s_wait_dscnt 0x0
	v_mul_f64_e32 v[34:35], v[28:29], v[32:33]
	v_mul_f64_e32 v[36:37], v[26:27], v[32:33]
	s_delay_alu instid0(VALU_DEP_2) | instskip(NEXT) | instid1(VALU_DEP_2)
	v_fma_f64 v[34:35], v[26:27], v[30:31], -v[34:35]
	v_fmac_f64_e32 v[36:37], v[28:29], v[30:31]
	s_delay_alu instid0(VALU_DEP_2) | instskip(NEXT) | instid1(VALU_DEP_2)
	v_add_f64_e32 v[2:3], v[2:3], v[34:35]
	v_add_f64_e32 v[52:53], v[36:37], v[52:53]
	ds_load_b128 v[34:37], v7 offset:2304
	s_wait_dscnt 0x0
	v_mul_f64_e32 v[54:55], v[28:29], v[36:37]
	s_delay_alu instid0(VALU_DEP_1) | instskip(SKIP_1) | instid1(VALU_DEP_2)
	v_fma_f64 v[54:55], v[26:27], v[34:35], -v[54:55]
	v_mul_f64_e32 v[26:27], v[26:27], v[36:37]
	v_add_f64_e32 v[46:47], v[46:47], v[54:55]
	s_delay_alu instid0(VALU_DEP_2) | instskip(NEXT) | instid1(VALU_DEP_1)
	v_fmac_f64_e32 v[26:27], v[28:29], v[34:35]
	v_add_f64_e32 v[44:45], v[26:27], v[44:45]
	ds_load_b128 v[26:29], v43 offset:2112
	s_wait_dscnt 0x0
	v_mul_f64_e32 v[54:55], v[28:29], v[32:33]
	v_mul_f64_e32 v[32:33], v[26:27], v[32:33]
	s_delay_alu instid0(VALU_DEP_2) | instskip(NEXT) | instid1(VALU_DEP_2)
	v_fma_f64 v[54:55], v[26:27], v[30:31], -v[54:55]
	v_fmac_f64_e32 v[32:33], v[28:29], v[30:31]
	v_mul_f64_e32 v[30:31], v[28:29], v[36:37]
	s_delay_alu instid0(VALU_DEP_3) | instskip(NEXT) | instid1(VALU_DEP_3)
	v_add_f64_e32 v[48:49], v[48:49], v[54:55]
	v_add_f64_e32 v[50:51], v[32:33], v[50:51]
	s_delay_alu instid0(VALU_DEP_3) | instskip(SKIP_1) | instid1(VALU_DEP_2)
	v_fma_f64 v[30:31], v[26:27], v[34:35], -v[30:31]
	v_mul_f64_e32 v[26:27], v[26:27], v[36:37]
	v_add_f64_e32 v[40:41], v[40:41], v[30:31]
	s_delay_alu instid0(VALU_DEP_2) | instskip(NEXT) | instid1(VALU_DEP_1)
	v_fmac_f64_e32 v[26:27], v[28:29], v[34:35]
	v_add_f64_e32 v[38:39], v[26:27], v[38:39]
	ds_load_b128 v[26:29], v43 offset:80
	ds_load_b128 v[30:33], v7 offset:2560
	s_wait_dscnt 0x0
	v_mul_f64_e32 v[34:35], v[28:29], v[32:33]
	v_mul_f64_e32 v[36:37], v[26:27], v[32:33]
	s_delay_alu instid0(VALU_DEP_2) | instskip(NEXT) | instid1(VALU_DEP_2)
	v_fma_f64 v[34:35], v[26:27], v[30:31], -v[34:35]
	v_fmac_f64_e32 v[36:37], v[28:29], v[30:31]
	s_delay_alu instid0(VALU_DEP_2) | instskip(NEXT) | instid1(VALU_DEP_2)
	v_add_f64_e32 v[2:3], v[2:3], v[34:35]
	v_add_f64_e32 v[52:53], v[36:37], v[52:53]
	ds_load_b128 v[34:37], v7 offset:2816
	s_wait_dscnt 0x0
	v_mul_f64_e32 v[54:55], v[28:29], v[36:37]
	s_delay_alu instid0(VALU_DEP_1) | instskip(SKIP_1) | instid1(VALU_DEP_2)
	v_fma_f64 v[54:55], v[26:27], v[34:35], -v[54:55]
	v_mul_f64_e32 v[26:27], v[26:27], v[36:37]
	v_add_f64_e32 v[46:47], v[46:47], v[54:55]
	s_delay_alu instid0(VALU_DEP_2) | instskip(NEXT) | instid1(VALU_DEP_1)
	v_fmac_f64_e32 v[26:27], v[28:29], v[34:35]
	v_add_f64_e32 v[44:45], v[26:27], v[44:45]
	ds_load_b128 v[26:29], v43 offset:2128
	s_wait_dscnt 0x0
	v_mul_f64_e32 v[54:55], v[28:29], v[32:33]
	v_mul_f64_e32 v[32:33], v[26:27], v[32:33]
	s_delay_alu instid0(VALU_DEP_2) | instskip(NEXT) | instid1(VALU_DEP_2)
	v_fma_f64 v[54:55], v[26:27], v[30:31], -v[54:55]
	v_fmac_f64_e32 v[32:33], v[28:29], v[30:31]
	v_mul_f64_e32 v[30:31], v[28:29], v[36:37]
	s_delay_alu instid0(VALU_DEP_3) | instskip(NEXT) | instid1(VALU_DEP_3)
	v_add_f64_e32 v[48:49], v[48:49], v[54:55]
	v_add_f64_e32 v[50:51], v[32:33], v[50:51]
	s_delay_alu instid0(VALU_DEP_3) | instskip(SKIP_1) | instid1(VALU_DEP_2)
	v_fma_f64 v[30:31], v[26:27], v[34:35], -v[30:31]
	v_mul_f64_e32 v[26:27], v[26:27], v[36:37]
	v_add_f64_e32 v[40:41], v[40:41], v[30:31]
	s_delay_alu instid0(VALU_DEP_2) | instskip(NEXT) | instid1(VALU_DEP_1)
	v_fmac_f64_e32 v[26:27], v[28:29], v[34:35]
	v_add_f64_e32 v[38:39], v[26:27], v[38:39]
	ds_load_b128 v[26:29], v43 offset:96
	ds_load_b128 v[30:33], v7 offset:3072
	s_wait_dscnt 0x0
	v_mul_f64_e32 v[34:35], v[28:29], v[32:33]
	v_mul_f64_e32 v[36:37], v[26:27], v[32:33]
	s_delay_alu instid0(VALU_DEP_2) | instskip(NEXT) | instid1(VALU_DEP_2)
	v_fma_f64 v[34:35], v[26:27], v[30:31], -v[34:35]
	v_fmac_f64_e32 v[36:37], v[28:29], v[30:31]
	s_delay_alu instid0(VALU_DEP_2) | instskip(NEXT) | instid1(VALU_DEP_2)
	v_add_f64_e32 v[2:3], v[2:3], v[34:35]
	v_add_f64_e32 v[52:53], v[36:37], v[52:53]
	ds_load_b128 v[34:37], v7 offset:3328
	s_wait_dscnt 0x0
	v_mul_f64_e32 v[54:55], v[28:29], v[36:37]
	s_delay_alu instid0(VALU_DEP_1) | instskip(SKIP_1) | instid1(VALU_DEP_2)
	v_fma_f64 v[54:55], v[26:27], v[34:35], -v[54:55]
	v_mul_f64_e32 v[26:27], v[26:27], v[36:37]
	v_add_f64_e32 v[46:47], v[46:47], v[54:55]
	s_delay_alu instid0(VALU_DEP_2) | instskip(NEXT) | instid1(VALU_DEP_1)
	v_fmac_f64_e32 v[26:27], v[28:29], v[34:35]
	v_add_f64_e32 v[44:45], v[26:27], v[44:45]
	ds_load_b128 v[26:29], v43 offset:2144
	s_wait_dscnt 0x0
	v_mul_f64_e32 v[54:55], v[28:29], v[32:33]
	v_mul_f64_e32 v[32:33], v[26:27], v[32:33]
	s_delay_alu instid0(VALU_DEP_2) | instskip(NEXT) | instid1(VALU_DEP_2)
	v_fma_f64 v[54:55], v[26:27], v[30:31], -v[54:55]
	v_fmac_f64_e32 v[32:33], v[28:29], v[30:31]
	v_mul_f64_e32 v[30:31], v[28:29], v[36:37]
	s_delay_alu instid0(VALU_DEP_3) | instskip(NEXT) | instid1(VALU_DEP_3)
	v_add_f64_e32 v[48:49], v[48:49], v[54:55]
	v_add_f64_e32 v[50:51], v[32:33], v[50:51]
	s_delay_alu instid0(VALU_DEP_3) | instskip(SKIP_1) | instid1(VALU_DEP_2)
	v_fma_f64 v[30:31], v[26:27], v[34:35], -v[30:31]
	v_mul_f64_e32 v[26:27], v[26:27], v[36:37]
	v_add_f64_e32 v[54:55], v[40:41], v[30:31]
	s_delay_alu instid0(VALU_DEP_2) | instskip(NEXT) | instid1(VALU_DEP_1)
	v_fmac_f64_e32 v[26:27], v[28:29], v[34:35]
	v_add_f64_e32 v[56:57], v[26:27], v[38:39]
	ds_load_b128 v[26:29], v43 offset:112
	ds_load_b128 v[30:33], v7 offset:3584
	;; [unrolled: 1-line block ×3, first 2 shown]
	s_wait_dscnt 0x1
	v_mul_f64_e32 v[34:35], v[28:29], v[32:33]
	v_mul_f64_e32 v[36:37], v[26:27], v[32:33]
	s_delay_alu instid0(VALU_DEP_2) | instskip(NEXT) | instid1(VALU_DEP_2)
	v_fma_f64 v[34:35], v[26:27], v[30:31], -v[34:35]
	v_fmac_f64_e32 v[36:37], v[28:29], v[30:31]
	s_delay_alu instid0(VALU_DEP_2) | instskip(NEXT) | instid1(VALU_DEP_2)
	v_add_f64_e32 v[34:35], v[2:3], v[34:35]
	v_add_f64_e32 v[36:37], v[36:37], v[52:53]
	s_wait_dscnt 0x0
	v_mul_f64_e32 v[2:3], v[28:29], v[40:41]
	v_mul_f64_e32 v[52:53], v[26:27], v[40:41]
	s_delay_alu instid0(VALU_DEP_2) | instskip(NEXT) | instid1(VALU_DEP_2)
	v_fma_f64 v[2:3], v[26:27], v[38:39], -v[2:3]
	v_fmac_f64_e32 v[52:53], v[28:29], v[38:39]
	s_delay_alu instid0(VALU_DEP_2) | instskip(NEXT) | instid1(VALU_DEP_2)
	v_add_f64_e32 v[26:27], v[46:47], v[2:3]
	v_add_f64_e32 v[28:29], v[52:53], v[44:45]
	ds_load_b128 v[44:47], v43 offset:2160
	s_wait_dscnt 0x0
	s_barrier_signal -1
	s_barrier_wait -1
	v_mul_f64_e32 v[2:3], v[46:47], v[32:33]
	v_mul_f64_e32 v[32:33], v[44:45], v[32:33]
	s_delay_alu instid0(VALU_DEP_2) | instskip(NEXT) | instid1(VALU_DEP_2)
	v_fma_f64 v[2:3], v[44:45], v[30:31], -v[2:3]
	v_fmac_f64_e32 v[32:33], v[46:47], v[30:31]
	s_delay_alu instid0(VALU_DEP_2) | instskip(SKIP_1) | instid1(VALU_DEP_3)
	v_add_f64_e32 v[30:31], v[48:49], v[2:3]
	v_mul_f64_e32 v[2:3], v[46:47], v[40:41]
	v_add_f64_e32 v[32:33], v[32:33], v[50:51]
	s_delay_alu instid0(VALU_DEP_2) | instskip(SKIP_1) | instid1(VALU_DEP_2)
	v_fma_f64 v[2:3], v[44:45], v[38:39], -v[2:3]
	v_mul_f64_e32 v[44:45], v[44:45], v[40:41]
	v_add_f64_e32 v[40:41], v[54:55], v[2:3]
	s_delay_alu instid0(VALU_DEP_2) | instskip(NEXT) | instid1(VALU_DEP_1)
	v_fmac_f64_e32 v[44:45], v[46:47], v[38:39]
	v_add_f64_e32 v[38:39], v[44:45], v[56:57]
	s_cbranch_vccz .LBB273_21
.LBB273_10:                             ;   Parent Loop BB273_7 Depth=1
                                        ; =>  This Inner Loop Header: Depth=2
	s_mov_b32 s19, 0
	s_mov_b32 s29, s12
	s_and_saveexec_b32 s28, s0
	s_cbranch_execnz .LBB273_18
; %bb.11:                               ;   in Loop: Header=BB273_10 Depth=2
	s_or_b32 exec_lo, exec_lo, s28
	s_and_saveexec_b32 s28, s29
	s_delay_alu instid0(SALU_CYCLE_1)
	s_xor_b32 s28, exec_lo, s28
	s_cbranch_execnz .LBB273_19
.LBB273_12:                             ;   in Loop: Header=BB273_10 Depth=2
	s_or_b32 exec_lo, exec_lo, s28
	s_and_saveexec_b32 s28, s19
	s_cbranch_execz .LBB273_14
.LBB273_13:                             ;   in Loop: Header=BB273_10 Depth=2
	v_lshl_add_u64 v[2:3], v[22:23], 4, v[4:5]
	global_load_b128 v[44:47], v[2:3], off
	s_wait_loadcnt 0x0
	ds_store_2addr_b64 v15, v[44:45], v[46:47] offset1:1
.LBB273_14:                             ;   in Loop: Header=BB273_10 Depth=2
	s_wait_xcnt 0x0
	s_or_b32 exec_lo, exec_lo, s28
	v_add_nc_u32_e32 v0, s2, v6
	s_delay_alu instid0(VALU_DEP_1) | instskip(SKIP_1) | instid1(SALU_CYCLE_1)
	v_cmp_le_u64_e32 vcc_lo, s[4:5], v[0:1]
	s_or_b32 s19, vcc_lo, s1
	s_and_saveexec_b32 s28, s19
	s_delay_alu instid0(SALU_CYCLE_1)
	s_xor_b32 s19, exec_lo, s28
; %bb.15:                               ;   in Loop: Header=BB273_10 Depth=2
	v_dual_mov_b32 v0, v1 :: v_dual_mov_b32 v2, v1
	v_mov_b32_e32 v3, v1
	ds_store_b128 v42, v[0:3]
; %bb.16:                               ;   in Loop: Header=BB273_10 Depth=2
	s_and_not1_saveexec_b32 s19, s19
	s_cbranch_execz .LBB273_9
; %bb.17:                               ;   in Loop: Header=BB273_10 Depth=2
	v_lshl_add_u64 v[2:3], v[0:1], 4, v[24:25]
	global_load_b128 v[44:47], v[2:3], off
	s_wait_loadcnt 0x0
	ds_store_2addr_b64 v42, v[44:45], v[46:47] offset1:1
	s_branch .LBB273_9
.LBB273_18:                             ;   in Loop: Header=BB273_10 Depth=2
	v_add_nc_u32_e32 v0, s2, v14
	s_and_not1_b32 s29, s12, exec_lo
	s_mov_b32 s19, exec_lo
	s_delay_alu instid0(VALU_DEP_1) | instskip(SKIP_2) | instid1(SALU_CYCLE_1)
	v_cmp_le_u64_e32 vcc_lo, s[4:5], v[0:1]
	v_mov_b64_e32 v[22:23], v[0:1]
	s_and_b32 s36, vcc_lo, exec_lo
	s_or_b32 s29, s29, s36
	s_or_b32 exec_lo, exec_lo, s28
	s_and_saveexec_b32 s28, s29
	s_delay_alu instid0(SALU_CYCLE_1)
	s_xor_b32 s28, exec_lo, s28
	s_cbranch_execz .LBB273_12
.LBB273_19:                             ;   in Loop: Header=BB273_10 Depth=2
	v_dual_mov_b32 v0, v1 :: v_dual_mov_b32 v2, v1
	v_mov_b32_e32 v3, v1
	s_and_not1_b32 s19, s19, exec_lo
	ds_store_b128 v15, v[0:3]
	s_or_b32 exec_lo, exec_lo, s28
	s_and_saveexec_b32 s28, s19
	s_cbranch_execnz .LBB273_13
	s_branch .LBB273_14
.LBB273_20:                             ;   in Loop: Header=BB273_7 Depth=1
	v_mov_b64_e32 v[36:37], 0
	v_mov_b64_e32 v[26:27], 0
	;; [unrolled: 1-line block ×7, first 2 shown]
.LBB273_21:                             ;   in Loop: Header=BB273_7 Depth=1
	s_mul_u64 s[2:3], s[30:31], s[34:35]
	s_delay_alu instid0(SALU_CYCLE_1) | instskip(NEXT) | instid1(SALU_CYCLE_1)
	s_lshl_b64 s[2:3], s[2:3], 4
	s_add_nc_u64 s[2:3], s[26:27], s[2:3]
	s_delay_alu instid0(SALU_CYCLE_1)
	v_lshl_add_u64 v[24:25], v[10:11], 4, s[2:3]
	s_and_saveexec_b32 s19, s11
	s_cbranch_execz .LBB273_26
; %bb.22:                               ;   in Loop: Header=BB273_7 Depth=1
	v_mul_f64_e32 v[2:3], s[8:9], v[36:37]
	v_mul_f64_e32 v[4:5], s[6:7], v[36:37]
	s_and_b32 vcc_lo, exec_lo, s10
	s_mov_b32 s28, -1
	s_delay_alu instid0(VALU_DEP_2) | instskip(NEXT) | instid1(VALU_DEP_2)
	v_fma_f64 v[2:3], s[6:7], v[34:35], -v[2:3]
	v_fmac_f64_e32 v[4:5], s[8:9], v[34:35]
	v_lshl_add_u64 v[34:35], v[8:9], 4, v[24:25]
	s_cbranch_vccz .LBB273_24
; %bb.23:                               ;   in Loop: Header=BB273_7 Depth=1
	global_load_b128 v[44:47], v[34:35], off
	s_mov_b32 s28, 0
	s_wait_loadcnt 0x0
	v_mul_f64_e32 v[36:37], s[24:25], v[46:47]
	v_mul_f64_e32 v[46:47], s[22:23], v[46:47]
	s_delay_alu instid0(VALU_DEP_2) | instskip(NEXT) | instid1(VALU_DEP_2)
	v_fma_f64 v[36:37], s[22:23], v[44:45], -v[36:37]
	v_fmac_f64_e32 v[46:47], s[24:25], v[44:45]
	s_delay_alu instid0(VALU_DEP_2) | instskip(NEXT) | instid1(VALU_DEP_2)
	v_add_f64_e32 v[44:45], v[2:3], v[36:37]
	v_add_f64_e32 v[46:47], v[4:5], v[46:47]
	global_store_b128 v[34:35], v[44:47], off
.LBB273_24:                             ;   in Loop: Header=BB273_7 Depth=1
	s_and_not1_b32 vcc_lo, exec_lo, s28
	s_cbranch_vccnz .LBB273_26
; %bb.25:                               ;   in Loop: Header=BB273_7 Depth=1
	global_store_b128 v[34:35], v[2:5], off
.LBB273_26:                             ;   in Loop: Header=BB273_7 Depth=1
	s_wait_xcnt 0x0
	s_or_b32 exec_lo, exec_lo, s19
	s_and_saveexec_b32 s19, s13
	s_cbranch_execz .LBB273_31
; %bb.27:                               ;   in Loop: Header=BB273_7 Depth=1
	v_mul_f64_e32 v[2:3], s[8:9], v[28:29]
	v_mul_f64_e32 v[4:5], s[6:7], v[28:29]
	v_lshl_add_u64 v[24:25], v[16:17], 4, v[24:25]
	s_and_not1_b32 vcc_lo, exec_lo, s10
	s_mov_b32 s28, -1
	s_delay_alu instid0(VALU_DEP_3) | instskip(NEXT) | instid1(VALU_DEP_3)
	v_fma_f64 v[2:3], s[6:7], v[26:27], -v[2:3]
	v_fmac_f64_e32 v[4:5], s[8:9], v[26:27]
	s_cbranch_vccnz .LBB273_29
; %bb.28:                               ;   in Loop: Header=BB273_7 Depth=1
	global_load_b128 v[26:29], v[24:25], off
	s_mov_b32 s28, 0
	s_wait_loadcnt 0x0
	v_mul_f64_e32 v[34:35], s[24:25], v[28:29]
	v_mul_f64_e32 v[28:29], s[22:23], v[28:29]
	s_delay_alu instid0(VALU_DEP_2) | instskip(NEXT) | instid1(VALU_DEP_2)
	v_fma_f64 v[34:35], s[22:23], v[26:27], -v[34:35]
	v_fmac_f64_e32 v[28:29], s[24:25], v[26:27]
	s_delay_alu instid0(VALU_DEP_2) | instskip(NEXT) | instid1(VALU_DEP_2)
	v_add_f64_e32 v[26:27], v[2:3], v[34:35]
	v_add_f64_e32 v[28:29], v[4:5], v[28:29]
	global_store_b128 v[24:25], v[26:29], off
.LBB273_29:                             ;   in Loop: Header=BB273_7 Depth=1
	s_and_not1_b32 vcc_lo, exec_lo, s28
	s_cbranch_vccnz .LBB273_31
; %bb.30:                               ;   in Loop: Header=BB273_7 Depth=1
	global_store_b128 v[24:25], v[2:5], off
.LBB273_31:                             ;   in Loop: Header=BB273_7 Depth=1
	s_wait_xcnt 0x0
	s_or_b32 exec_lo, exec_lo, s19
	v_lshl_add_u64 v[24:25], v[12:13], 4, s[2:3]
	s_and_saveexec_b32 s2, s17
	s_cbranch_execz .LBB273_36
; %bb.32:                               ;   in Loop: Header=BB273_7 Depth=1
	v_mul_f64_e32 v[2:3], s[8:9], v[32:33]
	v_mul_f64_e32 v[4:5], s[6:7], v[32:33]
	v_lshl_add_u64 v[26:27], v[8:9], 4, v[24:25]
	s_and_not1_b32 vcc_lo, exec_lo, s10
	s_mov_b32 s3, -1
	s_delay_alu instid0(VALU_DEP_3) | instskip(NEXT) | instid1(VALU_DEP_3)
	v_fma_f64 v[2:3], s[6:7], v[30:31], -v[2:3]
	v_fmac_f64_e32 v[4:5], s[8:9], v[30:31]
	s_cbranch_vccnz .LBB273_34
; %bb.33:                               ;   in Loop: Header=BB273_7 Depth=1
	global_load_b128 v[28:31], v[26:27], off
	s_mov_b32 s3, 0
	s_wait_loadcnt 0x0
	v_mul_f64_e32 v[32:33], s[24:25], v[30:31]
	v_mul_f64_e32 v[30:31], s[22:23], v[30:31]
	s_delay_alu instid0(VALU_DEP_2) | instskip(NEXT) | instid1(VALU_DEP_2)
	v_fma_f64 v[32:33], s[22:23], v[28:29], -v[32:33]
	v_fmac_f64_e32 v[30:31], s[24:25], v[28:29]
	s_delay_alu instid0(VALU_DEP_2) | instskip(NEXT) | instid1(VALU_DEP_2)
	v_add_f64_e32 v[28:29], v[2:3], v[32:33]
	v_add_f64_e32 v[30:31], v[4:5], v[30:31]
	global_store_b128 v[26:27], v[28:31], off
.LBB273_34:                             ;   in Loop: Header=BB273_7 Depth=1
	s_and_not1_b32 vcc_lo, exec_lo, s3
	s_cbranch_vccnz .LBB273_36
; %bb.35:                               ;   in Loop: Header=BB273_7 Depth=1
	global_store_b128 v[26:27], v[2:5], off
.LBB273_36:                             ;   in Loop: Header=BB273_7 Depth=1
	s_wait_xcnt 0x0
	s_or_b32 exec_lo, exec_lo, s2
	s_and_saveexec_b32 s2, s18
	s_cbranch_execz .LBB273_6
; %bb.37:                               ;   in Loop: Header=BB273_7 Depth=1
	s_delay_alu instid0(VALU_DEP_3) | instskip(SKIP_4) | instid1(VALU_DEP_3)
	v_mul_f64_e32 v[2:3], s[8:9], v[38:39]
	v_mul_f64_e32 v[4:5], s[6:7], v[38:39]
	v_lshl_add_u64 v[24:25], v[16:17], 4, v[24:25]
	s_and_not1_b32 vcc_lo, exec_lo, s10
	s_mov_b32 s3, -1
	v_fma_f64 v[2:3], s[6:7], v[40:41], -v[2:3]
	s_delay_alu instid0(VALU_DEP_3)
	v_fmac_f64_e32 v[4:5], s[8:9], v[40:41]
	s_cbranch_vccnz .LBB273_39
; %bb.38:                               ;   in Loop: Header=BB273_7 Depth=1
	global_load_b128 v[26:29], v[24:25], off
	s_mov_b32 s3, 0
	s_wait_loadcnt 0x0
	v_mul_f64_e32 v[30:31], s[24:25], v[28:29]
	v_mul_f64_e32 v[28:29], s[22:23], v[28:29]
	s_delay_alu instid0(VALU_DEP_2) | instskip(NEXT) | instid1(VALU_DEP_2)
	v_fma_f64 v[30:31], s[22:23], v[26:27], -v[30:31]
	v_fmac_f64_e32 v[28:29], s[24:25], v[26:27]
	s_delay_alu instid0(VALU_DEP_2) | instskip(NEXT) | instid1(VALU_DEP_2)
	v_add_f64_e32 v[26:27], v[2:3], v[30:31]
	v_add_f64_e32 v[28:29], v[4:5], v[28:29]
	global_store_b128 v[24:25], v[26:29], off
.LBB273_39:                             ;   in Loop: Header=BB273_7 Depth=1
	s_and_not1_b32 vcc_lo, exec_lo, s3
	s_cbranch_vccnz .LBB273_6
; %bb.40:                               ;   in Loop: Header=BB273_7 Depth=1
	global_store_b128 v[24:25], v[2:5], off
	s_branch .LBB273_6
.LBB273_41:
.LBB273_42:
	s_sendmsg sendmsg(MSG_DEALLOC_VGPRS)
	s_endpgm
	.section	.rodata,"a",@progbits
	.p2align	6, 0x0
	.amdhsa_kernel _ZL29rocblas_internal_gemmt_kernelIlLi16ELi32ELi8ELc84ELc78ELc85ELb0ELb0E19rocblas_complex_numIdES1_PKS1_PS1_EviT_T9_T10_S5_lS7_S5_lS6_T11_S5_li
		.amdhsa_group_segment_fixed_size 8192
		.amdhsa_private_segment_fixed_size 0
		.amdhsa_kernarg_size 124
		.amdhsa_user_sgpr_count 2
		.amdhsa_user_sgpr_dispatch_ptr 0
		.amdhsa_user_sgpr_queue_ptr 0
		.amdhsa_user_sgpr_kernarg_segment_ptr 1
		.amdhsa_user_sgpr_dispatch_id 0
		.amdhsa_user_sgpr_kernarg_preload_length 0
		.amdhsa_user_sgpr_kernarg_preload_offset 0
		.amdhsa_user_sgpr_private_segment_size 0
		.amdhsa_wavefront_size32 1
		.amdhsa_uses_dynamic_stack 0
		.amdhsa_enable_private_segment 0
		.amdhsa_system_sgpr_workgroup_id_x 1
		.amdhsa_system_sgpr_workgroup_id_y 1
		.amdhsa_system_sgpr_workgroup_id_z 1
		.amdhsa_system_sgpr_workgroup_info 0
		.amdhsa_system_vgpr_workitem_id 1
		.amdhsa_next_free_vgpr 68
		.amdhsa_next_free_sgpr 39
		.amdhsa_named_barrier_count 0
		.amdhsa_reserve_vcc 1
		.amdhsa_float_round_mode_32 0
		.amdhsa_float_round_mode_16_64 0
		.amdhsa_float_denorm_mode_32 3
		.amdhsa_float_denorm_mode_16_64 3
		.amdhsa_fp16_overflow 0
		.amdhsa_memory_ordered 1
		.amdhsa_forward_progress 1
		.amdhsa_inst_pref_size 26
		.amdhsa_round_robin_scheduling 0
		.amdhsa_exception_fp_ieee_invalid_op 0
		.amdhsa_exception_fp_denorm_src 0
		.amdhsa_exception_fp_ieee_div_zero 0
		.amdhsa_exception_fp_ieee_overflow 0
		.amdhsa_exception_fp_ieee_underflow 0
		.amdhsa_exception_fp_ieee_inexact 0
		.amdhsa_exception_int_div_zero 0
	.end_amdhsa_kernel
	.section	.text._ZL29rocblas_internal_gemmt_kernelIlLi16ELi32ELi8ELc84ELc78ELc85ELb0ELb0E19rocblas_complex_numIdES1_PKS1_PS1_EviT_T9_T10_S5_lS7_S5_lS6_T11_S5_li,"axG",@progbits,_ZL29rocblas_internal_gemmt_kernelIlLi16ELi32ELi8ELc84ELc78ELc85ELb0ELb0E19rocblas_complex_numIdES1_PKS1_PS1_EviT_T9_T10_S5_lS7_S5_lS6_T11_S5_li,comdat
.Lfunc_end273:
	.size	_ZL29rocblas_internal_gemmt_kernelIlLi16ELi32ELi8ELc84ELc78ELc85ELb0ELb0E19rocblas_complex_numIdES1_PKS1_PS1_EviT_T9_T10_S5_lS7_S5_lS6_T11_S5_li, .Lfunc_end273-_ZL29rocblas_internal_gemmt_kernelIlLi16ELi32ELi8ELc84ELc78ELc85ELb0ELb0E19rocblas_complex_numIdES1_PKS1_PS1_EviT_T9_T10_S5_lS7_S5_lS6_T11_S5_li
                                        ; -- End function
	.set _ZL29rocblas_internal_gemmt_kernelIlLi16ELi32ELi8ELc84ELc78ELc85ELb0ELb0E19rocblas_complex_numIdES1_PKS1_PS1_EviT_T9_T10_S5_lS7_S5_lS6_T11_S5_li.num_vgpr, 68
	.set _ZL29rocblas_internal_gemmt_kernelIlLi16ELi32ELi8ELc84ELc78ELc85ELb0ELb0E19rocblas_complex_numIdES1_PKS1_PS1_EviT_T9_T10_S5_lS7_S5_lS6_T11_S5_li.num_agpr, 0
	.set _ZL29rocblas_internal_gemmt_kernelIlLi16ELi32ELi8ELc84ELc78ELc85ELb0ELb0E19rocblas_complex_numIdES1_PKS1_PS1_EviT_T9_T10_S5_lS7_S5_lS6_T11_S5_li.numbered_sgpr, 39
	.set _ZL29rocblas_internal_gemmt_kernelIlLi16ELi32ELi8ELc84ELc78ELc85ELb0ELb0E19rocblas_complex_numIdES1_PKS1_PS1_EviT_T9_T10_S5_lS7_S5_lS6_T11_S5_li.num_named_barrier, 0
	.set _ZL29rocblas_internal_gemmt_kernelIlLi16ELi32ELi8ELc84ELc78ELc85ELb0ELb0E19rocblas_complex_numIdES1_PKS1_PS1_EviT_T9_T10_S5_lS7_S5_lS6_T11_S5_li.private_seg_size, 0
	.set _ZL29rocblas_internal_gemmt_kernelIlLi16ELi32ELi8ELc84ELc78ELc85ELb0ELb0E19rocblas_complex_numIdES1_PKS1_PS1_EviT_T9_T10_S5_lS7_S5_lS6_T11_S5_li.uses_vcc, 1
	.set _ZL29rocblas_internal_gemmt_kernelIlLi16ELi32ELi8ELc84ELc78ELc85ELb0ELb0E19rocblas_complex_numIdES1_PKS1_PS1_EviT_T9_T10_S5_lS7_S5_lS6_T11_S5_li.uses_flat_scratch, 0
	.set _ZL29rocblas_internal_gemmt_kernelIlLi16ELi32ELi8ELc84ELc78ELc85ELb0ELb0E19rocblas_complex_numIdES1_PKS1_PS1_EviT_T9_T10_S5_lS7_S5_lS6_T11_S5_li.has_dyn_sized_stack, 0
	.set _ZL29rocblas_internal_gemmt_kernelIlLi16ELi32ELi8ELc84ELc78ELc85ELb0ELb0E19rocblas_complex_numIdES1_PKS1_PS1_EviT_T9_T10_S5_lS7_S5_lS6_T11_S5_li.has_recursion, 0
	.set _ZL29rocblas_internal_gemmt_kernelIlLi16ELi32ELi8ELc84ELc78ELc85ELb0ELb0E19rocblas_complex_numIdES1_PKS1_PS1_EviT_T9_T10_S5_lS7_S5_lS6_T11_S5_li.has_indirect_call, 0
	.section	.AMDGPU.csdata,"",@progbits
; Kernel info:
; codeLenInByte = 3224
; TotalNumSgprs: 41
; NumVgprs: 68
; ScratchSize: 0
; MemoryBound: 0
; FloatMode: 240
; IeeeMode: 1
; LDSByteSize: 8192 bytes/workgroup (compile time only)
; SGPRBlocks: 0
; VGPRBlocks: 4
; NumSGPRsForWavesPerEU: 41
; NumVGPRsForWavesPerEU: 68
; NamedBarCnt: 0
; Occupancy: 12
; WaveLimiterHint : 0
; COMPUTE_PGM_RSRC2:SCRATCH_EN: 0
; COMPUTE_PGM_RSRC2:USER_SGPR: 2
; COMPUTE_PGM_RSRC2:TRAP_HANDLER: 0
; COMPUTE_PGM_RSRC2:TGID_X_EN: 1
; COMPUTE_PGM_RSRC2:TGID_Y_EN: 1
; COMPUTE_PGM_RSRC2:TGID_Z_EN: 1
; COMPUTE_PGM_RSRC2:TIDIG_COMP_CNT: 1
	.section	.text._ZL29rocblas_internal_gemmt_kernelIlLi16ELi32ELi8ELc84ELc84ELc85ELb0ELb0E19rocblas_complex_numIdES1_PKS1_PS1_EviT_T9_T10_S5_lS7_S5_lS6_T11_S5_li,"axG",@progbits,_ZL29rocblas_internal_gemmt_kernelIlLi16ELi32ELi8ELc84ELc84ELc85ELb0ELb0E19rocblas_complex_numIdES1_PKS1_PS1_EviT_T9_T10_S5_lS7_S5_lS6_T11_S5_li,comdat
	.globl	_ZL29rocblas_internal_gemmt_kernelIlLi16ELi32ELi8ELc84ELc84ELc85ELb0ELb0E19rocblas_complex_numIdES1_PKS1_PS1_EviT_T9_T10_S5_lS7_S5_lS6_T11_S5_li ; -- Begin function _ZL29rocblas_internal_gemmt_kernelIlLi16ELi32ELi8ELc84ELc84ELc85ELb0ELb0E19rocblas_complex_numIdES1_PKS1_PS1_EviT_T9_T10_S5_lS7_S5_lS6_T11_S5_li
	.p2align	8
	.type	_ZL29rocblas_internal_gemmt_kernelIlLi16ELi32ELi8ELc84ELc84ELc85ELb0ELb0E19rocblas_complex_numIdES1_PKS1_PS1_EviT_T9_T10_S5_lS7_S5_lS6_T11_S5_li,@function
_ZL29rocblas_internal_gemmt_kernelIlLi16ELi32ELi8ELc84ELc84ELc85ELb0ELb0E19rocblas_complex_numIdES1_PKS1_PS1_EviT_T9_T10_S5_lS7_S5_lS6_T11_S5_li: ; @_ZL29rocblas_internal_gemmt_kernelIlLi16ELi32ELi8ELc84ELc84ELc85ELb0ELb0E19rocblas_complex_numIdES1_PKS1_PS1_EviT_T9_T10_S5_lS7_S5_lS6_T11_S5_li
; %bb.0:
	s_clause 0x1
	s_load_b256 s[20:27], s[0:1], 0x48
	s_load_b512 s[4:19], s[0:1], 0x8
	s_wait_kmcnt 0x0
	v_cmp_eq_f64_e64 s3, s[22:23], 1.0
	v_cmp_eq_f64_e64 s2, s[24:25], 0
	s_and_b32 s3, s3, s2
	s_delay_alu instid0(SALU_CYCLE_1)
	s_and_not1_b32 vcc_lo, exec_lo, s3
	s_mov_b32 s3, -1
	s_cbranch_vccnz .LBB274_3
; %bb.1:
	s_cmp_lg_u64 s[4:5], 0
	s_cbranch_scc0 .LBB274_41
; %bb.2:
	v_cmp_neq_f64_e64 s3, s[6:7], 0
	v_cmp_neq_f64_e64 s28, s[8:9], 0
	s_or_b32 s3, s3, s28
.LBB274_3:
	s_delay_alu instid0(SALU_CYCLE_1)
	s_and_b32 vcc_lo, exec_lo, s3
	s_cbranch_vccz .LBB274_42
; %bb.4:
	s_load_b32 s33, s[0:1], 0x78
	s_bfe_u32 s3, ttmp6, 0x40014
	s_lshr_b32 s28, ttmp7, 16
	s_add_co_i32 s3, s3, 1
	s_bfe_u32 s30, ttmp6, 0x40008
	s_mul_i32 s29, s28, s3
	s_getreg_b32 s3, hwreg(HW_REG_IB_STS2, 6, 4)
	s_add_co_i32 s30, s30, s29
	s_cmp_eq_u32 s3, 0
	s_mov_b32 s35, 0
	s_cselect_b32 s34, s28, s30
	s_wait_kmcnt 0x0
	s_cmp_ge_u32 s34, s33
	s_cbranch_scc1 .LBB274_42
; %bb.5:
	v_and_b32_e32 v9, 0x3ff, v0
	v_bfe_u32 v11, v0, 10, 10
	s_bfe_u32 s28, ttmp6, 0x4000c
	s_bfe_u32 s30, ttmp6, 0x40010
	s_add_co_i32 s28, s28, 1
	s_and_b32 s31, ttmp7, 0xffff
	s_add_co_i32 s30, s30, 1
	v_lshl_add_u32 v8, v11, 4, v9
	s_and_b32 s29, ttmp6, 15
	s_mul_i32 s28, ttmp9, s28
	s_mul_i32 s30, s31, s30
	s_bfe_u32 s36, ttmp6, 0x40004
	s_add_co_i32 s29, s29, s28
	s_add_co_i32 s36, s36, s30
	s_cmp_eq_u32 s3, 0
	v_and_b32_e32 v16, 31, v8
	s_cselect_b32 s3, ttmp9, s29
	s_cselect_b32 s36, s31, s36
	s_lshl_b32 s3, s3, 5
	s_clause 0x1
	s_load_b128 s[28:31], s[0:1], 0x68
	s_load_b32 s37, s[0:1], 0x0
	s_wait_xcnt 0x0
	s_lshl_b32 s0, s36, 5
	s_delay_alu instid0(SALU_CYCLE_1) | instskip(SKIP_2) | instid1(VALU_DEP_3)
	v_dual_add_nc_u32 v4, s0, v11 :: v_dual_bitop2_b32 v2, s3, v16 bitop3:0x54
	v_dual_lshlrev_b32 v7, 4, v9 :: v_dual_bitop2_b32 v6, 7, v0 bitop3:0x40
	v_cmp_neq_f64_e64 s36, s[6:7], 0
	v_dual_ashrrev_i32 v3, 31, v2 :: v_dual_add_nc_u32 v22, 16, v4
	v_lshrrev_b32_e32 v17, 3, v8
	v_dual_ashrrev_i32 v5, 31, v4 :: v_dual_add_nc_u32 v10, s3, v9
	s_delay_alu instid0(VALU_DEP_3)
	v_mul_u64_e32 v[0:1], s[12:13], v[2:3]
	v_lshlrev_b32_e32 v3, 4, v6
	v_cmp_neq_f64_e64 s13, s[22:23], 0
	v_ashrrev_i32_e32 v23, 31, v22
	v_cmp_neq_f64_e64 s38, s[8:9], 0
	v_dual_lshrrev_b32 v8, 5, v8 :: v_dual_add_nc_u32 v18, s0, v17
	s_wait_kmcnt 0x0
	v_mul_u64_e32 v[12:13], s[28:29], v[4:5]
	v_mul_u64_e32 v[14:15], s[28:29], v[22:23]
	v_dual_lshlrev_b32 v5, 4, v16 :: v_dual_add_nc_u32 v16, 16, v10
	s_xor_b32 s40, s2, -1
	v_cmp_le_i32_e32 vcc_lo, v10, v4
	v_cmp_gt_i32_e64 s2, s37, v4
	v_lshl_or_b32 v3, v17, 7, v3
	v_cmp_le_i32_e64 s3, v16, v4
	v_dual_ashrrev_i32 v19, 31, v18 :: v_dual_ashrrev_i32 v17, 31, v16
	v_cmp_gt_i64_e64 s39, s[4:5], 0
	v_cmp_gt_i32_e64 s1, s37, v18
	v_cmp_gt_i32_e64 s0, s37, v2
	v_cmp_le_i32_e64 s12, s37, v2
	v_lshl_or_b32 v9, v8, 9, v5
	v_add_nc_u32_e32 v42, 0x1000, v3
	v_lshl_add_u64 v[18:19], v[18:19], 4, s[16:17]
	v_lshl_add_u32 v43, v11, 7, 0x1000
	v_ashrrev_i32_e32 v11, 31, v10
	s_xor_b32 s1, s1, -1
	v_lshl_add_u64 v[20:21], v[0:1], 4, s[10:11]
	s_and_b32 s11, s2, vcc_lo
	s_or_b32 s10, s13, s40
	s_and_b32 s13, s2, s3
	v_cmp_gt_i32_e32 vcc_lo, s37, v22
	v_cmp_le_i32_e64 s2, v10, v22
	v_cmp_le_i32_e64 s3, v16, v22
	v_mov_b32_e32 v1, 0
	s_or_b32 s16, s36, s38
                                        ; implicit-def: $vgpr22_vgpr23
	s_delay_alu instid0(SALU_CYCLE_1)
	s_and_b32 s16, s16, s39
	s_and_b32 s17, vcc_lo, s2
	s_and_b32 s28, vcc_lo, s3
	s_branch .LBB274_7
.LBB274_6:                              ;   in Loop: Header=BB274_7 Depth=1
	s_wait_xcnt 0x0
	s_or_b32 exec_lo, exec_lo, s2
	s_add_co_i32 s34, s34, 0x10000
	s_delay_alu instid0(SALU_CYCLE_1)
	s_cmp_lt_u32 s34, s33
	s_cbranch_scc0 .LBB274_42
.LBB274_7:                              ; =>This Loop Header: Depth=1
                                        ;     Child Loop BB274_10 Depth 2
	v_mov_b64_e32 v[34:35], 0
	s_and_not1_b32 vcc_lo, exec_lo, s16
	s_cbranch_vccnz .LBB274_20
; %bb.8:                                ;   in Loop: Header=BB274_7 Depth=1
	s_mul_u64 s[2:3], s[20:21], s[34:35]
	s_mul_u64 s[36:37], s[14:15], s[34:35]
	v_mov_b64_e32 v[38:39], 0
	v_mov_b64_e32 v[40:41], 0
	;; [unrolled: 1-line block ×8, first 2 shown]
	v_lshl_add_u64 v[4:5], s[36:37], 4, v[20:21]
	v_lshl_add_u64 v[24:25], s[2:3], 4, v[18:19]
	s_mov_b64 s[2:3], 0
	s_branch .LBB274_10
.LBB274_9:                              ;   in Loop: Header=BB274_10 Depth=2
	s_wait_xcnt 0x0
	s_or_b32 exec_lo, exec_lo, s29
	s_wait_dscnt 0x0
	s_barrier_signal -1
	s_barrier_wait -1
	ds_load_b128 v[44:47], v43
	ds_load_b128 v[48:51], v43 offset:16
	ds_load_b128 v[52:55], v43 offset:32
	;; [unrolled: 1-line block ×3, first 2 shown]
	ds_load_b128 v[60:63], v7
	s_add_nc_u64 s[2:3], s[2:3], 8
	s_delay_alu instid0(SALU_CYCLE_1) | instskip(SKIP_4) | instid1(VALU_DEP_2)
	v_cmp_gt_i64_e64 s29, s[4:5], s[2:3]
	s_and_b32 vcc_lo, exec_lo, s29
	s_wait_dscnt 0x0
	v_mul_f64_e32 v[2:3], v[46:47], v[62:63]
	v_mul_f64_e32 v[64:65], v[44:45], v[62:63]
	v_fma_f64 v[2:3], v[44:45], v[60:61], -v[2:3]
	s_delay_alu instid0(VALU_DEP_2) | instskip(NEXT) | instid1(VALU_DEP_2)
	v_fmac_f64_e32 v[64:65], v[46:47], v[60:61]
	v_add_f64_e32 v[2:3], v[34:35], v[2:3]
	s_delay_alu instid0(VALU_DEP_2) | instskip(SKIP_3) | instid1(VALU_DEP_1)
	v_add_f64_e32 v[64:65], v[64:65], v[36:37]
	ds_load_b128 v[34:37], v7 offset:256
	s_wait_dscnt 0x0
	v_mul_f64_e32 v[66:67], v[46:47], v[36:37]
	v_fma_f64 v[66:67], v[44:45], v[34:35], -v[66:67]
	v_mul_f64_e32 v[44:45], v[44:45], v[36:37]
	s_delay_alu instid0(VALU_DEP_1) | instskip(NEXT) | instid1(VALU_DEP_3)
	v_fmac_f64_e32 v[44:45], v[46:47], v[34:35]
	v_add_f64_e32 v[46:47], v[26:27], v[66:67]
	s_delay_alu instid0(VALU_DEP_2) | instskip(SKIP_4) | instid1(VALU_DEP_2)
	v_add_f64_e32 v[44:45], v[44:45], v[28:29]
	ds_load_b128 v[26:29], v43 offset:2048
	s_wait_dscnt 0x0
	v_mul_f64_e32 v[66:67], v[28:29], v[62:63]
	v_mul_f64_e32 v[62:63], v[26:27], v[62:63]
	v_fma_f64 v[66:67], v[26:27], v[60:61], -v[66:67]
	s_delay_alu instid0(VALU_DEP_2) | instskip(NEXT) | instid1(VALU_DEP_2)
	v_fmac_f64_e32 v[62:63], v[28:29], v[60:61]
	v_add_f64_e32 v[60:61], v[30:31], v[66:67]
	v_mul_f64_e32 v[30:31], v[28:29], v[36:37]
	s_delay_alu instid0(VALU_DEP_3) | instskip(NEXT) | instid1(VALU_DEP_2)
	v_add_f64_e32 v[62:63], v[62:63], v[32:33]
	v_fma_f64 v[30:31], v[26:27], v[34:35], -v[30:31]
	v_mul_f64_e32 v[26:27], v[26:27], v[36:37]
	s_delay_alu instid0(VALU_DEP_2) | instskip(NEXT) | instid1(VALU_DEP_2)
	v_add_f64_e32 v[40:41], v[40:41], v[30:31]
	v_fmac_f64_e32 v[26:27], v[28:29], v[34:35]
	s_delay_alu instid0(VALU_DEP_1) | instskip(SKIP_4) | instid1(VALU_DEP_2)
	v_add_f64_e32 v[38:39], v[26:27], v[38:39]
	ds_load_b128 v[26:29], v7 offset:512
	s_wait_dscnt 0x0
	v_mul_f64_e32 v[30:31], v[50:51], v[28:29]
	v_mul_f64_e32 v[32:33], v[48:49], v[28:29]
	v_fma_f64 v[30:31], v[48:49], v[26:27], -v[30:31]
	s_delay_alu instid0(VALU_DEP_2) | instskip(NEXT) | instid1(VALU_DEP_2)
	v_fmac_f64_e32 v[32:33], v[50:51], v[26:27]
	v_add_f64_e32 v[2:3], v[2:3], v[30:31]
	s_delay_alu instid0(VALU_DEP_2) | instskip(SKIP_4) | instid1(VALU_DEP_2)
	v_add_f64_e32 v[64:65], v[32:33], v[64:65]
	ds_load_b128 v[30:33], v7 offset:768
	s_wait_dscnt 0x0
	v_mul_f64_e32 v[34:35], v[50:51], v[32:33]
	v_mul_f64_e32 v[36:37], v[48:49], v[32:33]
	v_fma_f64 v[34:35], v[48:49], v[30:31], -v[34:35]
	s_delay_alu instid0(VALU_DEP_2) | instskip(NEXT) | instid1(VALU_DEP_2)
	v_fmac_f64_e32 v[36:37], v[50:51], v[30:31]
	v_add_f64_e32 v[46:47], v[46:47], v[34:35]
	s_delay_alu instid0(VALU_DEP_2) | instskip(SKIP_4) | instid1(VALU_DEP_2)
	v_add_f64_e32 v[44:45], v[36:37], v[44:45]
	ds_load_b128 v[34:37], v43 offset:2064
	s_wait_dscnt 0x0
	v_mul_f64_e32 v[48:49], v[36:37], v[28:29]
	v_mul_f64_e32 v[28:29], v[34:35], v[28:29]
	v_fma_f64 v[48:49], v[34:35], v[26:27], -v[48:49]
	s_delay_alu instid0(VALU_DEP_2) | instskip(SKIP_1) | instid1(VALU_DEP_3)
	v_fmac_f64_e32 v[28:29], v[36:37], v[26:27]
	v_mul_f64_e32 v[26:27], v[36:37], v[32:33]
	v_add_f64_e32 v[48:49], v[60:61], v[48:49]
	s_delay_alu instid0(VALU_DEP_3) | instskip(SKIP_1) | instid1(VALU_DEP_4)
	v_add_f64_e32 v[50:51], v[28:29], v[62:63]
	v_mul_f64_e32 v[28:29], v[34:35], v[32:33]
	v_fma_f64 v[26:27], v[34:35], v[30:31], -v[26:27]
	s_delay_alu instid0(VALU_DEP_2) | instskip(NEXT) | instid1(VALU_DEP_2)
	v_fmac_f64_e32 v[28:29], v[36:37], v[30:31]
	v_add_f64_e32 v[40:41], v[40:41], v[26:27]
	s_delay_alu instid0(VALU_DEP_2) | instskip(SKIP_4) | instid1(VALU_DEP_2)
	v_add_f64_e32 v[38:39], v[28:29], v[38:39]
	ds_load_b128 v[26:29], v7 offset:1024
	s_wait_dscnt 0x0
	v_mul_f64_e32 v[30:31], v[54:55], v[28:29]
	v_mul_f64_e32 v[32:33], v[52:53], v[28:29]
	v_fma_f64 v[30:31], v[52:53], v[26:27], -v[30:31]
	s_delay_alu instid0(VALU_DEP_2) | instskip(NEXT) | instid1(VALU_DEP_2)
	v_fmac_f64_e32 v[32:33], v[54:55], v[26:27]
	v_add_f64_e32 v[2:3], v[2:3], v[30:31]
	s_delay_alu instid0(VALU_DEP_2) | instskip(SKIP_4) | instid1(VALU_DEP_2)
	v_add_f64_e32 v[60:61], v[32:33], v[64:65]
	ds_load_b128 v[30:33], v7 offset:1280
	s_wait_dscnt 0x0
	v_mul_f64_e32 v[34:35], v[54:55], v[32:33]
	;; [unrolled: 10-line block ×3, first 2 shown]
	v_mul_f64_e32 v[28:29], v[34:35], v[28:29]
	v_fma_f64 v[52:53], v[34:35], v[26:27], -v[52:53]
	s_delay_alu instid0(VALU_DEP_2) | instskip(SKIP_1) | instid1(VALU_DEP_3)
	v_fmac_f64_e32 v[28:29], v[36:37], v[26:27]
	v_mul_f64_e32 v[26:27], v[36:37], v[32:33]
	v_add_f64_e32 v[48:49], v[48:49], v[52:53]
	s_delay_alu instid0(VALU_DEP_3) | instskip(SKIP_1) | instid1(VALU_DEP_4)
	v_add_f64_e32 v[50:51], v[28:29], v[50:51]
	v_mul_f64_e32 v[28:29], v[34:35], v[32:33]
	v_fma_f64 v[26:27], v[34:35], v[30:31], -v[26:27]
	s_delay_alu instid0(VALU_DEP_2) | instskip(NEXT) | instid1(VALU_DEP_2)
	v_fmac_f64_e32 v[28:29], v[36:37], v[30:31]
	v_add_f64_e32 v[40:41], v[40:41], v[26:27]
	s_delay_alu instid0(VALU_DEP_2) | instskip(SKIP_4) | instid1(VALU_DEP_2)
	v_add_f64_e32 v[38:39], v[28:29], v[38:39]
	ds_load_b128 v[26:29], v7 offset:1536
	s_wait_dscnt 0x0
	v_mul_f64_e32 v[30:31], v[58:59], v[28:29]
	v_mul_f64_e32 v[32:33], v[56:57], v[28:29]
	v_fma_f64 v[30:31], v[56:57], v[26:27], -v[30:31]
	s_delay_alu instid0(VALU_DEP_2) | instskip(NEXT) | instid1(VALU_DEP_2)
	v_fmac_f64_e32 v[32:33], v[58:59], v[26:27]
	v_add_f64_e32 v[2:3], v[2:3], v[30:31]
	s_delay_alu instid0(VALU_DEP_2) | instskip(SKIP_4) | instid1(VALU_DEP_2)
	v_add_f64_e32 v[52:53], v[32:33], v[60:61]
	ds_load_b128 v[30:33], v7 offset:1792
	s_wait_dscnt 0x0
	v_mul_f64_e32 v[34:35], v[58:59], v[32:33]
	;; [unrolled: 10-line block ×3, first 2 shown]
	v_mul_f64_e32 v[28:29], v[34:35], v[28:29]
	v_fma_f64 v[54:55], v[34:35], v[26:27], -v[54:55]
	s_delay_alu instid0(VALU_DEP_2) | instskip(SKIP_1) | instid1(VALU_DEP_3)
	v_fmac_f64_e32 v[28:29], v[36:37], v[26:27]
	v_mul_f64_e32 v[26:27], v[36:37], v[32:33]
	v_add_f64_e32 v[48:49], v[48:49], v[54:55]
	s_delay_alu instid0(VALU_DEP_3) | instskip(SKIP_1) | instid1(VALU_DEP_4)
	v_add_f64_e32 v[50:51], v[28:29], v[50:51]
	v_mul_f64_e32 v[28:29], v[34:35], v[32:33]
	v_fma_f64 v[26:27], v[34:35], v[30:31], -v[26:27]
	s_delay_alu instid0(VALU_DEP_2) | instskip(NEXT) | instid1(VALU_DEP_2)
	v_fmac_f64_e32 v[28:29], v[36:37], v[30:31]
	v_add_f64_e32 v[40:41], v[40:41], v[26:27]
	s_delay_alu instid0(VALU_DEP_2)
	v_add_f64_e32 v[38:39], v[28:29], v[38:39]
	ds_load_b128 v[26:29], v43 offset:64
	ds_load_b128 v[30:33], v7 offset:2048
	s_wait_dscnt 0x0
	v_mul_f64_e32 v[34:35], v[28:29], v[32:33]
	v_mul_f64_e32 v[36:37], v[26:27], v[32:33]
	s_delay_alu instid0(VALU_DEP_2) | instskip(NEXT) | instid1(VALU_DEP_2)
	v_fma_f64 v[34:35], v[26:27], v[30:31], -v[34:35]
	v_fmac_f64_e32 v[36:37], v[28:29], v[30:31]
	s_delay_alu instid0(VALU_DEP_2) | instskip(NEXT) | instid1(VALU_DEP_2)
	v_add_f64_e32 v[2:3], v[2:3], v[34:35]
	v_add_f64_e32 v[52:53], v[36:37], v[52:53]
	ds_load_b128 v[34:37], v7 offset:2304
	s_wait_dscnt 0x0
	v_mul_f64_e32 v[54:55], v[28:29], v[36:37]
	s_delay_alu instid0(VALU_DEP_1) | instskip(SKIP_1) | instid1(VALU_DEP_2)
	v_fma_f64 v[54:55], v[26:27], v[34:35], -v[54:55]
	v_mul_f64_e32 v[26:27], v[26:27], v[36:37]
	v_add_f64_e32 v[46:47], v[46:47], v[54:55]
	s_delay_alu instid0(VALU_DEP_2) | instskip(NEXT) | instid1(VALU_DEP_1)
	v_fmac_f64_e32 v[26:27], v[28:29], v[34:35]
	v_add_f64_e32 v[44:45], v[26:27], v[44:45]
	ds_load_b128 v[26:29], v43 offset:2112
	s_wait_dscnt 0x0
	v_mul_f64_e32 v[54:55], v[28:29], v[32:33]
	v_mul_f64_e32 v[32:33], v[26:27], v[32:33]
	s_delay_alu instid0(VALU_DEP_2) | instskip(NEXT) | instid1(VALU_DEP_2)
	v_fma_f64 v[54:55], v[26:27], v[30:31], -v[54:55]
	v_fmac_f64_e32 v[32:33], v[28:29], v[30:31]
	v_mul_f64_e32 v[30:31], v[28:29], v[36:37]
	s_delay_alu instid0(VALU_DEP_3) | instskip(NEXT) | instid1(VALU_DEP_3)
	v_add_f64_e32 v[48:49], v[48:49], v[54:55]
	v_add_f64_e32 v[50:51], v[32:33], v[50:51]
	s_delay_alu instid0(VALU_DEP_3) | instskip(SKIP_1) | instid1(VALU_DEP_2)
	v_fma_f64 v[30:31], v[26:27], v[34:35], -v[30:31]
	v_mul_f64_e32 v[26:27], v[26:27], v[36:37]
	v_add_f64_e32 v[40:41], v[40:41], v[30:31]
	s_delay_alu instid0(VALU_DEP_2) | instskip(NEXT) | instid1(VALU_DEP_1)
	v_fmac_f64_e32 v[26:27], v[28:29], v[34:35]
	v_add_f64_e32 v[38:39], v[26:27], v[38:39]
	ds_load_b128 v[26:29], v43 offset:80
	ds_load_b128 v[30:33], v7 offset:2560
	s_wait_dscnt 0x0
	v_mul_f64_e32 v[34:35], v[28:29], v[32:33]
	v_mul_f64_e32 v[36:37], v[26:27], v[32:33]
	s_delay_alu instid0(VALU_DEP_2) | instskip(NEXT) | instid1(VALU_DEP_2)
	v_fma_f64 v[34:35], v[26:27], v[30:31], -v[34:35]
	v_fmac_f64_e32 v[36:37], v[28:29], v[30:31]
	s_delay_alu instid0(VALU_DEP_2) | instskip(NEXT) | instid1(VALU_DEP_2)
	v_add_f64_e32 v[2:3], v[2:3], v[34:35]
	v_add_f64_e32 v[52:53], v[36:37], v[52:53]
	ds_load_b128 v[34:37], v7 offset:2816
	s_wait_dscnt 0x0
	v_mul_f64_e32 v[54:55], v[28:29], v[36:37]
	s_delay_alu instid0(VALU_DEP_1) | instskip(SKIP_1) | instid1(VALU_DEP_2)
	v_fma_f64 v[54:55], v[26:27], v[34:35], -v[54:55]
	v_mul_f64_e32 v[26:27], v[26:27], v[36:37]
	v_add_f64_e32 v[46:47], v[46:47], v[54:55]
	s_delay_alu instid0(VALU_DEP_2) | instskip(NEXT) | instid1(VALU_DEP_1)
	v_fmac_f64_e32 v[26:27], v[28:29], v[34:35]
	v_add_f64_e32 v[44:45], v[26:27], v[44:45]
	ds_load_b128 v[26:29], v43 offset:2128
	s_wait_dscnt 0x0
	v_mul_f64_e32 v[54:55], v[28:29], v[32:33]
	v_mul_f64_e32 v[32:33], v[26:27], v[32:33]
	s_delay_alu instid0(VALU_DEP_2) | instskip(NEXT) | instid1(VALU_DEP_2)
	v_fma_f64 v[54:55], v[26:27], v[30:31], -v[54:55]
	v_fmac_f64_e32 v[32:33], v[28:29], v[30:31]
	v_mul_f64_e32 v[30:31], v[28:29], v[36:37]
	s_delay_alu instid0(VALU_DEP_3) | instskip(NEXT) | instid1(VALU_DEP_3)
	v_add_f64_e32 v[48:49], v[48:49], v[54:55]
	v_add_f64_e32 v[50:51], v[32:33], v[50:51]
	s_delay_alu instid0(VALU_DEP_3) | instskip(SKIP_1) | instid1(VALU_DEP_2)
	v_fma_f64 v[30:31], v[26:27], v[34:35], -v[30:31]
	v_mul_f64_e32 v[26:27], v[26:27], v[36:37]
	v_add_f64_e32 v[40:41], v[40:41], v[30:31]
	s_delay_alu instid0(VALU_DEP_2) | instskip(NEXT) | instid1(VALU_DEP_1)
	v_fmac_f64_e32 v[26:27], v[28:29], v[34:35]
	;; [unrolled: 39-line block ×3, first 2 shown]
	v_add_f64_e32 v[56:57], v[26:27], v[38:39]
	ds_load_b128 v[26:29], v43 offset:112
	ds_load_b128 v[30:33], v7 offset:3584
	;; [unrolled: 1-line block ×3, first 2 shown]
	s_wait_dscnt 0x1
	v_mul_f64_e32 v[34:35], v[28:29], v[32:33]
	v_mul_f64_e32 v[36:37], v[26:27], v[32:33]
	s_delay_alu instid0(VALU_DEP_2) | instskip(NEXT) | instid1(VALU_DEP_2)
	v_fma_f64 v[34:35], v[26:27], v[30:31], -v[34:35]
	v_fmac_f64_e32 v[36:37], v[28:29], v[30:31]
	s_delay_alu instid0(VALU_DEP_2) | instskip(NEXT) | instid1(VALU_DEP_2)
	v_add_f64_e32 v[34:35], v[2:3], v[34:35]
	v_add_f64_e32 v[36:37], v[36:37], v[52:53]
	s_wait_dscnt 0x0
	v_mul_f64_e32 v[2:3], v[28:29], v[40:41]
	v_mul_f64_e32 v[52:53], v[26:27], v[40:41]
	s_delay_alu instid0(VALU_DEP_2) | instskip(NEXT) | instid1(VALU_DEP_2)
	v_fma_f64 v[2:3], v[26:27], v[38:39], -v[2:3]
	v_fmac_f64_e32 v[52:53], v[28:29], v[38:39]
	s_delay_alu instid0(VALU_DEP_2) | instskip(NEXT) | instid1(VALU_DEP_2)
	v_add_f64_e32 v[26:27], v[46:47], v[2:3]
	v_add_f64_e32 v[28:29], v[52:53], v[44:45]
	ds_load_b128 v[44:47], v43 offset:2160
	s_wait_dscnt 0x0
	s_barrier_signal -1
	s_barrier_wait -1
	v_mul_f64_e32 v[2:3], v[46:47], v[32:33]
	v_mul_f64_e32 v[32:33], v[44:45], v[32:33]
	s_delay_alu instid0(VALU_DEP_2) | instskip(NEXT) | instid1(VALU_DEP_2)
	v_fma_f64 v[2:3], v[44:45], v[30:31], -v[2:3]
	v_fmac_f64_e32 v[32:33], v[46:47], v[30:31]
	s_delay_alu instid0(VALU_DEP_2) | instskip(SKIP_1) | instid1(VALU_DEP_3)
	v_add_f64_e32 v[30:31], v[48:49], v[2:3]
	v_mul_f64_e32 v[2:3], v[46:47], v[40:41]
	v_add_f64_e32 v[32:33], v[32:33], v[50:51]
	s_delay_alu instid0(VALU_DEP_2) | instskip(SKIP_1) | instid1(VALU_DEP_2)
	v_fma_f64 v[2:3], v[44:45], v[38:39], -v[2:3]
	v_mul_f64_e32 v[44:45], v[44:45], v[40:41]
	v_add_f64_e32 v[40:41], v[54:55], v[2:3]
	s_delay_alu instid0(VALU_DEP_2) | instskip(NEXT) | instid1(VALU_DEP_1)
	v_fmac_f64_e32 v[44:45], v[46:47], v[38:39]
	v_add_f64_e32 v[38:39], v[44:45], v[56:57]
	s_cbranch_vccz .LBB274_21
.LBB274_10:                             ;   Parent Loop BB274_7 Depth=1
                                        ; =>  This Inner Loop Header: Depth=2
	s_mov_b32 s29, 0
	s_mov_b32 s37, s12
	s_and_saveexec_b32 s36, s0
	s_cbranch_execnz .LBB274_18
; %bb.11:                               ;   in Loop: Header=BB274_10 Depth=2
	s_or_b32 exec_lo, exec_lo, s36
	s_and_saveexec_b32 s36, s37
	s_delay_alu instid0(SALU_CYCLE_1)
	s_xor_b32 s36, exec_lo, s36
	s_cbranch_execnz .LBB274_19
.LBB274_12:                             ;   in Loop: Header=BB274_10 Depth=2
	s_or_b32 exec_lo, exec_lo, s36
	s_and_saveexec_b32 s36, s29
	s_cbranch_execz .LBB274_14
.LBB274_13:                             ;   in Loop: Header=BB274_10 Depth=2
	v_lshl_add_u64 v[2:3], v[22:23], 4, v[4:5]
	global_load_b128 v[44:47], v[2:3], off
	s_wait_loadcnt 0x0
	ds_store_2addr_b64 v9, v[44:45], v[46:47] offset1:1
.LBB274_14:                             ;   in Loop: Header=BB274_10 Depth=2
	s_wait_xcnt 0x0
	s_or_b32 exec_lo, exec_lo, s36
	v_add_nc_u32_e32 v0, s2, v6
	s_delay_alu instid0(VALU_DEP_1) | instskip(SKIP_1) | instid1(SALU_CYCLE_1)
	v_cmp_le_u64_e32 vcc_lo, s[4:5], v[0:1]
	s_or_b32 s29, vcc_lo, s1
	s_and_saveexec_b32 s36, s29
	s_delay_alu instid0(SALU_CYCLE_1)
	s_xor_b32 s29, exec_lo, s36
; %bb.15:                               ;   in Loop: Header=BB274_10 Depth=2
	v_dual_mov_b32 v0, v1 :: v_dual_mov_b32 v2, v1
	v_mov_b32_e32 v3, v1
	ds_store_b128 v42, v[0:3]
; %bb.16:                               ;   in Loop: Header=BB274_10 Depth=2
	s_and_not1_saveexec_b32 s29, s29
	s_cbranch_execz .LBB274_9
; %bb.17:                               ;   in Loop: Header=BB274_10 Depth=2
	v_mul_u64_e32 v[2:3], s[18:19], v[0:1]
	s_delay_alu instid0(VALU_DEP_1)
	v_lshl_add_u64 v[2:3], v[2:3], 4, v[24:25]
	global_load_b128 v[44:47], v[2:3], off
	s_wait_loadcnt 0x0
	ds_store_2addr_b64 v42, v[44:45], v[46:47] offset1:1
	s_branch .LBB274_9
.LBB274_18:                             ;   in Loop: Header=BB274_10 Depth=2
	v_add_nc_u32_e32 v0, s2, v8
	s_and_not1_b32 s37, s12, exec_lo
	s_mov_b32 s29, exec_lo
	s_delay_alu instid0(VALU_DEP_1) | instskip(SKIP_2) | instid1(SALU_CYCLE_1)
	v_cmp_le_u64_e32 vcc_lo, s[4:5], v[0:1]
	v_mov_b64_e32 v[22:23], v[0:1]
	s_and_b32 s38, vcc_lo, exec_lo
	s_or_b32 s37, s37, s38
	s_or_b32 exec_lo, exec_lo, s36
	s_and_saveexec_b32 s36, s37
	s_delay_alu instid0(SALU_CYCLE_1)
	s_xor_b32 s36, exec_lo, s36
	s_cbranch_execz .LBB274_12
.LBB274_19:                             ;   in Loop: Header=BB274_10 Depth=2
	v_dual_mov_b32 v0, v1 :: v_dual_mov_b32 v2, v1
	v_mov_b32_e32 v3, v1
	s_and_not1_b32 s29, s29, exec_lo
	ds_store_b128 v9, v[0:3]
	s_or_b32 exec_lo, exec_lo, s36
	s_and_saveexec_b32 s36, s29
	s_cbranch_execnz .LBB274_13
	s_branch .LBB274_14
.LBB274_20:                             ;   in Loop: Header=BB274_7 Depth=1
	v_mov_b64_e32 v[36:37], 0
	v_mov_b64_e32 v[26:27], 0
	;; [unrolled: 1-line block ×7, first 2 shown]
.LBB274_21:                             ;   in Loop: Header=BB274_7 Depth=1
	s_mul_u64 s[2:3], s[30:31], s[34:35]
	s_delay_alu instid0(SALU_CYCLE_1) | instskip(NEXT) | instid1(SALU_CYCLE_1)
	s_lshl_b64 s[2:3], s[2:3], 4
	s_add_nc_u64 s[2:3], s[26:27], s[2:3]
	s_delay_alu instid0(SALU_CYCLE_1)
	v_lshl_add_u64 v[24:25], v[12:13], 4, s[2:3]
	s_and_saveexec_b32 s29, s11
	s_cbranch_execz .LBB274_26
; %bb.22:                               ;   in Loop: Header=BB274_7 Depth=1
	v_mul_f64_e32 v[2:3], s[8:9], v[36:37]
	v_mul_f64_e32 v[4:5], s[6:7], v[36:37]
	s_and_b32 vcc_lo, exec_lo, s10
	s_mov_b32 s36, -1
	s_delay_alu instid0(VALU_DEP_2) | instskip(NEXT) | instid1(VALU_DEP_2)
	v_fma_f64 v[2:3], s[6:7], v[34:35], -v[2:3]
	v_fmac_f64_e32 v[4:5], s[8:9], v[34:35]
	v_lshl_add_u64 v[34:35], v[10:11], 4, v[24:25]
	s_cbranch_vccz .LBB274_24
; %bb.23:                               ;   in Loop: Header=BB274_7 Depth=1
	global_load_b128 v[44:47], v[34:35], off
	s_mov_b32 s36, 0
	s_wait_loadcnt 0x0
	v_mul_f64_e32 v[36:37], s[24:25], v[46:47]
	v_mul_f64_e32 v[46:47], s[22:23], v[46:47]
	s_delay_alu instid0(VALU_DEP_2) | instskip(NEXT) | instid1(VALU_DEP_2)
	v_fma_f64 v[36:37], s[22:23], v[44:45], -v[36:37]
	v_fmac_f64_e32 v[46:47], s[24:25], v[44:45]
	s_delay_alu instid0(VALU_DEP_2) | instskip(NEXT) | instid1(VALU_DEP_2)
	v_add_f64_e32 v[44:45], v[2:3], v[36:37]
	v_add_f64_e32 v[46:47], v[4:5], v[46:47]
	global_store_b128 v[34:35], v[44:47], off
.LBB274_24:                             ;   in Loop: Header=BB274_7 Depth=1
	s_and_not1_b32 vcc_lo, exec_lo, s36
	s_cbranch_vccnz .LBB274_26
; %bb.25:                               ;   in Loop: Header=BB274_7 Depth=1
	global_store_b128 v[34:35], v[2:5], off
.LBB274_26:                             ;   in Loop: Header=BB274_7 Depth=1
	s_wait_xcnt 0x0
	s_or_b32 exec_lo, exec_lo, s29
	s_and_saveexec_b32 s29, s13
	s_cbranch_execz .LBB274_31
; %bb.27:                               ;   in Loop: Header=BB274_7 Depth=1
	v_mul_f64_e32 v[2:3], s[8:9], v[28:29]
	v_mul_f64_e32 v[4:5], s[6:7], v[28:29]
	v_lshl_add_u64 v[24:25], v[16:17], 4, v[24:25]
	s_and_not1_b32 vcc_lo, exec_lo, s10
	s_mov_b32 s36, -1
	s_delay_alu instid0(VALU_DEP_3) | instskip(NEXT) | instid1(VALU_DEP_3)
	v_fma_f64 v[2:3], s[6:7], v[26:27], -v[2:3]
	v_fmac_f64_e32 v[4:5], s[8:9], v[26:27]
	s_cbranch_vccnz .LBB274_29
; %bb.28:                               ;   in Loop: Header=BB274_7 Depth=1
	global_load_b128 v[26:29], v[24:25], off
	s_mov_b32 s36, 0
	s_wait_loadcnt 0x0
	v_mul_f64_e32 v[34:35], s[24:25], v[28:29]
	v_mul_f64_e32 v[28:29], s[22:23], v[28:29]
	s_delay_alu instid0(VALU_DEP_2) | instskip(NEXT) | instid1(VALU_DEP_2)
	v_fma_f64 v[34:35], s[22:23], v[26:27], -v[34:35]
	v_fmac_f64_e32 v[28:29], s[24:25], v[26:27]
	s_delay_alu instid0(VALU_DEP_2) | instskip(NEXT) | instid1(VALU_DEP_2)
	v_add_f64_e32 v[26:27], v[2:3], v[34:35]
	v_add_f64_e32 v[28:29], v[4:5], v[28:29]
	global_store_b128 v[24:25], v[26:29], off
.LBB274_29:                             ;   in Loop: Header=BB274_7 Depth=1
	s_and_not1_b32 vcc_lo, exec_lo, s36
	s_cbranch_vccnz .LBB274_31
; %bb.30:                               ;   in Loop: Header=BB274_7 Depth=1
	global_store_b128 v[24:25], v[2:5], off
.LBB274_31:                             ;   in Loop: Header=BB274_7 Depth=1
	s_wait_xcnt 0x0
	s_or_b32 exec_lo, exec_lo, s29
	v_lshl_add_u64 v[24:25], v[14:15], 4, s[2:3]
	s_and_saveexec_b32 s2, s17
	s_cbranch_execz .LBB274_36
; %bb.32:                               ;   in Loop: Header=BB274_7 Depth=1
	v_mul_f64_e32 v[2:3], s[8:9], v[32:33]
	v_mul_f64_e32 v[4:5], s[6:7], v[32:33]
	v_lshl_add_u64 v[26:27], v[10:11], 4, v[24:25]
	s_and_not1_b32 vcc_lo, exec_lo, s10
	s_mov_b32 s3, -1
	s_delay_alu instid0(VALU_DEP_3) | instskip(NEXT) | instid1(VALU_DEP_3)
	v_fma_f64 v[2:3], s[6:7], v[30:31], -v[2:3]
	v_fmac_f64_e32 v[4:5], s[8:9], v[30:31]
	s_cbranch_vccnz .LBB274_34
; %bb.33:                               ;   in Loop: Header=BB274_7 Depth=1
	global_load_b128 v[28:31], v[26:27], off
	s_mov_b32 s3, 0
	s_wait_loadcnt 0x0
	v_mul_f64_e32 v[32:33], s[24:25], v[30:31]
	v_mul_f64_e32 v[30:31], s[22:23], v[30:31]
	s_delay_alu instid0(VALU_DEP_2) | instskip(NEXT) | instid1(VALU_DEP_2)
	v_fma_f64 v[32:33], s[22:23], v[28:29], -v[32:33]
	v_fmac_f64_e32 v[30:31], s[24:25], v[28:29]
	s_delay_alu instid0(VALU_DEP_2) | instskip(NEXT) | instid1(VALU_DEP_2)
	v_add_f64_e32 v[28:29], v[2:3], v[32:33]
	v_add_f64_e32 v[30:31], v[4:5], v[30:31]
	global_store_b128 v[26:27], v[28:31], off
.LBB274_34:                             ;   in Loop: Header=BB274_7 Depth=1
	s_and_not1_b32 vcc_lo, exec_lo, s3
	s_cbranch_vccnz .LBB274_36
; %bb.35:                               ;   in Loop: Header=BB274_7 Depth=1
	global_store_b128 v[26:27], v[2:5], off
.LBB274_36:                             ;   in Loop: Header=BB274_7 Depth=1
	s_wait_xcnt 0x0
	s_or_b32 exec_lo, exec_lo, s2
	s_and_saveexec_b32 s2, s28
	s_cbranch_execz .LBB274_6
; %bb.37:                               ;   in Loop: Header=BB274_7 Depth=1
	s_delay_alu instid0(VALU_DEP_3) | instskip(SKIP_4) | instid1(VALU_DEP_3)
	v_mul_f64_e32 v[2:3], s[8:9], v[38:39]
	v_mul_f64_e32 v[4:5], s[6:7], v[38:39]
	v_lshl_add_u64 v[24:25], v[16:17], 4, v[24:25]
	s_and_not1_b32 vcc_lo, exec_lo, s10
	s_mov_b32 s3, -1
	v_fma_f64 v[2:3], s[6:7], v[40:41], -v[2:3]
	s_delay_alu instid0(VALU_DEP_3)
	v_fmac_f64_e32 v[4:5], s[8:9], v[40:41]
	s_cbranch_vccnz .LBB274_39
; %bb.38:                               ;   in Loop: Header=BB274_7 Depth=1
	global_load_b128 v[26:29], v[24:25], off
	s_mov_b32 s3, 0
	s_wait_loadcnt 0x0
	v_mul_f64_e32 v[30:31], s[24:25], v[28:29]
	v_mul_f64_e32 v[28:29], s[22:23], v[28:29]
	s_delay_alu instid0(VALU_DEP_2) | instskip(NEXT) | instid1(VALU_DEP_2)
	v_fma_f64 v[30:31], s[22:23], v[26:27], -v[30:31]
	v_fmac_f64_e32 v[28:29], s[24:25], v[26:27]
	s_delay_alu instid0(VALU_DEP_2) | instskip(NEXT) | instid1(VALU_DEP_2)
	v_add_f64_e32 v[26:27], v[2:3], v[30:31]
	v_add_f64_e32 v[28:29], v[4:5], v[28:29]
	global_store_b128 v[24:25], v[26:29], off
.LBB274_39:                             ;   in Loop: Header=BB274_7 Depth=1
	s_and_not1_b32 vcc_lo, exec_lo, s3
	s_cbranch_vccnz .LBB274_6
; %bb.40:                               ;   in Loop: Header=BB274_7 Depth=1
	global_store_b128 v[24:25], v[2:5], off
	s_branch .LBB274_6
.LBB274_41:
.LBB274_42:
	s_sendmsg sendmsg(MSG_DEALLOC_VGPRS)
	s_endpgm
	.section	.rodata,"a",@progbits
	.p2align	6, 0x0
	.amdhsa_kernel _ZL29rocblas_internal_gemmt_kernelIlLi16ELi32ELi8ELc84ELc84ELc85ELb0ELb0E19rocblas_complex_numIdES1_PKS1_PS1_EviT_T9_T10_S5_lS7_S5_lS6_T11_S5_li
		.amdhsa_group_segment_fixed_size 8192
		.amdhsa_private_segment_fixed_size 0
		.amdhsa_kernarg_size 124
		.amdhsa_user_sgpr_count 2
		.amdhsa_user_sgpr_dispatch_ptr 0
		.amdhsa_user_sgpr_queue_ptr 0
		.amdhsa_user_sgpr_kernarg_segment_ptr 1
		.amdhsa_user_sgpr_dispatch_id 0
		.amdhsa_user_sgpr_kernarg_preload_length 0
		.amdhsa_user_sgpr_kernarg_preload_offset 0
		.amdhsa_user_sgpr_private_segment_size 0
		.amdhsa_wavefront_size32 1
		.amdhsa_uses_dynamic_stack 0
		.amdhsa_enable_private_segment 0
		.amdhsa_system_sgpr_workgroup_id_x 1
		.amdhsa_system_sgpr_workgroup_id_y 1
		.amdhsa_system_sgpr_workgroup_id_z 1
		.amdhsa_system_sgpr_workgroup_info 0
		.amdhsa_system_vgpr_workitem_id 1
		.amdhsa_next_free_vgpr 68
		.amdhsa_next_free_sgpr 41
		.amdhsa_named_barrier_count 0
		.amdhsa_reserve_vcc 1
		.amdhsa_float_round_mode_32 0
		.amdhsa_float_round_mode_16_64 0
		.amdhsa_float_denorm_mode_32 3
		.amdhsa_float_denorm_mode_16_64 3
		.amdhsa_fp16_overflow 0
		.amdhsa_memory_ordered 1
		.amdhsa_forward_progress 1
		.amdhsa_inst_pref_size 26
		.amdhsa_round_robin_scheduling 0
		.amdhsa_exception_fp_ieee_invalid_op 0
		.amdhsa_exception_fp_denorm_src 0
		.amdhsa_exception_fp_ieee_div_zero 0
		.amdhsa_exception_fp_ieee_overflow 0
		.amdhsa_exception_fp_ieee_underflow 0
		.amdhsa_exception_fp_ieee_inexact 0
		.amdhsa_exception_int_div_zero 0
	.end_amdhsa_kernel
	.section	.text._ZL29rocblas_internal_gemmt_kernelIlLi16ELi32ELi8ELc84ELc84ELc85ELb0ELb0E19rocblas_complex_numIdES1_PKS1_PS1_EviT_T9_T10_S5_lS7_S5_lS6_T11_S5_li,"axG",@progbits,_ZL29rocblas_internal_gemmt_kernelIlLi16ELi32ELi8ELc84ELc84ELc85ELb0ELb0E19rocblas_complex_numIdES1_PKS1_PS1_EviT_T9_T10_S5_lS7_S5_lS6_T11_S5_li,comdat
.Lfunc_end274:
	.size	_ZL29rocblas_internal_gemmt_kernelIlLi16ELi32ELi8ELc84ELc84ELc85ELb0ELb0E19rocblas_complex_numIdES1_PKS1_PS1_EviT_T9_T10_S5_lS7_S5_lS6_T11_S5_li, .Lfunc_end274-_ZL29rocblas_internal_gemmt_kernelIlLi16ELi32ELi8ELc84ELc84ELc85ELb0ELb0E19rocblas_complex_numIdES1_PKS1_PS1_EviT_T9_T10_S5_lS7_S5_lS6_T11_S5_li
                                        ; -- End function
	.set _ZL29rocblas_internal_gemmt_kernelIlLi16ELi32ELi8ELc84ELc84ELc85ELb0ELb0E19rocblas_complex_numIdES1_PKS1_PS1_EviT_T9_T10_S5_lS7_S5_lS6_T11_S5_li.num_vgpr, 68
	.set _ZL29rocblas_internal_gemmt_kernelIlLi16ELi32ELi8ELc84ELc84ELc85ELb0ELb0E19rocblas_complex_numIdES1_PKS1_PS1_EviT_T9_T10_S5_lS7_S5_lS6_T11_S5_li.num_agpr, 0
	.set _ZL29rocblas_internal_gemmt_kernelIlLi16ELi32ELi8ELc84ELc84ELc85ELb0ELb0E19rocblas_complex_numIdES1_PKS1_PS1_EviT_T9_T10_S5_lS7_S5_lS6_T11_S5_li.numbered_sgpr, 41
	.set _ZL29rocblas_internal_gemmt_kernelIlLi16ELi32ELi8ELc84ELc84ELc85ELb0ELb0E19rocblas_complex_numIdES1_PKS1_PS1_EviT_T9_T10_S5_lS7_S5_lS6_T11_S5_li.num_named_barrier, 0
	.set _ZL29rocblas_internal_gemmt_kernelIlLi16ELi32ELi8ELc84ELc84ELc85ELb0ELb0E19rocblas_complex_numIdES1_PKS1_PS1_EviT_T9_T10_S5_lS7_S5_lS6_T11_S5_li.private_seg_size, 0
	.set _ZL29rocblas_internal_gemmt_kernelIlLi16ELi32ELi8ELc84ELc84ELc85ELb0ELb0E19rocblas_complex_numIdES1_PKS1_PS1_EviT_T9_T10_S5_lS7_S5_lS6_T11_S5_li.uses_vcc, 1
	.set _ZL29rocblas_internal_gemmt_kernelIlLi16ELi32ELi8ELc84ELc84ELc85ELb0ELb0E19rocblas_complex_numIdES1_PKS1_PS1_EviT_T9_T10_S5_lS7_S5_lS6_T11_S5_li.uses_flat_scratch, 0
	.set _ZL29rocblas_internal_gemmt_kernelIlLi16ELi32ELi8ELc84ELc84ELc85ELb0ELb0E19rocblas_complex_numIdES1_PKS1_PS1_EviT_T9_T10_S5_lS7_S5_lS6_T11_S5_li.has_dyn_sized_stack, 0
	.set _ZL29rocblas_internal_gemmt_kernelIlLi16ELi32ELi8ELc84ELc84ELc85ELb0ELb0E19rocblas_complex_numIdES1_PKS1_PS1_EviT_T9_T10_S5_lS7_S5_lS6_T11_S5_li.has_recursion, 0
	.set _ZL29rocblas_internal_gemmt_kernelIlLi16ELi32ELi8ELc84ELc84ELc85ELb0ELb0E19rocblas_complex_numIdES1_PKS1_PS1_EviT_T9_T10_S5_lS7_S5_lS6_T11_S5_li.has_indirect_call, 0
	.section	.AMDGPU.csdata,"",@progbits
; Kernel info:
; codeLenInByte = 3232
; TotalNumSgprs: 43
; NumVgprs: 68
; ScratchSize: 0
; MemoryBound: 0
; FloatMode: 240
; IeeeMode: 1
; LDSByteSize: 8192 bytes/workgroup (compile time only)
; SGPRBlocks: 0
; VGPRBlocks: 4
; NumSGPRsForWavesPerEU: 43
; NumVGPRsForWavesPerEU: 68
; NamedBarCnt: 0
; Occupancy: 12
; WaveLimiterHint : 0
; COMPUTE_PGM_RSRC2:SCRATCH_EN: 0
; COMPUTE_PGM_RSRC2:USER_SGPR: 2
; COMPUTE_PGM_RSRC2:TRAP_HANDLER: 0
; COMPUTE_PGM_RSRC2:TGID_X_EN: 1
; COMPUTE_PGM_RSRC2:TGID_Y_EN: 1
; COMPUTE_PGM_RSRC2:TGID_Z_EN: 1
; COMPUTE_PGM_RSRC2:TIDIG_COMP_CNT: 1
	.section	.text._ZL29rocblas_internal_gemmt_kernelIlLi16ELi32ELi8ELc84ELc67ELc85ELb0ELb1E19rocblas_complex_numIdES1_PKS1_PS1_EviT_T9_T10_S5_lS7_S5_lS6_T11_S5_li,"axG",@progbits,_ZL29rocblas_internal_gemmt_kernelIlLi16ELi32ELi8ELc84ELc67ELc85ELb0ELb1E19rocblas_complex_numIdES1_PKS1_PS1_EviT_T9_T10_S5_lS7_S5_lS6_T11_S5_li,comdat
	.globl	_ZL29rocblas_internal_gemmt_kernelIlLi16ELi32ELi8ELc84ELc67ELc85ELb0ELb1E19rocblas_complex_numIdES1_PKS1_PS1_EviT_T9_T10_S5_lS7_S5_lS6_T11_S5_li ; -- Begin function _ZL29rocblas_internal_gemmt_kernelIlLi16ELi32ELi8ELc84ELc67ELc85ELb0ELb1E19rocblas_complex_numIdES1_PKS1_PS1_EviT_T9_T10_S5_lS7_S5_lS6_T11_S5_li
	.p2align	8
	.type	_ZL29rocblas_internal_gemmt_kernelIlLi16ELi32ELi8ELc84ELc67ELc85ELb0ELb1E19rocblas_complex_numIdES1_PKS1_PS1_EviT_T9_T10_S5_lS7_S5_lS6_T11_S5_li,@function
_ZL29rocblas_internal_gemmt_kernelIlLi16ELi32ELi8ELc84ELc67ELc85ELb0ELb1E19rocblas_complex_numIdES1_PKS1_PS1_EviT_T9_T10_S5_lS7_S5_lS6_T11_S5_li: ; @_ZL29rocblas_internal_gemmt_kernelIlLi16ELi32ELi8ELc84ELc67ELc85ELb0ELb1E19rocblas_complex_numIdES1_PKS1_PS1_EviT_T9_T10_S5_lS7_S5_lS6_T11_S5_li
; %bb.0:
	s_clause 0x1
	s_load_b256 s[24:31], s[0:1], 0x48
	s_load_b512 s[8:23], s[0:1], 0x8
	s_wait_kmcnt 0x0
	v_cmp_eq_f64_e64 s3, s[26:27], 1.0
	v_cmp_eq_f64_e64 s2, s[28:29], 0
	s_and_b32 s3, s3, s2
	s_delay_alu instid0(SALU_CYCLE_1)
	s_and_not1_b32 vcc_lo, exec_lo, s3
	s_mov_b32 s3, -1
	s_cbranch_vccnz .LBB275_3
; %bb.1:
	s_cmp_lg_u64 s[8:9], 0
	s_cbranch_scc0 .LBB275_39
; %bb.2:
	v_cmp_neq_f64_e64 s3, s[10:11], 0
	v_cmp_neq_f64_e64 s4, s[12:13], 0
	s_or_b32 s3, s3, s4
.LBB275_3:
	s_delay_alu instid0(SALU_CYCLE_1)
	s_and_b32 vcc_lo, exec_lo, s3
	s_cbranch_vccz .LBB275_40
; %bb.4:
	s_load_b32 s33, s[0:1], 0x78
	s_bfe_u32 s3, ttmp6, 0x40014
	s_lshr_b32 s4, ttmp7, 16
	s_add_co_i32 s3, s3, 1
	s_bfe_u32 s6, ttmp6, 0x40008
	s_mul_i32 s5, s4, s3
	s_getreg_b32 s3, hwreg(HW_REG_IB_STS2, 6, 4)
	s_add_co_i32 s6, s6, s5
	s_cmp_eq_u32 s3, 0
	s_mov_b32 s35, 0
	s_cselect_b32 s34, s4, s6
	s_wait_kmcnt 0x0
	s_cmp_ge_u32 s34, s33
	s_cbranch_scc1 .LBB275_40
; %bb.5:
	v_and_b32_e32 v8, 0x3ff, v0
	v_bfe_u32 v1, v0, 10, 10
	s_bfe_u32 s4, ttmp6, 0x4000c
	s_bfe_u32 s6, ttmp6, 0x40010
	s_add_co_i32 s4, s4, 1
	s_and_b32 s7, ttmp7, 0xffff
	s_add_co_i32 s6, s6, 1
	v_lshl_add_u32 v9, v1, 4, v8
	s_and_b32 s5, ttmp6, 15
	s_mul_i32 s4, ttmp9, s4
	s_mul_i32 s6, s7, s6
	s_bfe_u32 s36, ttmp6, 0x40004
	s_add_co_i32 s5, s5, s4
	s_add_co_i32 s36, s36, s6
	s_cmp_eq_u32 s3, 0
	v_and_b32_e32 v16, 31, v9
	s_cselect_b32 s3, ttmp9, s5
	s_cselect_b32 s36, s7, s36
	s_clause 0x1
	s_load_b128 s[4:7], s[0:1], 0x68
	s_load_b32 s39, s[0:1], 0x0
	s_lshl_b32 s3, s3, 5
	s_lshl_b32 s36, s36, 5
	s_delay_alu instid0(SALU_CYCLE_1) | instskip(SKIP_3) | instid1(VALU_DEP_4)
	v_dual_add_nc_u32 v22, s36, v1 :: v_dual_bitop2_b32 v2, s3, v16 bitop3:0x54
	v_and_b32_e32 v6, 7, v0
	v_lshl_add_u32 v15, v1, 7, 0x1000
	v_cmp_neq_f64_e64 s37, s[10:11], 0
	v_ashrrev_i32_e32 v3, 31, v2
	v_dual_add_nc_u32 v0, 16, v22 :: v_dual_ashrrev_i32 v23, 31, v22
	v_cmp_neq_f64_e64 s38, s[12:13], 0
	v_lshrrev_b32_e32 v17, 3, v9
	s_delay_alu instid0(VALU_DEP_4) | instskip(NEXT) | instid1(VALU_DEP_4)
	v_mul_u64_e32 v[4:5], s[16:17], v[2:3]
	v_ashrrev_i32_e32 v1, 31, v0
	v_cmp_neq_f64_e64 s17, s[26:27], 0
	v_dual_lshlrev_b32 v3, 4, v6 :: v_dual_lshlrev_b32 v7, 4, v8
	v_add_nc_u32_e32 v8, s3, v8
	s_wait_kmcnt 0x0
	v_mul_u64_e32 v[10:11], s[4:5], v[22:23]
	v_mul_u64_e32 v[12:13], s[4:5], v[0:1]
	v_add_nc_u32_e32 v18, s36, v17
	s_xor_b32 s41, s2, -1
	v_dual_lshrrev_b32 v14, 5, v9 :: v_dual_lshlrev_b32 v1, 4, v16
	v_cmp_le_i32_e32 vcc_lo, v8, v22
	v_add_nc_u32_e32 v16, 16, v8
	v_cmp_gt_i32_e64 s2, s39, v22
	v_lshl_or_b32 v3, v17, 7, v3
	v_dual_ashrrev_i32 v19, 31, v18 :: v_dual_ashrrev_i32 v9, 31, v8
	v_cmp_gt_i64_e64 s40, s[8:9], 0
	v_cmp_gt_i32_e64 s3, s39, v0
	v_cmp_le_i32_e64 s4, v8, v0
	v_cmp_le_i32_e64 s5, v16, v0
	v_cmp_gt_i32_e64 s0, s39, v2
	v_cmp_le_i32_e64 s16, s39, v2
	v_lshl_or_b32 v44, v14, 9, v1
	v_cmp_gt_i32_e64 s1, s39, v18
	v_add_nc_u32_e32 v45, 0x1000, v3
	v_lshl_add_u64 v[18:19], v[18:19], 4, s[20:21]
	v_dual_ashrrev_i32 v17, 31, v16 :: v_dual_mov_b32 v1, 0
	s_or_b32 s20, s37, s38
	s_and_b32 s4, s3, s4
	v_lshl_add_u64 v[20:21], v[4:5], 4, s[14:15]
	s_and_b32 s15, s2, vcc_lo
	v_cmp_le_i32_e32 vcc_lo, v16, v22
	s_or_b32 s14, s17, s41
	s_and_b32 s17, s20, s40
	s_and_b32 s5, s3, s5
                                        ; implicit-def: $vgpr22_vgpr23
	s_and_b32 s20, s2, vcc_lo
	s_branch .LBB275_7
.LBB275_6:                              ;   in Loop: Header=BB275_7 Depth=1
	s_wait_xcnt 0x0
	s_or_b32 exec_lo, exec_lo, s2
	s_add_co_i32 s34, s34, 0x10000
	s_delay_alu instid0(SALU_CYCLE_1)
	s_cmp_lt_u32 s34, s33
	s_cbranch_scc0 .LBB275_40
.LBB275_7:                              ; =>This Loop Header: Depth=1
                                        ;     Child Loop BB275_10 Depth 2
	v_mov_b64_e32 v[40:41], 0
	s_and_not1_b32 vcc_lo, exec_lo, s17
	s_cbranch_vccnz .LBB275_18
; %bb.8:                                ;   in Loop: Header=BB275_7 Depth=1
	s_mul_u64 s[2:3], s[24:25], s[34:35]
	s_mul_u64 s[36:37], s[18:19], s[34:35]
	v_mov_b64_e32 v[24:25], 0
	v_mov_b64_e32 v[26:27], 0
	;; [unrolled: 1-line block ×8, first 2 shown]
	v_lshl_add_u64 v[28:29], s[36:37], 4, v[20:21]
	v_lshl_add_u64 v[30:31], s[2:3], 4, v[18:19]
	s_mov_b64 s[2:3], 0
	s_branch .LBB275_10
.LBB275_9:                              ;   in Loop: Header=BB275_10 Depth=2
	s_wait_xcnt 0x0
	s_or_b32 exec_lo, exec_lo, s21
	ds_store_b128 v45, v[2:5]
	s_wait_dscnt 0x0
	s_barrier_signal -1
	s_barrier_wait -1
	ds_load_b128 v[2:5], v15
	ds_load_b128 v[46:49], v7
	ds_load_b128 v[50:53], v7 offset:256
	ds_load_b128 v[54:57], v15 offset:2048
	;; [unrolled: 1-line block ×10, first 2 shown]
	s_add_nc_u64 s[2:3], s[2:3], 8
	s_delay_alu instid0(SALU_CYCLE_1)
	v_cmp_gt_i64_e64 s21, s[8:9], s[2:3]
	s_and_b32 vcc_lo, exec_lo, s21
	s_wait_dscnt 0xa
	v_mul_f64_e32 v[90:91], v[4:5], v[48:49]
	v_mul_f64_e32 v[92:93], v[2:3], v[48:49]
	s_wait_dscnt 0x9
	v_mul_f64_e32 v[94:95], v[4:5], v[52:53]
	v_mul_f64_e32 v[96:97], v[2:3], v[52:53]
	s_wait_dscnt 0x8
	v_mul_f64_e32 v[98:99], v[56:57], v[48:49]
	v_mul_f64_e32 v[100:101], v[54:55], v[48:49]
	v_mul_f64_e32 v[48:49], v[56:57], v[52:53]
	v_mul_f64_e32 v[102:103], v[54:55], v[52:53]
	s_wait_dscnt 0x6
	v_mul_f64_e32 v[104:105], v[60:61], v[64:65]
	v_mul_f64_e32 v[106:107], v[58:59], v[64:65]
	s_wait_dscnt 0x5
	v_mul_f64_e32 v[108:109], v[60:61], v[68:69]
	v_mul_f64_e32 v[110:111], v[58:59], v[68:69]
	s_wait_dscnt 0x4
	v_mul_f64_e32 v[112:113], v[72:73], v[64:65]
	v_mul_f64_e32 v[64:65], v[70:71], v[64:65]
	v_mul_f64_e32 v[114:115], v[72:73], v[68:69]
	v_mul_f64_e32 v[68:69], v[70:71], v[68:69]
	s_wait_dscnt 0x2
	v_mul_f64_e32 v[118:119], v[76:77], v[80:81]
	v_mul_f64_e32 v[120:121], v[74:75], v[80:81]
	s_wait_dscnt 0x1
	v_mul_f64_e32 v[122:123], v[76:77], v[84:85]
	v_mul_f64_e32 v[124:125], v[74:75], v[84:85]
	s_wait_dscnt 0x0
	v_mul_f64_e32 v[126:127], v[88:89], v[80:81]
	v_mul_f64_e32 v[80:81], v[86:87], v[80:81]
	v_mul_f64_e32 v[128:129], v[88:89], v[84:85]
	v_mul_f64_e32 v[84:85], v[86:87], v[84:85]
	v_fma_f64 v[90:91], v[2:3], v[46:47], -v[90:91]
	v_fmac_f64_e32 v[92:93], v[4:5], v[46:47]
	v_fma_f64 v[94:95], v[2:3], v[50:51], -v[94:95]
	v_fmac_f64_e32 v[96:97], v[4:5], v[50:51]
	;; [unrolled: 2-line block ×8, first 2 shown]
	ds_load_b128 v[2:5], v15 offset:48
	ds_load_b128 v[46:49], v15 offset:2096
	;; [unrolled: 1-line block ×4, first 2 shown]
	v_fma_f64 v[118:119], v[74:75], v[78:79], -v[118:119]
	v_fmac_f64_e32 v[120:121], v[76:77], v[78:79]
	v_fma_f64 v[74:75], v[74:75], v[82:83], -v[122:123]
	v_fmac_f64_e32 v[124:125], v[76:77], v[82:83]
	;; [unrolled: 2-line block ×4, first 2 shown]
	v_add_f64_e32 v[66:67], v[40:41], v[90:91]
	v_add_f64_e32 v[70:71], v[92:93], v[42:43]
	;; [unrolled: 1-line block ×8, first 2 shown]
	s_wait_dscnt 0x1
	v_mul_f64_e32 v[100:101], v[4:5], v[52:53]
	v_mul_f64_e32 v[102:103], v[2:3], v[52:53]
	s_wait_dscnt 0x0
	v_mul_f64_e32 v[108:109], v[4:5], v[56:57]
	v_mul_f64_e32 v[112:113], v[2:3], v[56:57]
	v_mul_f64_e32 v[114:115], v[48:49], v[52:53]
	v_mul_f64_e32 v[116:117], v[46:47], v[52:53]
	v_mul_f64_e32 v[52:53], v[48:49], v[56:57]
	v_mul_f64_e32 v[130:131], v[46:47], v[56:57]
	ds_load_b128 v[24:27], v15 offset:64
	ds_load_b128 v[32:35], v7 offset:2048
	;; [unrolled: 1-line block ×4, first 2 shown]
	v_add_f64_e32 v[82:83], v[66:67], v[104:105]
	v_add_f64_e32 v[86:87], v[106:107], v[70:71]
	;; [unrolled: 1-line block ×8, first 2 shown]
	s_wait_dscnt 0x2
	v_mul_f64_e32 v[98:99], v[26:27], v[34:35]
	v_mul_f64_e32 v[104:105], v[24:25], v[34:35]
	s_wait_dscnt 0x1
	v_mul_f64_e32 v[106:107], v[26:27], v[38:39]
	v_mul_f64_e32 v[110:111], v[24:25], v[38:39]
	;; [unrolled: 3-line block ×3, first 2 shown]
	v_mul_f64_e32 v[34:35], v[42:43], v[38:39]
	v_mul_f64_e32 v[128:129], v[40:41], v[38:39]
	v_fma_f64 v[38:39], v[2:3], v[50:51], -v[100:101]
	v_fmac_f64_e32 v[102:103], v[4:5], v[50:51]
	v_fma_f64 v[100:101], v[2:3], v[54:55], -v[108:109]
	v_fmac_f64_e32 v[112:113], v[4:5], v[54:55]
	;; [unrolled: 2-line block ×4, first 2 shown]
	ds_load_b128 v[56:59], v15 offset:80
	ds_load_b128 v[60:63], v15 offset:2128
	;; [unrolled: 1-line block ×4, first 2 shown]
	v_add_f64_e32 v[54:55], v[82:83], v[118:119]
	v_add_f64_e32 v[82:83], v[120:121], v[86:87]
	;; [unrolled: 1-line block ×8, first 2 shown]
	v_fma_f64 v[98:99], v[24:25], v[32:33], -v[98:99]
	v_fmac_f64_e32 v[104:105], v[26:27], v[32:33]
	v_fma_f64 v[106:107], v[24:25], v[36:37], -v[106:107]
	s_wait_dscnt 0x1
	v_mul_f64_e32 v[90:91], v[58:59], v[66:67]
	v_mul_f64_e32 v[92:93], v[56:57], v[66:67]
	s_wait_dscnt 0x0
	v_mul_f64_e32 v[94:95], v[58:59], v[70:71]
	v_mul_f64_e32 v[96:97], v[56:57], v[70:71]
	;; [unrolled: 1-line block ×6, first 2 shown]
	v_fmac_f64_e32 v[110:111], v[26:27], v[36:37]
	v_fma_f64 v[122:123], v[40:41], v[32:33], -v[122:123]
	v_fmac_f64_e32 v[126:127], v[42:43], v[32:33]
	v_fma_f64 v[124:125], v[40:41], v[36:37], -v[34:35]
	v_fmac_f64_e32 v[128:129], v[42:43], v[36:37]
	ds_load_b128 v[2:5], v15 offset:96
	ds_load_b128 v[46:49], v7 offset:3072
	;; [unrolled: 1-line block ×4, first 2 shown]
	v_add_f64_e32 v[54:55], v[54:55], v[38:39]
	v_add_f64_e32 v[82:83], v[102:103], v[82:83]
	;; [unrolled: 1-line block ×8, first 2 shown]
	ds_load_b128 v[24:27], v15 offset:112
	ds_load_b128 v[32:35], v15 offset:2160
	;; [unrolled: 1-line block ×4, first 2 shown]
	s_wait_dscnt 0x0
	v_mul_f64_e32 v[100:101], v[4:5], v[48:49]
	v_mul_f64_e32 v[102:103], v[2:3], v[48:49]
	;; [unrolled: 1-line block ×8, first 2 shown]
	v_fma_f64 v[90:91], v[56:57], v[64:65], -v[90:91]
	v_fmac_f64_e32 v[92:93], v[58:59], v[64:65]
	v_fma_f64 v[56:57], v[56:57], v[68:69], -v[94:95]
	v_fmac_f64_e32 v[96:97], v[58:59], v[68:69]
	;; [unrolled: 2-line block ×4, first 2 shown]
	s_barrier_signal -1
	s_barrier_wait -1
	v_mul_f64_e32 v[94:95], v[24:25], v[42:43]
	v_add_f64_e32 v[54:55], v[54:55], v[98:99]
	v_add_f64_e32 v[62:63], v[104:105], v[82:83]
	;; [unrolled: 1-line block ×8, first 2 shown]
	v_mul_f64_e32 v[84:85], v[26:27], v[38:39]
	v_mul_f64_e32 v[86:87], v[24:25], v[38:39]
	;; [unrolled: 1-line block ×7, first 2 shown]
	v_fma_f64 v[42:43], v[2:3], v[46:47], -v[100:101]
	v_fmac_f64_e32 v[102:103], v[4:5], v[46:47]
	v_fma_f64 v[2:3], v[2:3], v[50:51], -v[108:109]
	v_fmac_f64_e32 v[112:113], v[4:5], v[50:51]
	;; [unrolled: 2-line block ×4, first 2 shown]
	v_fmac_f64_e32 v[94:95], v[26:27], v[40:41]
	v_add_f64_e32 v[50:51], v[54:55], v[90:91]
	v_add_f64_e32 v[54:55], v[92:93], v[62:63]
	;; [unrolled: 1-line block ×8, first 2 shown]
	v_fma_f64 v[68:69], v[24:25], v[36:37], -v[84:85]
	v_fmac_f64_e32 v[86:87], v[26:27], v[36:37]
	v_fma_f64 v[24:25], v[24:25], v[40:41], -v[88:89]
	v_fma_f64 v[26:27], v[32:33], v[36:37], -v[98:99]
	v_fmac_f64_e32 v[104:105], v[34:35], v[36:37]
	v_fma_f64 v[70:71], v[32:33], v[40:41], -v[38:39]
	v_fmac_f64_e32 v[106:107], v[34:35], v[40:41]
	v_add_f64_e32 v[32:33], v[50:51], v[42:43]
	v_add_f64_e32 v[34:35], v[102:103], v[54:55]
	;; [unrolled: 1-line block ×16, first 2 shown]
	s_cbranch_vccz .LBB275_19
.LBB275_10:                             ;   Parent Loop BB275_7 Depth=1
                                        ; =>  This Inner Loop Header: Depth=2
	s_mov_b32 s21, 0
	s_mov_b32 s37, s16
	s_and_saveexec_b32 s36, s0
	s_cbranch_execnz .LBB275_16
; %bb.11:                               ;   in Loop: Header=BB275_10 Depth=2
	s_or_b32 exec_lo, exec_lo, s36
	s_and_saveexec_b32 s36, s37
	s_delay_alu instid0(SALU_CYCLE_1)
	s_xor_b32 s36, exec_lo, s36
	s_cbranch_execnz .LBB275_17
.LBB275_12:                             ;   in Loop: Header=BB275_10 Depth=2
	s_or_b32 exec_lo, exec_lo, s36
	s_and_saveexec_b32 s36, s21
	s_cbranch_execz .LBB275_14
.LBB275_13:                             ;   in Loop: Header=BB275_10 Depth=2
	v_lshl_add_u64 v[2:3], v[22:23], 4, v[28:29]
	global_load_b128 v[2:5], v[2:3], off
	s_wait_loadcnt 0x0
	ds_store_2addr_b64 v44, v[2:3], v[4:5] offset1:1
.LBB275_14:                             ;   in Loop: Header=BB275_10 Depth=2
	s_wait_xcnt 0x0
	s_or_b32 exec_lo, exec_lo, s36
	v_add_nc_u32_e32 v0, s2, v6
	v_mov_b64_e32 v[2:3], 0
	v_mov_b64_e32 v[4:5], 0
	s_delay_alu instid0(VALU_DEP_3) | instskip(SKIP_1) | instid1(SALU_CYCLE_1)
	v_cmp_gt_u64_e32 vcc_lo, s[8:9], v[0:1]
	s_and_b32 s36, vcc_lo, s1
	s_and_saveexec_b32 s21, s36
	s_cbranch_execz .LBB275_9
; %bb.15:                               ;   in Loop: Header=BB275_10 Depth=2
	v_mul_u64_e32 v[2:3], s[22:23], v[0:1]
	s_delay_alu instid0(VALU_DEP_1)
	v_lshl_add_u64 v[2:3], v[2:3], 4, v[30:31]
	global_load_b128 v[2:5], v[2:3], off
	s_wait_loadcnt 0x0
	v_xor_b32_e32 v5, 0x80000000, v5
	s_branch .LBB275_9
.LBB275_16:                             ;   in Loop: Header=BB275_10 Depth=2
	v_add_nc_u32_e32 v0, s2, v14
	s_and_not1_b32 s37, s16, exec_lo
	s_mov_b32 s21, exec_lo
	s_delay_alu instid0(VALU_DEP_1) | instskip(SKIP_2) | instid1(SALU_CYCLE_1)
	v_cmp_le_u64_e32 vcc_lo, s[8:9], v[0:1]
	v_mov_b64_e32 v[22:23], v[0:1]
	s_and_b32 s38, vcc_lo, exec_lo
	s_or_b32 s37, s37, s38
	s_or_b32 exec_lo, exec_lo, s36
	s_and_saveexec_b32 s36, s37
	s_delay_alu instid0(SALU_CYCLE_1)
	s_xor_b32 s36, exec_lo, s36
	s_cbranch_execz .LBB275_12
.LBB275_17:                             ;   in Loop: Header=BB275_10 Depth=2
	v_dual_mov_b32 v0, v1 :: v_dual_mov_b32 v2, v1
	v_mov_b32_e32 v3, v1
	s_and_not1_b32 s21, s21, exec_lo
	ds_store_b128 v44, v[0:3]
	s_or_b32 exec_lo, exec_lo, s36
	s_and_saveexec_b32 s36, s21
	s_cbranch_execnz .LBB275_13
	s_branch .LBB275_14
.LBB275_18:                             ;   in Loop: Header=BB275_7 Depth=1
	v_mov_b64_e32 v[42:43], 0
	v_mov_b64_e32 v[36:37], 0
	;; [unrolled: 1-line block ×7, first 2 shown]
.LBB275_19:                             ;   in Loop: Header=BB275_7 Depth=1
	s_mul_u64 s[2:3], s[6:7], s[34:35]
	s_delay_alu instid0(SALU_CYCLE_1) | instskip(NEXT) | instid1(SALU_CYCLE_1)
	s_lshl_b64 s[2:3], s[2:3], 4
	s_add_nc_u64 s[2:3], s[30:31], s[2:3]
	s_delay_alu instid0(SALU_CYCLE_1)
	v_lshl_add_u64 v[28:29], v[10:11], 4, s[2:3]
	s_and_saveexec_b32 s21, s15
	s_cbranch_execz .LBB275_24
; %bb.20:                               ;   in Loop: Header=BB275_7 Depth=1
	v_mul_f64_e32 v[2:3], s[12:13], v[42:43]
	v_mul_f64_e32 v[4:5], s[10:11], v[42:43]
	v_lshl_add_u64 v[30:31], v[8:9], 4, v[28:29]
	s_and_b32 vcc_lo, exec_lo, s14
	s_mov_b32 s36, -1
	s_delay_alu instid0(VALU_DEP_3) | instskip(NEXT) | instid1(VALU_DEP_3)
	v_fma_f64 v[2:3], s[10:11], v[40:41], -v[2:3]
	v_fmac_f64_e32 v[4:5], s[12:13], v[40:41]
	s_cbranch_vccz .LBB275_22
; %bb.21:                               ;   in Loop: Header=BB275_7 Depth=1
	global_load_b128 v[40:43], v[30:31], off
	s_mov_b32 s36, 0
	s_wait_loadcnt 0x0
	v_mul_f64_e32 v[46:47], s[28:29], v[42:43]
	v_mul_f64_e32 v[42:43], s[26:27], v[42:43]
	s_delay_alu instid0(VALU_DEP_2) | instskip(NEXT) | instid1(VALU_DEP_2)
	v_fma_f64 v[46:47], s[26:27], v[40:41], -v[46:47]
	v_fmac_f64_e32 v[42:43], s[28:29], v[40:41]
	s_delay_alu instid0(VALU_DEP_2) | instskip(NEXT) | instid1(VALU_DEP_2)
	v_add_f64_e32 v[40:41], v[2:3], v[46:47]
	v_add_f64_e32 v[42:43], v[4:5], v[42:43]
	global_store_b128 v[30:31], v[40:43], off
.LBB275_22:                             ;   in Loop: Header=BB275_7 Depth=1
	s_and_not1_b32 vcc_lo, exec_lo, s36
	s_cbranch_vccnz .LBB275_24
; %bb.23:                               ;   in Loop: Header=BB275_7 Depth=1
	global_store_b128 v[30:31], v[2:5], off
.LBB275_24:                             ;   in Loop: Header=BB275_7 Depth=1
	s_wait_xcnt 0x0
	s_or_b32 exec_lo, exec_lo, s21
	s_and_saveexec_b32 s21, s20
	s_cbranch_execz .LBB275_29
; %bb.25:                               ;   in Loop: Header=BB275_7 Depth=1
	v_mul_f64_e32 v[2:3], s[12:13], v[38:39]
	v_mul_f64_e32 v[4:5], s[10:11], v[38:39]
	v_lshl_add_u64 v[28:29], v[16:17], 4, v[28:29]
	s_and_not1_b32 vcc_lo, exec_lo, s14
	s_mov_b32 s36, -1
	s_delay_alu instid0(VALU_DEP_3) | instskip(NEXT) | instid1(VALU_DEP_3)
	v_fma_f64 v[2:3], s[10:11], v[36:37], -v[2:3]
	v_fmac_f64_e32 v[4:5], s[12:13], v[36:37]
	s_cbranch_vccnz .LBB275_27
; %bb.26:                               ;   in Loop: Header=BB275_7 Depth=1
	global_load_b128 v[36:39], v[28:29], off
	s_mov_b32 s36, 0
	s_wait_loadcnt 0x0
	v_mul_f64_e32 v[30:31], s[28:29], v[38:39]
	v_mul_f64_e32 v[38:39], s[26:27], v[38:39]
	s_delay_alu instid0(VALU_DEP_2) | instskip(NEXT) | instid1(VALU_DEP_2)
	v_fma_f64 v[30:31], s[26:27], v[36:37], -v[30:31]
	v_fmac_f64_e32 v[38:39], s[28:29], v[36:37]
	s_delay_alu instid0(VALU_DEP_2) | instskip(NEXT) | instid1(VALU_DEP_2)
	v_add_f64_e32 v[36:37], v[2:3], v[30:31]
	v_add_f64_e32 v[38:39], v[4:5], v[38:39]
	global_store_b128 v[28:29], v[36:39], off
.LBB275_27:                             ;   in Loop: Header=BB275_7 Depth=1
	s_and_not1_b32 vcc_lo, exec_lo, s36
	s_cbranch_vccnz .LBB275_29
; %bb.28:                               ;   in Loop: Header=BB275_7 Depth=1
	global_store_b128 v[28:29], v[2:5], off
.LBB275_29:                             ;   in Loop: Header=BB275_7 Depth=1
	s_wait_xcnt 0x0
	s_or_b32 exec_lo, exec_lo, s21
	v_lshl_add_u64 v[28:29], v[12:13], 4, s[2:3]
	s_and_saveexec_b32 s2, s4
	s_cbranch_execz .LBB275_34
; %bb.30:                               ;   in Loop: Header=BB275_7 Depth=1
	v_mul_f64_e32 v[2:3], s[12:13], v[34:35]
	v_mul_f64_e32 v[4:5], s[10:11], v[34:35]
	v_lshl_add_u64 v[30:31], v[8:9], 4, v[28:29]
	s_and_not1_b32 vcc_lo, exec_lo, s14
	s_mov_b32 s3, -1
	s_delay_alu instid0(VALU_DEP_3) | instskip(NEXT) | instid1(VALU_DEP_3)
	v_fma_f64 v[2:3], s[10:11], v[32:33], -v[2:3]
	v_fmac_f64_e32 v[4:5], s[12:13], v[32:33]
	s_cbranch_vccnz .LBB275_32
; %bb.31:                               ;   in Loop: Header=BB275_7 Depth=1
	global_load_b128 v[32:35], v[30:31], off
	s_mov_b32 s3, 0
	s_wait_loadcnt 0x0
	v_mul_f64_e32 v[36:37], s[28:29], v[34:35]
	v_mul_f64_e32 v[34:35], s[26:27], v[34:35]
	s_delay_alu instid0(VALU_DEP_2) | instskip(NEXT) | instid1(VALU_DEP_2)
	v_fma_f64 v[36:37], s[26:27], v[32:33], -v[36:37]
	v_fmac_f64_e32 v[34:35], s[28:29], v[32:33]
	s_delay_alu instid0(VALU_DEP_2) | instskip(NEXT) | instid1(VALU_DEP_2)
	v_add_f64_e32 v[32:33], v[2:3], v[36:37]
	v_add_f64_e32 v[34:35], v[4:5], v[34:35]
	global_store_b128 v[30:31], v[32:35], off
.LBB275_32:                             ;   in Loop: Header=BB275_7 Depth=1
	s_and_not1_b32 vcc_lo, exec_lo, s3
	s_cbranch_vccnz .LBB275_34
; %bb.33:                               ;   in Loop: Header=BB275_7 Depth=1
	global_store_b128 v[30:31], v[2:5], off
.LBB275_34:                             ;   in Loop: Header=BB275_7 Depth=1
	s_wait_xcnt 0x0
	s_or_b32 exec_lo, exec_lo, s2
	s_and_saveexec_b32 s2, s5
	s_cbranch_execz .LBB275_6
; %bb.35:                               ;   in Loop: Header=BB275_7 Depth=1
	s_delay_alu instid0(VALU_DEP_3) | instskip(SKIP_4) | instid1(VALU_DEP_3)
	v_mul_f64_e32 v[2:3], s[12:13], v[24:25]
	v_mul_f64_e32 v[4:5], s[10:11], v[24:25]
	v_lshl_add_u64 v[24:25], v[16:17], 4, v[28:29]
	s_and_not1_b32 vcc_lo, exec_lo, s14
	s_mov_b32 s3, -1
	v_fma_f64 v[2:3], s[10:11], v[26:27], -v[2:3]
	s_delay_alu instid0(VALU_DEP_3)
	v_fmac_f64_e32 v[4:5], s[12:13], v[26:27]
	s_cbranch_vccnz .LBB275_37
; %bb.36:                               ;   in Loop: Header=BB275_7 Depth=1
	global_load_b128 v[26:29], v[24:25], off
	s_mov_b32 s3, 0
	s_wait_loadcnt 0x0
	v_mul_f64_e32 v[30:31], s[28:29], v[28:29]
	v_mul_f64_e32 v[28:29], s[26:27], v[28:29]
	s_delay_alu instid0(VALU_DEP_2) | instskip(NEXT) | instid1(VALU_DEP_2)
	v_fma_f64 v[30:31], s[26:27], v[26:27], -v[30:31]
	v_fmac_f64_e32 v[28:29], s[28:29], v[26:27]
	s_delay_alu instid0(VALU_DEP_2) | instskip(NEXT) | instid1(VALU_DEP_2)
	v_add_f64_e32 v[26:27], v[2:3], v[30:31]
	v_add_f64_e32 v[28:29], v[4:5], v[28:29]
	global_store_b128 v[24:25], v[26:29], off
.LBB275_37:                             ;   in Loop: Header=BB275_7 Depth=1
	s_and_not1_b32 vcc_lo, exec_lo, s3
	s_cbranch_vccnz .LBB275_6
; %bb.38:                               ;   in Loop: Header=BB275_7 Depth=1
	global_store_b128 v[24:25], v[2:5], off
	s_branch .LBB275_6
.LBB275_39:
.LBB275_40:
	s_sendmsg sendmsg(MSG_DEALLOC_VGPRS)
	s_endpgm
	.section	.rodata,"a",@progbits
	.p2align	6, 0x0
	.amdhsa_kernel _ZL29rocblas_internal_gemmt_kernelIlLi16ELi32ELi8ELc84ELc67ELc85ELb0ELb1E19rocblas_complex_numIdES1_PKS1_PS1_EviT_T9_T10_S5_lS7_S5_lS6_T11_S5_li
		.amdhsa_group_segment_fixed_size 8192
		.amdhsa_private_segment_fixed_size 0
		.amdhsa_kernarg_size 124
		.amdhsa_user_sgpr_count 2
		.amdhsa_user_sgpr_dispatch_ptr 0
		.amdhsa_user_sgpr_queue_ptr 0
		.amdhsa_user_sgpr_kernarg_segment_ptr 1
		.amdhsa_user_sgpr_dispatch_id 0
		.amdhsa_user_sgpr_kernarg_preload_length 0
		.amdhsa_user_sgpr_kernarg_preload_offset 0
		.amdhsa_user_sgpr_private_segment_size 0
		.amdhsa_wavefront_size32 1
		.amdhsa_uses_dynamic_stack 0
		.amdhsa_enable_private_segment 0
		.amdhsa_system_sgpr_workgroup_id_x 1
		.amdhsa_system_sgpr_workgroup_id_y 1
		.amdhsa_system_sgpr_workgroup_id_z 1
		.amdhsa_system_sgpr_workgroup_info 0
		.amdhsa_system_vgpr_workitem_id 1
		.amdhsa_next_free_vgpr 132
		.amdhsa_next_free_sgpr 42
		.amdhsa_named_barrier_count 0
		.amdhsa_reserve_vcc 1
		.amdhsa_float_round_mode_32 0
		.amdhsa_float_round_mode_16_64 0
		.amdhsa_float_denorm_mode_32 3
		.amdhsa_float_denorm_mode_16_64 3
		.amdhsa_fp16_overflow 0
		.amdhsa_memory_ordered 1
		.amdhsa_forward_progress 1
		.amdhsa_inst_pref_size 23
		.amdhsa_round_robin_scheduling 0
		.amdhsa_exception_fp_ieee_invalid_op 0
		.amdhsa_exception_fp_denorm_src 0
		.amdhsa_exception_fp_ieee_div_zero 0
		.amdhsa_exception_fp_ieee_overflow 0
		.amdhsa_exception_fp_ieee_underflow 0
		.amdhsa_exception_fp_ieee_inexact 0
		.amdhsa_exception_int_div_zero 0
	.end_amdhsa_kernel
	.section	.text._ZL29rocblas_internal_gemmt_kernelIlLi16ELi32ELi8ELc84ELc67ELc85ELb0ELb1E19rocblas_complex_numIdES1_PKS1_PS1_EviT_T9_T10_S5_lS7_S5_lS6_T11_S5_li,"axG",@progbits,_ZL29rocblas_internal_gemmt_kernelIlLi16ELi32ELi8ELc84ELc67ELc85ELb0ELb1E19rocblas_complex_numIdES1_PKS1_PS1_EviT_T9_T10_S5_lS7_S5_lS6_T11_S5_li,comdat
.Lfunc_end275:
	.size	_ZL29rocblas_internal_gemmt_kernelIlLi16ELi32ELi8ELc84ELc67ELc85ELb0ELb1E19rocblas_complex_numIdES1_PKS1_PS1_EviT_T9_T10_S5_lS7_S5_lS6_T11_S5_li, .Lfunc_end275-_ZL29rocblas_internal_gemmt_kernelIlLi16ELi32ELi8ELc84ELc67ELc85ELb0ELb1E19rocblas_complex_numIdES1_PKS1_PS1_EviT_T9_T10_S5_lS7_S5_lS6_T11_S5_li
                                        ; -- End function
	.set _ZL29rocblas_internal_gemmt_kernelIlLi16ELi32ELi8ELc84ELc67ELc85ELb0ELb1E19rocblas_complex_numIdES1_PKS1_PS1_EviT_T9_T10_S5_lS7_S5_lS6_T11_S5_li.num_vgpr, 132
	.set _ZL29rocblas_internal_gemmt_kernelIlLi16ELi32ELi8ELc84ELc67ELc85ELb0ELb1E19rocblas_complex_numIdES1_PKS1_PS1_EviT_T9_T10_S5_lS7_S5_lS6_T11_S5_li.num_agpr, 0
	.set _ZL29rocblas_internal_gemmt_kernelIlLi16ELi32ELi8ELc84ELc67ELc85ELb0ELb1E19rocblas_complex_numIdES1_PKS1_PS1_EviT_T9_T10_S5_lS7_S5_lS6_T11_S5_li.numbered_sgpr, 42
	.set _ZL29rocblas_internal_gemmt_kernelIlLi16ELi32ELi8ELc84ELc67ELc85ELb0ELb1E19rocblas_complex_numIdES1_PKS1_PS1_EviT_T9_T10_S5_lS7_S5_lS6_T11_S5_li.num_named_barrier, 0
	.set _ZL29rocblas_internal_gemmt_kernelIlLi16ELi32ELi8ELc84ELc67ELc85ELb0ELb1E19rocblas_complex_numIdES1_PKS1_PS1_EviT_T9_T10_S5_lS7_S5_lS6_T11_S5_li.private_seg_size, 0
	.set _ZL29rocblas_internal_gemmt_kernelIlLi16ELi32ELi8ELc84ELc67ELc85ELb0ELb1E19rocblas_complex_numIdES1_PKS1_PS1_EviT_T9_T10_S5_lS7_S5_lS6_T11_S5_li.uses_vcc, 1
	.set _ZL29rocblas_internal_gemmt_kernelIlLi16ELi32ELi8ELc84ELc67ELc85ELb0ELb1E19rocblas_complex_numIdES1_PKS1_PS1_EviT_T9_T10_S5_lS7_S5_lS6_T11_S5_li.uses_flat_scratch, 0
	.set _ZL29rocblas_internal_gemmt_kernelIlLi16ELi32ELi8ELc84ELc67ELc85ELb0ELb1E19rocblas_complex_numIdES1_PKS1_PS1_EviT_T9_T10_S5_lS7_S5_lS6_T11_S5_li.has_dyn_sized_stack, 0
	.set _ZL29rocblas_internal_gemmt_kernelIlLi16ELi32ELi8ELc84ELc67ELc85ELb0ELb1E19rocblas_complex_numIdES1_PKS1_PS1_EviT_T9_T10_S5_lS7_S5_lS6_T11_S5_li.has_recursion, 0
	.set _ZL29rocblas_internal_gemmt_kernelIlLi16ELi32ELi8ELc84ELc67ELc85ELb0ELb1E19rocblas_complex_numIdES1_PKS1_PS1_EviT_T9_T10_S5_lS7_S5_lS6_T11_S5_li.has_indirect_call, 0
	.section	.AMDGPU.csdata,"",@progbits
; Kernel info:
; codeLenInByte = 2912
; TotalNumSgprs: 44
; NumVgprs: 132
; ScratchSize: 0
; MemoryBound: 1
; FloatMode: 240
; IeeeMode: 1
; LDSByteSize: 8192 bytes/workgroup (compile time only)
; SGPRBlocks: 0
; VGPRBlocks: 8
; NumSGPRsForWavesPerEU: 44
; NumVGPRsForWavesPerEU: 132
; NamedBarCnt: 0
; Occupancy: 7
; WaveLimiterHint : 0
; COMPUTE_PGM_RSRC2:SCRATCH_EN: 0
; COMPUTE_PGM_RSRC2:USER_SGPR: 2
; COMPUTE_PGM_RSRC2:TRAP_HANDLER: 0
; COMPUTE_PGM_RSRC2:TGID_X_EN: 1
; COMPUTE_PGM_RSRC2:TGID_Y_EN: 1
; COMPUTE_PGM_RSRC2:TGID_Z_EN: 1
; COMPUTE_PGM_RSRC2:TIDIG_COMP_CNT: 1
	.section	.text._ZL29rocblas_internal_gemmt_kernelIlLi16ELi32ELi8ELc67ELc78ELc85ELb1ELb0E19rocblas_complex_numIdES1_PKS1_PS1_EviT_T9_T10_S5_lS7_S5_lS6_T11_S5_li,"axG",@progbits,_ZL29rocblas_internal_gemmt_kernelIlLi16ELi32ELi8ELc67ELc78ELc85ELb1ELb0E19rocblas_complex_numIdES1_PKS1_PS1_EviT_T9_T10_S5_lS7_S5_lS6_T11_S5_li,comdat
	.globl	_ZL29rocblas_internal_gemmt_kernelIlLi16ELi32ELi8ELc67ELc78ELc85ELb1ELb0E19rocblas_complex_numIdES1_PKS1_PS1_EviT_T9_T10_S5_lS7_S5_lS6_T11_S5_li ; -- Begin function _ZL29rocblas_internal_gemmt_kernelIlLi16ELi32ELi8ELc67ELc78ELc85ELb1ELb0E19rocblas_complex_numIdES1_PKS1_PS1_EviT_T9_T10_S5_lS7_S5_lS6_T11_S5_li
	.p2align	8
	.type	_ZL29rocblas_internal_gemmt_kernelIlLi16ELi32ELi8ELc67ELc78ELc85ELb1ELb0E19rocblas_complex_numIdES1_PKS1_PS1_EviT_T9_T10_S5_lS7_S5_lS6_T11_S5_li,@function
_ZL29rocblas_internal_gemmt_kernelIlLi16ELi32ELi8ELc67ELc78ELc85ELb1ELb0E19rocblas_complex_numIdES1_PKS1_PS1_EviT_T9_T10_S5_lS7_S5_lS6_T11_S5_li: ; @_ZL29rocblas_internal_gemmt_kernelIlLi16ELi32ELi8ELc67ELc78ELc85ELb1ELb0E19rocblas_complex_numIdES1_PKS1_PS1_EviT_T9_T10_S5_lS7_S5_lS6_T11_S5_li
; %bb.0:
	s_clause 0x1
	s_load_b256 s[20:27], s[0:1], 0x48
	s_load_b512 s[4:19], s[0:1], 0x8
	s_wait_kmcnt 0x0
	v_cmp_eq_f64_e64 s3, s[22:23], 1.0
	v_cmp_eq_f64_e64 s2, s[24:25], 0
	s_and_b32 s3, s3, s2
	s_delay_alu instid0(SALU_CYCLE_1)
	s_and_not1_b32 vcc_lo, exec_lo, s3
	s_mov_b32 s3, -1
	s_cbranch_vccnz .LBB276_3
; %bb.1:
	s_cmp_lg_u64 s[4:5], 0
	s_cbranch_scc0 .LBB276_38
; %bb.2:
	v_cmp_neq_f64_e64 s3, s[6:7], 0
	v_cmp_neq_f64_e64 s28, s[8:9], 0
	s_or_b32 s3, s3, s28
.LBB276_3:
	s_delay_alu instid0(SALU_CYCLE_1)
	s_and_b32 vcc_lo, exec_lo, s3
	s_cbranch_vccz .LBB276_39
; %bb.4:
	s_load_b32 s33, s[0:1], 0x78
	s_bfe_u32 s3, ttmp6, 0x40014
	s_lshr_b32 s28, ttmp7, 16
	s_add_co_i32 s3, s3, 1
	s_bfe_u32 s30, ttmp6, 0x40008
	s_mul_i32 s29, s28, s3
	s_getreg_b32 s3, hwreg(HW_REG_IB_STS2, 6, 4)
	s_add_co_i32 s30, s30, s29
	s_cmp_eq_u32 s3, 0
	s_mov_b32 s35, 0
	s_cselect_b32 s34, s28, s30
	s_wait_kmcnt 0x0
	s_cmp_ge_u32 s34, s33
	s_cbranch_scc1 .LBB276_39
; %bb.5:
	v_and_b32_e32 v1, 0x3ff, v0
	v_bfe_u32 v9, v0, 10, 10
	s_bfe_u32 s29, ttmp6, 0x4000c
	s_bfe_u32 s31, ttmp6, 0x40010
	s_and_b32 s30, ttmp7, 0xffff
	s_add_co_i32 s29, s29, 1
	s_add_co_i32 s31, s31, 1
	s_and_b32 s28, ttmp6, 15
	v_lshl_add_u32 v14, v9, 4, v1
	s_mul_i32 s29, ttmp9, s29
	s_mul_i32 s31, s30, s31
	s_bfe_u32 s36, ttmp6, 0x40004
	s_add_co_i32 s28, s28, s29
	s_add_co_i32 s36, s36, s31
	s_cmp_eq_u32 s3, 0
	v_dual_lshrrev_b32 v15, 3, v14 :: v_dual_bitop2_b32 v16, 31, v14 bitop3:0x40
	s_cselect_b32 s3, ttmp9, s28
	s_cselect_b32 s28, s30, s36
	s_lshl_b32 s3, s3, 5
	s_lshl_b32 s36, s28, 5
	s_load_b128 s[28:31], s[0:1], 0x68
	v_dual_add_nc_u32 v4, s36, v15 :: v_dual_bitop2_b32 v2, s3, v16 bitop3:0x54
	v_dual_add_nc_u32 v22, s36, v9 :: v_dual_bitop2_b32 v6, 7, v0 bitop3:0x40
	v_cmp_neq_f64_e64 s37, s[6:7], 0
	s_delay_alu instid0(VALU_DEP_3) | instskip(NEXT) | instid1(VALU_DEP_3)
	v_dual_ashrrev_i32 v3, 31, v2 :: v_dual_ashrrev_i32 v5, 31, v4
	v_dual_add_nc_u32 v24, 16, v22 :: v_dual_ashrrev_i32 v23, 31, v22
	v_cmp_neq_f64_e64 s38, s[8:9], 0
	s_delay_alu instid0(VALU_DEP_3)
	v_mul_u64_e32 v[18:19], s[12:13], v[2:3]
	v_cmp_neq_f64_e64 s12, s[22:23], 0
	v_mul_u64_e32 v[20:21], s[18:19], v[4:5]
	v_dual_ashrrev_i32 v25, 31, v24 :: v_dual_lshlrev_b32 v0, 4, v6
	s_load_b32 s13, s[0:1], 0x0
	v_dual_lshlrev_b32 v7, 4, v1 :: v_dual_add_nc_u32 v8, s3, v1
	v_dual_lshrrev_b32 v14, 5, v14 :: v_dual_lshlrev_b32 v1, 4, v16
	s_wait_kmcnt 0x0
	v_mul_u64_e32 v[10:11], s[28:29], v[22:23]
	v_mul_u64_e32 v[12:13], s[28:29], v[24:25]
	v_add_nc_u32_e32 v16, 16, v8
	s_xor_b32 s19, s2, -1
	v_cmp_le_i32_e32 vcc_lo, v8, v22
	v_lshl_add_u32 v43, v9, 7, 0x1000
	v_ashrrev_i32_e32 v9, 31, v8
	v_cmp_le_i32_e64 s3, v16, v22
	v_lshl_or_b32 v0, v15, 7, v0
	v_cmp_gt_i64_e64 s18, s[4:5], 0
	v_lshl_or_b32 v15, v14, 9, v1
	v_dual_ashrrev_i32 v17, 31, v16 :: v_dual_mov_b32 v1, 0
	s_delay_alu instid0(VALU_DEP_4)
	v_add_nc_u32_e32 v42, 0x1000, v0
	v_cmp_gt_i32_e64 s2, s13, v22
	v_cmp_gt_i32_e64 s1, s13, v4
	;; [unrolled: 1-line block ×3, first 2 shown]
	s_or_b32 s28, s37, s38
	v_lshl_add_u64 v[18:19], v[18:19], 4, s[10:11]
	s_or_b32 s10, s12, s19
	s_and_b32 s11, s2, vcc_lo
	s_and_b32 s12, s2, s3
	v_cmp_gt_i32_e32 vcc_lo, s13, v24
	v_cmp_le_i32_e64 s2, v8, v24
	v_cmp_le_i32_e64 s3, v16, v24
	v_lshl_add_u64 v[20:21], v[20:21], 4, s[16:17]
	s_and_b32 s13, s28, s18
	s_xor_b32 s1, s1, -1
	s_and_b32 s16, vcc_lo, s2
	s_and_b32 s17, vcc_lo, s3
	s_branch .LBB276_7
.LBB276_6:                              ;   in Loop: Header=BB276_7 Depth=1
	s_wait_xcnt 0x0
	s_or_b32 exec_lo, exec_lo, s2
	s_add_co_i32 s34, s34, 0x10000
	s_delay_alu instid0(SALU_CYCLE_1)
	s_cmp_lt_u32 s34, s33
	s_cbranch_scc0 .LBB276_39
.LBB276_7:                              ; =>This Loop Header: Depth=1
                                        ;     Child Loop BB276_10 Depth 2
	v_mov_b64_e32 v[38:39], 0
	v_mov_b64_e32 v[40:41], 0
	;; [unrolled: 1-line block ×8, first 2 shown]
	s_and_not1_b32 vcc_lo, exec_lo, s13
	s_cbranch_vccnz .LBB276_18
; %bb.8:                                ;   in Loop: Header=BB276_7 Depth=1
	s_mul_u64 s[2:3], s[20:21], s[34:35]
	s_mul_u64 s[18:19], s[14:15], s[34:35]
	v_mov_b64_e32 v[24:25], 0
	v_mov_b64_e32 v[22:23], 0
	;; [unrolled: 1-line block ×8, first 2 shown]
	v_lshl_add_u64 v[26:27], s[18:19], 4, v[18:19]
	v_lshl_add_u64 v[28:29], s[2:3], 4, v[20:21]
	s_mov_b64 s[2:3], 0
	s_branch .LBB276_10
.LBB276_9:                              ;   in Loop: Header=BB276_10 Depth=2
	s_wait_xcnt 0x0
	s_or_b32 exec_lo, exec_lo, s18
	s_wait_dscnt 0x0
	s_barrier_signal -1
	s_barrier_wait -1
	ds_load_b128 v[2:5], v43
	ds_load_b128 v[44:47], v7
	ds_load_b128 v[48:51], v7 offset:256
	ds_load_b128 v[52:55], v43 offset:2048
	ds_load_b128 v[56:59], v43 offset:16
	ds_load_b128 v[60:63], v7 offset:512
	ds_load_b128 v[64:67], v7 offset:768
	ds_load_b128 v[68:71], v43 offset:2064
	ds_load_b128 v[72:75], v43 offset:32
	ds_load_b128 v[76:79], v7 offset:1024
	ds_load_b128 v[80:83], v7 offset:1280
	ds_load_b128 v[84:87], v43 offset:2080
	s_add_nc_u64 s[2:3], s[2:3], 8
	s_delay_alu instid0(SALU_CYCLE_1)
	v_cmp_gt_i64_e64 s18, s[4:5], s[2:3]
	s_and_b32 vcc_lo, exec_lo, s18
	s_wait_dscnt 0xa
	v_mul_f64_e32 v[88:89], v[4:5], v[46:47]
	v_mul_f64_e32 v[90:91], v[2:3], v[46:47]
	s_wait_dscnt 0x9
	v_mul_f64_e32 v[92:93], v[4:5], v[50:51]
	v_mul_f64_e32 v[94:95], v[2:3], v[50:51]
	s_wait_dscnt 0x8
	v_mul_f64_e32 v[96:97], v[54:55], v[46:47]
	v_mul_f64_e32 v[98:99], v[52:53], v[46:47]
	v_mul_f64_e32 v[46:47], v[54:55], v[50:51]
	v_mul_f64_e32 v[100:101], v[52:53], v[50:51]
	s_wait_dscnt 0x6
	v_mul_f64_e32 v[102:103], v[58:59], v[62:63]
	v_mul_f64_e32 v[104:105], v[56:57], v[62:63]
	s_wait_dscnt 0x5
	v_mul_f64_e32 v[106:107], v[58:59], v[66:67]
	v_mul_f64_e32 v[108:109], v[56:57], v[66:67]
	s_wait_dscnt 0x4
	v_mul_f64_e32 v[110:111], v[70:71], v[62:63]
	v_mul_f64_e32 v[62:63], v[68:69], v[62:63]
	v_mul_f64_e32 v[112:113], v[70:71], v[66:67]
	v_mul_f64_e32 v[66:67], v[68:69], v[66:67]
	;; [unrolled: 11-line block ×3, first 2 shown]
	v_fma_f64 v[88:89], v[2:3], v[44:45], -v[88:89]
	v_fmac_f64_e32 v[90:91], v[4:5], v[44:45]
	v_fma_f64 v[92:93], v[2:3], v[48:49], -v[92:93]
	v_fmac_f64_e32 v[94:95], v[4:5], v[48:49]
	;; [unrolled: 2-line block ×8, first 2 shown]
	ds_load_b128 v[2:5], v43 offset:48
	ds_load_b128 v[44:47], v43 offset:2096
	;; [unrolled: 1-line block ×4, first 2 shown]
	v_fma_f64 v[116:117], v[72:73], v[76:77], -v[116:117]
	v_fmac_f64_e32 v[118:119], v[74:75], v[76:77]
	v_fma_f64 v[72:73], v[72:73], v[80:81], -v[120:121]
	v_fmac_f64_e32 v[122:123], v[74:75], v[80:81]
	;; [unrolled: 2-line block ×4, first 2 shown]
	v_add_f64_e32 v[64:65], v[38:39], v[88:89]
	v_add_f64_e32 v[68:69], v[90:91], v[40:41]
	;; [unrolled: 1-line block ×8, first 2 shown]
	s_wait_dscnt 0x1
	v_mul_f64_e32 v[98:99], v[4:5], v[50:51]
	v_mul_f64_e32 v[100:101], v[2:3], v[50:51]
	s_wait_dscnt 0x0
	v_mul_f64_e32 v[106:107], v[4:5], v[54:55]
	v_mul_f64_e32 v[110:111], v[2:3], v[54:55]
	;; [unrolled: 1-line block ×6, first 2 shown]
	ds_load_b128 v[22:25], v43 offset:64
	ds_load_b128 v[30:33], v7 offset:2048
	ds_load_b128 v[34:37], v7 offset:2304
	ds_load_b128 v[38:41], v43 offset:2112
	v_add_f64_e32 v[80:81], v[64:65], v[102:103]
	v_add_f64_e32 v[84:85], v[104:105], v[68:69]
	;; [unrolled: 1-line block ×8, first 2 shown]
	s_wait_dscnt 0x2
	v_mul_f64_e32 v[96:97], v[24:25], v[32:33]
	v_mul_f64_e32 v[102:103], v[22:23], v[32:33]
	s_wait_dscnt 0x1
	v_mul_f64_e32 v[104:105], v[24:25], v[36:37]
	v_mul_f64_e32 v[108:109], v[22:23], v[36:37]
	;; [unrolled: 3-line block ×3, first 2 shown]
	v_mul_f64_e32 v[32:33], v[40:41], v[36:37]
	v_mul_f64_e32 v[126:127], v[38:39], v[36:37]
	v_fma_f64 v[36:37], v[2:3], v[48:49], -v[98:99]
	v_fmac_f64_e32 v[100:101], v[4:5], v[48:49]
	v_fma_f64 v[98:99], v[2:3], v[52:53], -v[106:107]
	v_fmac_f64_e32 v[110:111], v[4:5], v[52:53]
	;; [unrolled: 2-line block ×4, first 2 shown]
	ds_load_b128 v[54:57], v43 offset:80
	ds_load_b128 v[58:61], v43 offset:2128
	ds_load_b128 v[62:65], v7 offset:2560
	ds_load_b128 v[66:69], v7 offset:2816
	v_add_f64_e32 v[52:53], v[80:81], v[116:117]
	v_add_f64_e32 v[80:81], v[118:119], v[84:85]
	;; [unrolled: 1-line block ×8, first 2 shown]
	v_fma_f64 v[96:97], v[22:23], v[30:31], -v[96:97]
	v_fmac_f64_e32 v[102:103], v[24:25], v[30:31]
	v_fma_f64 v[104:105], v[22:23], v[34:35], -v[104:105]
	s_wait_dscnt 0x1
	v_mul_f64_e32 v[88:89], v[56:57], v[64:65]
	v_mul_f64_e32 v[90:91], v[54:55], v[64:65]
	s_wait_dscnt 0x0
	v_mul_f64_e32 v[92:93], v[56:57], v[68:69]
	v_mul_f64_e32 v[94:95], v[54:55], v[68:69]
	;; [unrolled: 1-line block ×6, first 2 shown]
	v_fmac_f64_e32 v[108:109], v[24:25], v[34:35]
	v_fma_f64 v[120:121], v[38:39], v[30:31], -v[120:121]
	v_fmac_f64_e32 v[124:125], v[40:41], v[30:31]
	v_fma_f64 v[122:123], v[38:39], v[34:35], -v[32:33]
	v_fmac_f64_e32 v[126:127], v[40:41], v[34:35]
	ds_load_b128 v[2:5], v43 offset:96
	ds_load_b128 v[44:47], v7 offset:3072
	;; [unrolled: 1-line block ×4, first 2 shown]
	v_add_f64_e32 v[52:53], v[52:53], v[36:37]
	v_add_f64_e32 v[80:81], v[100:101], v[80:81]
	;; [unrolled: 1-line block ×8, first 2 shown]
	ds_load_b128 v[22:25], v43 offset:112
	ds_load_b128 v[30:33], v43 offset:2160
	;; [unrolled: 1-line block ×4, first 2 shown]
	s_wait_dscnt 0x0
	v_mul_f64_e32 v[98:99], v[4:5], v[46:47]
	v_mul_f64_e32 v[100:101], v[2:3], v[46:47]
	v_mul_f64_e32 v[106:107], v[4:5], v[50:51]
	v_mul_f64_e32 v[110:111], v[2:3], v[50:51]
	v_mul_f64_e32 v[112:113], v[72:73], v[46:47]
	v_mul_f64_e32 v[46:47], v[70:71], v[46:47]
	v_mul_f64_e32 v[114:115], v[72:73], v[50:51]
	v_mul_f64_e32 v[50:51], v[70:71], v[50:51]
	v_fma_f64 v[88:89], v[54:55], v[62:63], -v[88:89]
	v_fmac_f64_e32 v[90:91], v[56:57], v[62:63]
	v_fma_f64 v[54:55], v[54:55], v[66:67], -v[92:93]
	v_fmac_f64_e32 v[94:95], v[56:57], v[66:67]
	;; [unrolled: 2-line block ×4, first 2 shown]
	s_barrier_signal -1
	s_barrier_wait -1
	v_mul_f64_e32 v[92:93], v[22:23], v[40:41]
	v_add_f64_e32 v[52:53], v[52:53], v[96:97]
	v_add_f64_e32 v[60:61], v[102:103], v[80:81]
	;; [unrolled: 1-line block ×8, first 2 shown]
	v_mul_f64_e32 v[82:83], v[24:25], v[36:37]
	v_mul_f64_e32 v[84:85], v[22:23], v[36:37]
	;; [unrolled: 1-line block ×7, first 2 shown]
	v_fma_f64 v[40:41], v[2:3], v[44:45], -v[98:99]
	v_fmac_f64_e32 v[100:101], v[4:5], v[44:45]
	v_fma_f64 v[2:3], v[2:3], v[48:49], -v[106:107]
	v_fmac_f64_e32 v[110:111], v[4:5], v[48:49]
	;; [unrolled: 2-line block ×4, first 2 shown]
	v_fmac_f64_e32 v[92:93], v[24:25], v[38:39]
	v_add_f64_e32 v[48:49], v[52:53], v[88:89]
	v_add_f64_e32 v[52:53], v[90:91], v[60:61]
	v_add_f64_e32 v[54:55], v[62:63], v[54:55]
	v_add_f64_e32 v[60:61], v[94:95], v[66:67]
	v_add_f64_e32 v[56:57], v[74:75], v[56:57]
	v_add_f64_e32 v[62:63], v[64:65], v[78:79]
	v_add_f64_e32 v[58:59], v[76:77], v[58:59]
	v_add_f64_e32 v[64:65], v[68:69], v[80:81]
	v_fma_f64 v[66:67], v[22:23], v[34:35], -v[82:83]
	v_fmac_f64_e32 v[84:85], v[24:25], v[34:35]
	v_fma_f64 v[22:23], v[22:23], v[38:39], -v[86:87]
	v_fma_f64 v[24:25], v[30:31], v[34:35], -v[96:97]
	v_fmac_f64_e32 v[102:103], v[32:33], v[34:35]
	v_fma_f64 v[68:69], v[30:31], v[38:39], -v[36:37]
	v_fmac_f64_e32 v[104:105], v[32:33], v[38:39]
	v_add_f64_e32 v[30:31], v[48:49], v[40:41]
	v_add_f64_e32 v[32:33], v[100:101], v[52:53]
	v_add_f64_e32 v[2:3], v[54:55], v[2:3]
	v_add_f64_e32 v[36:37], v[110:111], v[60:61]
	v_add_f64_e32 v[4:5], v[56:57], v[4:5]
	v_add_f64_e32 v[46:47], v[46:47], v[62:63]
	v_add_f64_e32 v[44:45], v[58:59], v[44:45]
	v_add_f64_e32 v[48:49], v[50:51], v[64:65]
	v_add_f64_e32 v[38:39], v[30:31], v[66:67]
	v_add_f64_e32 v[40:41], v[84:85], v[32:33]
	v_add_f64_e32 v[34:35], v[2:3], v[22:23]
	v_add_f64_e32 v[36:37], v[92:93], v[36:37]
	v_add_f64_e32 v[30:31], v[4:5], v[24:25]
	v_add_f64_e32 v[32:33], v[102:103], v[46:47]
	v_add_f64_e32 v[22:23], v[44:45], v[68:69]
	v_add_f64_e32 v[24:25], v[104:105], v[48:49]
	s_cbranch_vccz .LBB276_18
.LBB276_10:                             ;   Parent Loop BB276_7 Depth=1
                                        ; =>  This Inner Loop Header: Depth=2
	v_mov_b64_e32 v[2:3], 0
	v_mov_b64_e32 v[4:5], 0
	s_and_saveexec_b32 s18, s0
	s_cbranch_execz .LBB276_14
; %bb.11:                               ;   in Loop: Header=BB276_10 Depth=2
	v_mov_b64_e32 v[4:5], 0
	v_mov_b64_e32 v[2:3], 0
	v_add_nc_u32_e32 v0, s2, v14
	s_mov_b32 s19, exec_lo
	s_delay_alu instid0(VALU_DEP_1)
	v_cmpx_gt_u64_e64 s[4:5], v[0:1]
	s_cbranch_execz .LBB276_13
; %bb.12:                               ;   in Loop: Header=BB276_10 Depth=2
	v_lshl_add_u64 v[2:3], v[0:1], 4, v[26:27]
	global_load_b128 v[2:5], v[2:3], off
	s_wait_loadcnt 0x0
	v_xor_b32_e32 v5, 0x80000000, v5
.LBB276_13:                             ;   in Loop: Header=BB276_10 Depth=2
	s_wait_xcnt 0x0
	s_or_b32 exec_lo, exec_lo, s19
.LBB276_14:                             ;   in Loop: Header=BB276_10 Depth=2
	s_delay_alu instid0(SALU_CYCLE_1) | instskip(SKIP_4) | instid1(SALU_CYCLE_1)
	s_or_b32 exec_lo, exec_lo, s18
	v_add_nc_u32_e32 v0, s2, v6
	ds_store_b128 v15, v[2:5]
	v_cmp_le_u64_e32 vcc_lo, s[4:5], v[0:1]
	s_or_b32 s18, vcc_lo, s1
	s_and_saveexec_b32 s19, s18
	s_delay_alu instid0(SALU_CYCLE_1)
	s_xor_b32 s18, exec_lo, s19
; %bb.15:                               ;   in Loop: Header=BB276_10 Depth=2
	v_dual_mov_b32 v0, v1 :: v_dual_mov_b32 v2, v1
	v_mov_b32_e32 v3, v1
	ds_store_b128 v42, v[0:3]
; %bb.16:                               ;   in Loop: Header=BB276_10 Depth=2
	s_and_not1_saveexec_b32 s18, s18
	s_cbranch_execz .LBB276_9
; %bb.17:                               ;   in Loop: Header=BB276_10 Depth=2
	v_lshl_add_u64 v[2:3], v[0:1], 4, v[28:29]
	global_load_b128 v[2:5], v[2:3], off
	s_wait_loadcnt 0x0
	ds_store_2addr_b64 v42, v[2:3], v[4:5] offset1:1
	s_branch .LBB276_9
.LBB276_18:                             ;   in Loop: Header=BB276_7 Depth=1
	s_mul_u64 s[2:3], s[30:31], s[34:35]
	s_delay_alu instid0(SALU_CYCLE_1) | instskip(NEXT) | instid1(SALU_CYCLE_1)
	s_lshl_b64 s[2:3], s[2:3], 4
	s_add_nc_u64 s[2:3], s[26:27], s[2:3]
	s_delay_alu instid0(SALU_CYCLE_1)
	v_lshl_add_u64 v[26:27], v[10:11], 4, s[2:3]
	s_and_saveexec_b32 s18, s11
	s_cbranch_execz .LBB276_23
; %bb.19:                               ;   in Loop: Header=BB276_7 Depth=1
	v_mul_f64_e32 v[2:3], s[8:9], v[40:41]
	v_mul_f64_e32 v[4:5], s[6:7], v[40:41]
	v_lshl_add_u64 v[28:29], v[8:9], 4, v[26:27]
	s_and_b32 vcc_lo, exec_lo, s10
	s_mov_b32 s19, -1
	s_delay_alu instid0(VALU_DEP_3) | instskip(NEXT) | instid1(VALU_DEP_3)
	v_fma_f64 v[2:3], s[6:7], v[38:39], -v[2:3]
	v_fmac_f64_e32 v[4:5], s[8:9], v[38:39]
	s_cbranch_vccz .LBB276_21
; %bb.20:                               ;   in Loop: Header=BB276_7 Depth=1
	global_load_b128 v[38:41], v[28:29], off
	s_mov_b32 s19, 0
	s_wait_loadcnt 0x0
	v_mul_f64_e32 v[44:45], s[24:25], v[40:41]
	v_mul_f64_e32 v[40:41], s[22:23], v[40:41]
	s_delay_alu instid0(VALU_DEP_2) | instskip(NEXT) | instid1(VALU_DEP_2)
	v_fma_f64 v[44:45], s[22:23], v[38:39], -v[44:45]
	v_fmac_f64_e32 v[40:41], s[24:25], v[38:39]
	s_delay_alu instid0(VALU_DEP_2) | instskip(NEXT) | instid1(VALU_DEP_2)
	v_add_f64_e32 v[38:39], v[2:3], v[44:45]
	v_add_f64_e32 v[40:41], v[4:5], v[40:41]
	global_store_b128 v[28:29], v[38:41], off
.LBB276_21:                             ;   in Loop: Header=BB276_7 Depth=1
	s_and_not1_b32 vcc_lo, exec_lo, s19
	s_cbranch_vccnz .LBB276_23
; %bb.22:                               ;   in Loop: Header=BB276_7 Depth=1
	global_store_b128 v[28:29], v[2:5], off
.LBB276_23:                             ;   in Loop: Header=BB276_7 Depth=1
	s_wait_xcnt 0x0
	s_or_b32 exec_lo, exec_lo, s18
	s_and_saveexec_b32 s18, s12
	s_cbranch_execz .LBB276_28
; %bb.24:                               ;   in Loop: Header=BB276_7 Depth=1
	v_mul_f64_e32 v[2:3], s[8:9], v[36:37]
	v_mul_f64_e32 v[4:5], s[6:7], v[36:37]
	v_lshl_add_u64 v[26:27], v[16:17], 4, v[26:27]
	s_and_not1_b32 vcc_lo, exec_lo, s10
	s_mov_b32 s19, -1
	s_delay_alu instid0(VALU_DEP_3) | instskip(NEXT) | instid1(VALU_DEP_3)
	v_fma_f64 v[2:3], s[6:7], v[34:35], -v[2:3]
	v_fmac_f64_e32 v[4:5], s[8:9], v[34:35]
	s_cbranch_vccnz .LBB276_26
; %bb.25:                               ;   in Loop: Header=BB276_7 Depth=1
	global_load_b128 v[34:37], v[26:27], off
	s_mov_b32 s19, 0
	s_wait_loadcnt 0x0
	v_mul_f64_e32 v[28:29], s[24:25], v[36:37]
	v_mul_f64_e32 v[36:37], s[22:23], v[36:37]
	s_delay_alu instid0(VALU_DEP_2) | instskip(NEXT) | instid1(VALU_DEP_2)
	v_fma_f64 v[28:29], s[22:23], v[34:35], -v[28:29]
	v_fmac_f64_e32 v[36:37], s[24:25], v[34:35]
	s_delay_alu instid0(VALU_DEP_2) | instskip(NEXT) | instid1(VALU_DEP_2)
	v_add_f64_e32 v[34:35], v[2:3], v[28:29]
	v_add_f64_e32 v[36:37], v[4:5], v[36:37]
	global_store_b128 v[26:27], v[34:37], off
.LBB276_26:                             ;   in Loop: Header=BB276_7 Depth=1
	s_and_not1_b32 vcc_lo, exec_lo, s19
	s_cbranch_vccnz .LBB276_28
; %bb.27:                               ;   in Loop: Header=BB276_7 Depth=1
	global_store_b128 v[26:27], v[2:5], off
.LBB276_28:                             ;   in Loop: Header=BB276_7 Depth=1
	s_wait_xcnt 0x0
	s_or_b32 exec_lo, exec_lo, s18
	v_lshl_add_u64 v[26:27], v[12:13], 4, s[2:3]
	s_and_saveexec_b32 s2, s16
	s_cbranch_execz .LBB276_33
; %bb.29:                               ;   in Loop: Header=BB276_7 Depth=1
	v_mul_f64_e32 v[2:3], s[8:9], v[32:33]
	v_mul_f64_e32 v[4:5], s[6:7], v[32:33]
	v_lshl_add_u64 v[28:29], v[8:9], 4, v[26:27]
	s_and_not1_b32 vcc_lo, exec_lo, s10
	s_mov_b32 s3, -1
	s_delay_alu instid0(VALU_DEP_3) | instskip(NEXT) | instid1(VALU_DEP_3)
	v_fma_f64 v[2:3], s[6:7], v[30:31], -v[2:3]
	v_fmac_f64_e32 v[4:5], s[8:9], v[30:31]
	s_cbranch_vccnz .LBB276_31
; %bb.30:                               ;   in Loop: Header=BB276_7 Depth=1
	global_load_b128 v[30:33], v[28:29], off
	s_mov_b32 s3, 0
	s_wait_loadcnt 0x0
	v_mul_f64_e32 v[34:35], s[24:25], v[32:33]
	v_mul_f64_e32 v[32:33], s[22:23], v[32:33]
	s_delay_alu instid0(VALU_DEP_2) | instskip(NEXT) | instid1(VALU_DEP_2)
	v_fma_f64 v[34:35], s[22:23], v[30:31], -v[34:35]
	v_fmac_f64_e32 v[32:33], s[24:25], v[30:31]
	s_delay_alu instid0(VALU_DEP_2) | instskip(NEXT) | instid1(VALU_DEP_2)
	v_add_f64_e32 v[30:31], v[2:3], v[34:35]
	v_add_f64_e32 v[32:33], v[4:5], v[32:33]
	global_store_b128 v[28:29], v[30:33], off
.LBB276_31:                             ;   in Loop: Header=BB276_7 Depth=1
	s_and_not1_b32 vcc_lo, exec_lo, s3
	s_cbranch_vccnz .LBB276_33
; %bb.32:                               ;   in Loop: Header=BB276_7 Depth=1
	global_store_b128 v[28:29], v[2:5], off
.LBB276_33:                             ;   in Loop: Header=BB276_7 Depth=1
	s_wait_xcnt 0x0
	s_or_b32 exec_lo, exec_lo, s2
	s_and_saveexec_b32 s2, s17
	s_cbranch_execz .LBB276_6
; %bb.34:                               ;   in Loop: Header=BB276_7 Depth=1
	s_delay_alu instid0(VALU_DEP_3) | instskip(SKIP_3) | instid1(VALU_DEP_2)
	v_mul_f64_e32 v[2:3], s[8:9], v[24:25]
	v_mul_f64_e32 v[4:5], s[6:7], v[24:25]
	s_and_not1_b32 vcc_lo, exec_lo, s10
	s_mov_b32 s3, -1
	v_fma_f64 v[2:3], s[6:7], v[22:23], -v[2:3]
	s_delay_alu instid0(VALU_DEP_2)
	v_fmac_f64_e32 v[4:5], s[8:9], v[22:23]
	v_lshl_add_u64 v[22:23], v[16:17], 4, v[26:27]
	s_cbranch_vccnz .LBB276_36
; %bb.35:                               ;   in Loop: Header=BB276_7 Depth=1
	global_load_b128 v[24:27], v[22:23], off
	s_mov_b32 s3, 0
	s_wait_loadcnt 0x0
	v_mul_f64_e32 v[28:29], s[24:25], v[26:27]
	v_mul_f64_e32 v[26:27], s[22:23], v[26:27]
	s_delay_alu instid0(VALU_DEP_2) | instskip(NEXT) | instid1(VALU_DEP_2)
	v_fma_f64 v[28:29], s[22:23], v[24:25], -v[28:29]
	v_fmac_f64_e32 v[26:27], s[24:25], v[24:25]
	s_delay_alu instid0(VALU_DEP_2) | instskip(NEXT) | instid1(VALU_DEP_2)
	v_add_f64_e32 v[24:25], v[2:3], v[28:29]
	v_add_f64_e32 v[26:27], v[4:5], v[26:27]
	global_store_b128 v[22:23], v[24:27], off
.LBB276_36:                             ;   in Loop: Header=BB276_7 Depth=1
	s_and_not1_b32 vcc_lo, exec_lo, s3
	s_cbranch_vccnz .LBB276_6
; %bb.37:                               ;   in Loop: Header=BB276_7 Depth=1
	global_store_b128 v[22:23], v[2:5], off
	s_branch .LBB276_6
.LBB276_38:
.LBB276_39:
	s_sendmsg sendmsg(MSG_DEALLOC_VGPRS)
	s_endpgm
	.section	.rodata,"a",@progbits
	.p2align	6, 0x0
	.amdhsa_kernel _ZL29rocblas_internal_gemmt_kernelIlLi16ELi32ELi8ELc67ELc78ELc85ELb1ELb0E19rocblas_complex_numIdES1_PKS1_PS1_EviT_T9_T10_S5_lS7_S5_lS6_T11_S5_li
		.amdhsa_group_segment_fixed_size 8192
		.amdhsa_private_segment_fixed_size 0
		.amdhsa_kernarg_size 124
		.amdhsa_user_sgpr_count 2
		.amdhsa_user_sgpr_dispatch_ptr 0
		.amdhsa_user_sgpr_queue_ptr 0
		.amdhsa_user_sgpr_kernarg_segment_ptr 1
		.amdhsa_user_sgpr_dispatch_id 0
		.amdhsa_user_sgpr_kernarg_preload_length 0
		.amdhsa_user_sgpr_kernarg_preload_offset 0
		.amdhsa_user_sgpr_private_segment_size 0
		.amdhsa_wavefront_size32 1
		.amdhsa_uses_dynamic_stack 0
		.amdhsa_enable_private_segment 0
		.amdhsa_system_sgpr_workgroup_id_x 1
		.amdhsa_system_sgpr_workgroup_id_y 1
		.amdhsa_system_sgpr_workgroup_id_z 1
		.amdhsa_system_sgpr_workgroup_info 0
		.amdhsa_system_vgpr_workitem_id 1
		.amdhsa_next_free_vgpr 130
		.amdhsa_next_free_sgpr 39
		.amdhsa_named_barrier_count 0
		.amdhsa_reserve_vcc 1
		.amdhsa_float_round_mode_32 0
		.amdhsa_float_round_mode_16_64 0
		.amdhsa_float_denorm_mode_32 3
		.amdhsa_float_denorm_mode_16_64 3
		.amdhsa_fp16_overflow 0
		.amdhsa_memory_ordered 1
		.amdhsa_forward_progress 1
		.amdhsa_inst_pref_size 23
		.amdhsa_round_robin_scheduling 0
		.amdhsa_exception_fp_ieee_invalid_op 0
		.amdhsa_exception_fp_denorm_src 0
		.amdhsa_exception_fp_ieee_div_zero 0
		.amdhsa_exception_fp_ieee_overflow 0
		.amdhsa_exception_fp_ieee_underflow 0
		.amdhsa_exception_fp_ieee_inexact 0
		.amdhsa_exception_int_div_zero 0
	.end_amdhsa_kernel
	.section	.text._ZL29rocblas_internal_gemmt_kernelIlLi16ELi32ELi8ELc67ELc78ELc85ELb1ELb0E19rocblas_complex_numIdES1_PKS1_PS1_EviT_T9_T10_S5_lS7_S5_lS6_T11_S5_li,"axG",@progbits,_ZL29rocblas_internal_gemmt_kernelIlLi16ELi32ELi8ELc67ELc78ELc85ELb1ELb0E19rocblas_complex_numIdES1_PKS1_PS1_EviT_T9_T10_S5_lS7_S5_lS6_T11_S5_li,comdat
.Lfunc_end276:
	.size	_ZL29rocblas_internal_gemmt_kernelIlLi16ELi32ELi8ELc67ELc78ELc85ELb1ELb0E19rocblas_complex_numIdES1_PKS1_PS1_EviT_T9_T10_S5_lS7_S5_lS6_T11_S5_li, .Lfunc_end276-_ZL29rocblas_internal_gemmt_kernelIlLi16ELi32ELi8ELc67ELc78ELc85ELb1ELb0E19rocblas_complex_numIdES1_PKS1_PS1_EviT_T9_T10_S5_lS7_S5_lS6_T11_S5_li
                                        ; -- End function
	.set _ZL29rocblas_internal_gemmt_kernelIlLi16ELi32ELi8ELc67ELc78ELc85ELb1ELb0E19rocblas_complex_numIdES1_PKS1_PS1_EviT_T9_T10_S5_lS7_S5_lS6_T11_S5_li.num_vgpr, 130
	.set _ZL29rocblas_internal_gemmt_kernelIlLi16ELi32ELi8ELc67ELc78ELc85ELb1ELb0E19rocblas_complex_numIdES1_PKS1_PS1_EviT_T9_T10_S5_lS7_S5_lS6_T11_S5_li.num_agpr, 0
	.set _ZL29rocblas_internal_gemmt_kernelIlLi16ELi32ELi8ELc67ELc78ELc85ELb1ELb0E19rocblas_complex_numIdES1_PKS1_PS1_EviT_T9_T10_S5_lS7_S5_lS6_T11_S5_li.numbered_sgpr, 39
	.set _ZL29rocblas_internal_gemmt_kernelIlLi16ELi32ELi8ELc67ELc78ELc85ELb1ELb0E19rocblas_complex_numIdES1_PKS1_PS1_EviT_T9_T10_S5_lS7_S5_lS6_T11_S5_li.num_named_barrier, 0
	.set _ZL29rocblas_internal_gemmt_kernelIlLi16ELi32ELi8ELc67ELc78ELc85ELb1ELb0E19rocblas_complex_numIdES1_PKS1_PS1_EviT_T9_T10_S5_lS7_S5_lS6_T11_S5_li.private_seg_size, 0
	.set _ZL29rocblas_internal_gemmt_kernelIlLi16ELi32ELi8ELc67ELc78ELc85ELb1ELb0E19rocblas_complex_numIdES1_PKS1_PS1_EviT_T9_T10_S5_lS7_S5_lS6_T11_S5_li.uses_vcc, 1
	.set _ZL29rocblas_internal_gemmt_kernelIlLi16ELi32ELi8ELc67ELc78ELc85ELb1ELb0E19rocblas_complex_numIdES1_PKS1_PS1_EviT_T9_T10_S5_lS7_S5_lS6_T11_S5_li.uses_flat_scratch, 0
	.set _ZL29rocblas_internal_gemmt_kernelIlLi16ELi32ELi8ELc67ELc78ELc85ELb1ELb0E19rocblas_complex_numIdES1_PKS1_PS1_EviT_T9_T10_S5_lS7_S5_lS6_T11_S5_li.has_dyn_sized_stack, 0
	.set _ZL29rocblas_internal_gemmt_kernelIlLi16ELi32ELi8ELc67ELc78ELc85ELb1ELb0E19rocblas_complex_numIdES1_PKS1_PS1_EviT_T9_T10_S5_lS7_S5_lS6_T11_S5_li.has_recursion, 0
	.set _ZL29rocblas_internal_gemmt_kernelIlLi16ELi32ELi8ELc67ELc78ELc85ELb1ELb0E19rocblas_complex_numIdES1_PKS1_PS1_EviT_T9_T10_S5_lS7_S5_lS6_T11_S5_li.has_indirect_call, 0
	.section	.AMDGPU.csdata,"",@progbits
; Kernel info:
; codeLenInByte = 2852
; TotalNumSgprs: 41
; NumVgprs: 130
; ScratchSize: 0
; MemoryBound: 1
; FloatMode: 240
; IeeeMode: 1
; LDSByteSize: 8192 bytes/workgroup (compile time only)
; SGPRBlocks: 0
; VGPRBlocks: 8
; NumSGPRsForWavesPerEU: 41
; NumVGPRsForWavesPerEU: 130
; NamedBarCnt: 0
; Occupancy: 7
; WaveLimiterHint : 0
; COMPUTE_PGM_RSRC2:SCRATCH_EN: 0
; COMPUTE_PGM_RSRC2:USER_SGPR: 2
; COMPUTE_PGM_RSRC2:TRAP_HANDLER: 0
; COMPUTE_PGM_RSRC2:TGID_X_EN: 1
; COMPUTE_PGM_RSRC2:TGID_Y_EN: 1
; COMPUTE_PGM_RSRC2:TGID_Z_EN: 1
; COMPUTE_PGM_RSRC2:TIDIG_COMP_CNT: 1
	.section	.text._ZL29rocblas_internal_gemmt_kernelIlLi16ELi32ELi8ELc67ELc84ELc85ELb1ELb0E19rocblas_complex_numIdES1_PKS1_PS1_EviT_T9_T10_S5_lS7_S5_lS6_T11_S5_li,"axG",@progbits,_ZL29rocblas_internal_gemmt_kernelIlLi16ELi32ELi8ELc67ELc84ELc85ELb1ELb0E19rocblas_complex_numIdES1_PKS1_PS1_EviT_T9_T10_S5_lS7_S5_lS6_T11_S5_li,comdat
	.globl	_ZL29rocblas_internal_gemmt_kernelIlLi16ELi32ELi8ELc67ELc84ELc85ELb1ELb0E19rocblas_complex_numIdES1_PKS1_PS1_EviT_T9_T10_S5_lS7_S5_lS6_T11_S5_li ; -- Begin function _ZL29rocblas_internal_gemmt_kernelIlLi16ELi32ELi8ELc67ELc84ELc85ELb1ELb0E19rocblas_complex_numIdES1_PKS1_PS1_EviT_T9_T10_S5_lS7_S5_lS6_T11_S5_li
	.p2align	8
	.type	_ZL29rocblas_internal_gemmt_kernelIlLi16ELi32ELi8ELc67ELc84ELc85ELb1ELb0E19rocblas_complex_numIdES1_PKS1_PS1_EviT_T9_T10_S5_lS7_S5_lS6_T11_S5_li,@function
_ZL29rocblas_internal_gemmt_kernelIlLi16ELi32ELi8ELc67ELc84ELc85ELb1ELb0E19rocblas_complex_numIdES1_PKS1_PS1_EviT_T9_T10_S5_lS7_S5_lS6_T11_S5_li: ; @_ZL29rocblas_internal_gemmt_kernelIlLi16ELi32ELi8ELc67ELc84ELc85ELb1ELb0E19rocblas_complex_numIdES1_PKS1_PS1_EviT_T9_T10_S5_lS7_S5_lS6_T11_S5_li
; %bb.0:
	s_clause 0x1
	s_load_b256 s[20:27], s[0:1], 0x48
	s_load_b512 s[4:19], s[0:1], 0x8
	s_wait_kmcnt 0x0
	v_cmp_eq_f64_e64 s3, s[22:23], 1.0
	v_cmp_eq_f64_e64 s2, s[24:25], 0
	s_and_b32 s3, s3, s2
	s_delay_alu instid0(SALU_CYCLE_1)
	s_and_not1_b32 vcc_lo, exec_lo, s3
	s_mov_b32 s3, -1
	s_cbranch_vccnz .LBB277_3
; %bb.1:
	s_cmp_lg_u64 s[4:5], 0
	s_cbranch_scc0 .LBB277_38
; %bb.2:
	v_cmp_neq_f64_e64 s3, s[6:7], 0
	v_cmp_neq_f64_e64 s28, s[8:9], 0
	s_or_b32 s3, s3, s28
.LBB277_3:
	s_delay_alu instid0(SALU_CYCLE_1)
	s_and_b32 vcc_lo, exec_lo, s3
	s_cbranch_vccz .LBB277_39
; %bb.4:
	s_load_b32 s33, s[0:1], 0x78
	s_bfe_u32 s3, ttmp6, 0x40014
	s_lshr_b32 s28, ttmp7, 16
	s_add_co_i32 s3, s3, 1
	s_bfe_u32 s30, ttmp6, 0x40008
	s_mul_i32 s29, s28, s3
	s_getreg_b32 s3, hwreg(HW_REG_IB_STS2, 6, 4)
	s_add_co_i32 s30, s30, s29
	s_cmp_eq_u32 s3, 0
	s_mov_b32 s35, 0
	s_cselect_b32 s34, s28, s30
	s_wait_kmcnt 0x0
	s_cmp_ge_u32 s34, s33
	s_cbranch_scc1 .LBB277_39
; %bb.5:
	v_and_b32_e32 v8, 0x3ff, v0
	v_bfe_u32 v1, v0, 10, 10
	s_bfe_u32 s28, ttmp6, 0x4000c
	s_bfe_u32 s30, ttmp6, 0x40010
	s_add_co_i32 s28, s28, 1
	s_and_b32 s31, ttmp7, 0xffff
	s_add_co_i32 s30, s30, 1
	v_lshl_add_u32 v9, v1, 4, v8
	s_and_b32 s29, ttmp6, 15
	s_mul_i32 s28, ttmp9, s28
	s_mul_i32 s30, s31, s30
	s_bfe_u32 s36, ttmp6, 0x40004
	s_add_co_i32 s29, s29, s28
	s_add_co_i32 s36, s36, s30
	s_cmp_eq_u32 s3, 0
	v_and_b32_e32 v16, 31, v9
	s_cselect_b32 s3, ttmp9, s29
	s_cselect_b32 s36, s31, s36
	s_load_b128 s[28:31], s[0:1], 0x68
	s_lshl_b32 s3, s3, 5
	s_lshl_b32 s36, s36, 5
	s_delay_alu instid0(SALU_CYCLE_1) | instskip(SKIP_3) | instid1(VALU_DEP_4)
	v_dual_add_nc_u32 v18, s36, v1 :: v_dual_bitop2_b32 v2, s3, v16 bitop3:0x54
	v_and_b32_e32 v6, 7, v0
	v_lshl_add_u32 v15, v1, 7, 0x1000
	v_cmp_neq_f64_e64 s37, s[6:7], 0
	v_ashrrev_i32_e32 v3, 31, v2
	v_dual_add_nc_u32 v0, 16, v18 :: v_dual_ashrrev_i32 v19, 31, v18
	v_cmp_neq_f64_e64 s38, s[8:9], 0
	v_lshlrev_b32_e32 v7, 4, v8
	s_delay_alu instid0(VALU_DEP_4)
	v_mul_u64_e32 v[4:5], s[12:13], v[2:3]
	v_cmp_neq_f64_e64 s12, s[22:23], 0
	v_ashrrev_i32_e32 v1, 31, v0
	s_load_b32 s13, s[0:1], 0x0
	v_dual_lshlrev_b32 v3, 4, v6 :: v_dual_lshrrev_b32 v17, 3, v9
	v_add_nc_u32_e32 v8, s3, v8
	s_wait_kmcnt 0x0
	v_mul_u64_e32 v[10:11], s[28:29], v[18:19]
	v_mul_u64_e32 v[12:13], s[28:29], v[0:1]
	v_dual_lshrrev_b32 v14, 5, v9 :: v_dual_lshlrev_b32 v1, 4, v16
	v_dual_add_nc_u32 v20, s36, v17 :: v_dual_add_nc_u32 v16, 16, v8
	s_xor_b32 s40, s2, -1
	v_cmp_le_i32_e32 vcc_lo, v8, v18
	v_lshl_or_b32 v3, v17, 7, v3
	s_delay_alu instid0(VALU_DEP_3)
	v_ashrrev_i32_e32 v21, 31, v20
	v_cmp_le_i32_e64 s3, v16, v18
	v_cmp_gt_i64_e64 s39, s[4:5], 0
	v_lshl_or_b32 v42, v14, 9, v1
	v_mov_b32_e32 v1, 0
	v_add_nc_u32_e32 v43, 0x1000, v3
	v_ashrrev_i32_e32 v9, 31, v8
	v_cmp_gt_i32_e64 s2, s13, v18
	v_cmp_gt_i32_e64 s1, s13, v20
	v_lshl_add_u64 v[18:19], v[20:21], 4, s[16:17]
	v_cmp_gt_i32_e64 s0, s13, v2
	v_ashrrev_i32_e32 v17, 31, v16
	s_xor_b32 s1, s1, -1
	s_or_b32 s16, s37, s38
	v_lshl_add_u64 v[20:21], v[4:5], 4, s[10:11]
	s_or_b32 s10, s12, s40
	s_and_b32 s11, s2, vcc_lo
	s_and_b32 s12, s2, s3
	v_cmp_gt_i32_e32 vcc_lo, s13, v0
	v_cmp_le_i32_e64 s2, v8, v0
	v_cmp_le_i32_e64 s3, v16, v0
	s_and_b32 s13, s16, s39
	s_and_b32 s16, vcc_lo, s2
	s_and_b32 s17, vcc_lo, s3
	s_branch .LBB277_7
.LBB277_6:                              ;   in Loop: Header=BB277_7 Depth=1
	s_wait_xcnt 0x0
	s_or_b32 exec_lo, exec_lo, s2
	s_add_co_i32 s34, s34, 0x10000
	s_delay_alu instid0(SALU_CYCLE_1)
	s_cmp_lt_u32 s34, s33
	s_cbranch_scc0 .LBB277_39
.LBB277_7:                              ; =>This Loop Header: Depth=1
                                        ;     Child Loop BB277_10 Depth 2
	v_mov_b64_e32 v[38:39], 0
	v_mov_b64_e32 v[40:41], 0
	;; [unrolled: 1-line block ×8, first 2 shown]
	s_and_not1_b32 vcc_lo, exec_lo, s13
	s_cbranch_vccnz .LBB277_18
; %bb.8:                                ;   in Loop: Header=BB277_7 Depth=1
	s_mul_u64 s[2:3], s[20:21], s[34:35]
	s_mul_u64 s[28:29], s[14:15], s[34:35]
	v_mov_b64_e32 v[24:25], 0
	v_mov_b64_e32 v[22:23], 0
	;; [unrolled: 1-line block ×8, first 2 shown]
	v_lshl_add_u64 v[26:27], s[28:29], 4, v[20:21]
	v_lshl_add_u64 v[28:29], s[2:3], 4, v[18:19]
	s_mov_b64 s[2:3], 0
	s_branch .LBB277_10
.LBB277_9:                              ;   in Loop: Header=BB277_10 Depth=2
	s_wait_xcnt 0x0
	s_or_b32 exec_lo, exec_lo, s28
	s_wait_dscnt 0x0
	s_barrier_signal -1
	s_barrier_wait -1
	ds_load_b128 v[2:5], v15
	ds_load_b128 v[44:47], v7
	ds_load_b128 v[48:51], v7 offset:256
	ds_load_b128 v[52:55], v15 offset:2048
	;; [unrolled: 1-line block ×10, first 2 shown]
	s_add_nc_u64 s[2:3], s[2:3], 8
	s_delay_alu instid0(SALU_CYCLE_1)
	v_cmp_gt_i64_e64 s28, s[4:5], s[2:3]
	s_and_b32 vcc_lo, exec_lo, s28
	s_wait_dscnt 0xa
	v_mul_f64_e32 v[88:89], v[4:5], v[46:47]
	v_mul_f64_e32 v[90:91], v[2:3], v[46:47]
	s_wait_dscnt 0x9
	v_mul_f64_e32 v[92:93], v[4:5], v[50:51]
	v_mul_f64_e32 v[94:95], v[2:3], v[50:51]
	s_wait_dscnt 0x8
	v_mul_f64_e32 v[96:97], v[54:55], v[46:47]
	v_mul_f64_e32 v[98:99], v[52:53], v[46:47]
	v_mul_f64_e32 v[46:47], v[54:55], v[50:51]
	v_mul_f64_e32 v[100:101], v[52:53], v[50:51]
	s_wait_dscnt 0x6
	v_mul_f64_e32 v[102:103], v[58:59], v[62:63]
	v_mul_f64_e32 v[104:105], v[56:57], v[62:63]
	s_wait_dscnt 0x5
	v_mul_f64_e32 v[106:107], v[58:59], v[66:67]
	v_mul_f64_e32 v[108:109], v[56:57], v[66:67]
	s_wait_dscnt 0x4
	v_mul_f64_e32 v[110:111], v[70:71], v[62:63]
	v_mul_f64_e32 v[62:63], v[68:69], v[62:63]
	v_mul_f64_e32 v[112:113], v[70:71], v[66:67]
	v_mul_f64_e32 v[66:67], v[68:69], v[66:67]
	;; [unrolled: 11-line block ×3, first 2 shown]
	v_fma_f64 v[88:89], v[2:3], v[44:45], -v[88:89]
	v_fmac_f64_e32 v[90:91], v[4:5], v[44:45]
	v_fma_f64 v[92:93], v[2:3], v[48:49], -v[92:93]
	v_fmac_f64_e32 v[94:95], v[4:5], v[48:49]
	;; [unrolled: 2-line block ×8, first 2 shown]
	ds_load_b128 v[2:5], v15 offset:48
	ds_load_b128 v[44:47], v15 offset:2096
	;; [unrolled: 1-line block ×4, first 2 shown]
	v_fma_f64 v[116:117], v[72:73], v[76:77], -v[116:117]
	v_fmac_f64_e32 v[118:119], v[74:75], v[76:77]
	v_fma_f64 v[72:73], v[72:73], v[80:81], -v[120:121]
	v_fmac_f64_e32 v[122:123], v[74:75], v[80:81]
	;; [unrolled: 2-line block ×4, first 2 shown]
	v_add_f64_e32 v[64:65], v[38:39], v[88:89]
	v_add_f64_e32 v[68:69], v[90:91], v[40:41]
	;; [unrolled: 1-line block ×8, first 2 shown]
	s_wait_dscnt 0x1
	v_mul_f64_e32 v[98:99], v[4:5], v[50:51]
	v_mul_f64_e32 v[100:101], v[2:3], v[50:51]
	s_wait_dscnt 0x0
	v_mul_f64_e32 v[106:107], v[4:5], v[54:55]
	v_mul_f64_e32 v[110:111], v[2:3], v[54:55]
	;; [unrolled: 1-line block ×6, first 2 shown]
	ds_load_b128 v[22:25], v15 offset:64
	ds_load_b128 v[30:33], v7 offset:2048
	;; [unrolled: 1-line block ×4, first 2 shown]
	v_add_f64_e32 v[80:81], v[64:65], v[102:103]
	v_add_f64_e32 v[84:85], v[104:105], v[68:69]
	;; [unrolled: 1-line block ×8, first 2 shown]
	s_wait_dscnt 0x2
	v_mul_f64_e32 v[96:97], v[24:25], v[32:33]
	v_mul_f64_e32 v[102:103], v[22:23], v[32:33]
	s_wait_dscnt 0x1
	v_mul_f64_e32 v[104:105], v[24:25], v[36:37]
	v_mul_f64_e32 v[108:109], v[22:23], v[36:37]
	;; [unrolled: 3-line block ×3, first 2 shown]
	v_mul_f64_e32 v[32:33], v[40:41], v[36:37]
	v_mul_f64_e32 v[126:127], v[38:39], v[36:37]
	v_fma_f64 v[36:37], v[2:3], v[48:49], -v[98:99]
	v_fmac_f64_e32 v[100:101], v[4:5], v[48:49]
	v_fma_f64 v[98:99], v[2:3], v[52:53], -v[106:107]
	v_fmac_f64_e32 v[110:111], v[4:5], v[52:53]
	;; [unrolled: 2-line block ×4, first 2 shown]
	ds_load_b128 v[54:57], v15 offset:80
	ds_load_b128 v[58:61], v15 offset:2128
	;; [unrolled: 1-line block ×4, first 2 shown]
	v_add_f64_e32 v[52:53], v[80:81], v[116:117]
	v_add_f64_e32 v[80:81], v[118:119], v[84:85]
	;; [unrolled: 1-line block ×8, first 2 shown]
	v_fma_f64 v[96:97], v[22:23], v[30:31], -v[96:97]
	v_fmac_f64_e32 v[102:103], v[24:25], v[30:31]
	v_fma_f64 v[104:105], v[22:23], v[34:35], -v[104:105]
	s_wait_dscnt 0x1
	v_mul_f64_e32 v[88:89], v[56:57], v[64:65]
	v_mul_f64_e32 v[90:91], v[54:55], v[64:65]
	s_wait_dscnt 0x0
	v_mul_f64_e32 v[92:93], v[56:57], v[68:69]
	v_mul_f64_e32 v[94:95], v[54:55], v[68:69]
	;; [unrolled: 1-line block ×6, first 2 shown]
	v_fmac_f64_e32 v[108:109], v[24:25], v[34:35]
	v_fma_f64 v[120:121], v[38:39], v[30:31], -v[120:121]
	v_fmac_f64_e32 v[124:125], v[40:41], v[30:31]
	v_fma_f64 v[122:123], v[38:39], v[34:35], -v[32:33]
	v_fmac_f64_e32 v[126:127], v[40:41], v[34:35]
	ds_load_b128 v[2:5], v15 offset:96
	ds_load_b128 v[44:47], v7 offset:3072
	;; [unrolled: 1-line block ×4, first 2 shown]
	v_add_f64_e32 v[52:53], v[52:53], v[36:37]
	v_add_f64_e32 v[80:81], v[100:101], v[80:81]
	;; [unrolled: 1-line block ×8, first 2 shown]
	ds_load_b128 v[22:25], v15 offset:112
	ds_load_b128 v[30:33], v15 offset:2160
	;; [unrolled: 1-line block ×4, first 2 shown]
	s_wait_dscnt 0x0
	v_mul_f64_e32 v[98:99], v[4:5], v[46:47]
	v_mul_f64_e32 v[100:101], v[2:3], v[46:47]
	;; [unrolled: 1-line block ×8, first 2 shown]
	v_fma_f64 v[88:89], v[54:55], v[62:63], -v[88:89]
	v_fmac_f64_e32 v[90:91], v[56:57], v[62:63]
	v_fma_f64 v[54:55], v[54:55], v[66:67], -v[92:93]
	v_fmac_f64_e32 v[94:95], v[56:57], v[66:67]
	;; [unrolled: 2-line block ×4, first 2 shown]
	s_barrier_signal -1
	s_barrier_wait -1
	v_mul_f64_e32 v[92:93], v[22:23], v[40:41]
	v_add_f64_e32 v[52:53], v[52:53], v[96:97]
	v_add_f64_e32 v[60:61], v[102:103], v[80:81]
	;; [unrolled: 1-line block ×8, first 2 shown]
	v_mul_f64_e32 v[82:83], v[24:25], v[36:37]
	v_mul_f64_e32 v[84:85], v[22:23], v[36:37]
	;; [unrolled: 1-line block ×7, first 2 shown]
	v_fma_f64 v[40:41], v[2:3], v[44:45], -v[98:99]
	v_fmac_f64_e32 v[100:101], v[4:5], v[44:45]
	v_fma_f64 v[2:3], v[2:3], v[48:49], -v[106:107]
	v_fmac_f64_e32 v[110:111], v[4:5], v[48:49]
	;; [unrolled: 2-line block ×4, first 2 shown]
	v_fmac_f64_e32 v[92:93], v[24:25], v[38:39]
	v_add_f64_e32 v[48:49], v[52:53], v[88:89]
	v_add_f64_e32 v[52:53], v[90:91], v[60:61]
	;; [unrolled: 1-line block ×8, first 2 shown]
	v_fma_f64 v[66:67], v[22:23], v[34:35], -v[82:83]
	v_fmac_f64_e32 v[84:85], v[24:25], v[34:35]
	v_fma_f64 v[22:23], v[22:23], v[38:39], -v[86:87]
	v_fma_f64 v[24:25], v[30:31], v[34:35], -v[96:97]
	v_fmac_f64_e32 v[102:103], v[32:33], v[34:35]
	v_fma_f64 v[68:69], v[30:31], v[38:39], -v[36:37]
	v_fmac_f64_e32 v[104:105], v[32:33], v[38:39]
	v_add_f64_e32 v[30:31], v[48:49], v[40:41]
	v_add_f64_e32 v[32:33], v[100:101], v[52:53]
	v_add_f64_e32 v[2:3], v[54:55], v[2:3]
	v_add_f64_e32 v[36:37], v[110:111], v[60:61]
	v_add_f64_e32 v[4:5], v[56:57], v[4:5]
	v_add_f64_e32 v[46:47], v[46:47], v[62:63]
	v_add_f64_e32 v[44:45], v[58:59], v[44:45]
	v_add_f64_e32 v[48:49], v[50:51], v[64:65]
	v_add_f64_e32 v[38:39], v[30:31], v[66:67]
	v_add_f64_e32 v[40:41], v[84:85], v[32:33]
	v_add_f64_e32 v[34:35], v[2:3], v[22:23]
	v_add_f64_e32 v[36:37], v[92:93], v[36:37]
	v_add_f64_e32 v[30:31], v[4:5], v[24:25]
	v_add_f64_e32 v[32:33], v[102:103], v[46:47]
	v_add_f64_e32 v[22:23], v[44:45], v[68:69]
	v_add_f64_e32 v[24:25], v[104:105], v[48:49]
	s_cbranch_vccz .LBB277_18
.LBB277_10:                             ;   Parent Loop BB277_7 Depth=1
                                        ; =>  This Inner Loop Header: Depth=2
	v_mov_b64_e32 v[2:3], 0
	v_mov_b64_e32 v[4:5], 0
	s_and_saveexec_b32 s28, s0
	s_cbranch_execz .LBB277_14
; %bb.11:                               ;   in Loop: Header=BB277_10 Depth=2
	v_mov_b64_e32 v[4:5], 0
	v_mov_b64_e32 v[2:3], 0
	v_add_nc_u32_e32 v0, s2, v14
	s_mov_b32 s29, exec_lo
	s_delay_alu instid0(VALU_DEP_1)
	v_cmpx_gt_u64_e64 s[4:5], v[0:1]
	s_cbranch_execz .LBB277_13
; %bb.12:                               ;   in Loop: Header=BB277_10 Depth=2
	v_lshl_add_u64 v[2:3], v[0:1], 4, v[26:27]
	global_load_b128 v[2:5], v[2:3], off
	s_wait_loadcnt 0x0
	v_xor_b32_e32 v5, 0x80000000, v5
.LBB277_13:                             ;   in Loop: Header=BB277_10 Depth=2
	s_wait_xcnt 0x0
	s_or_b32 exec_lo, exec_lo, s29
.LBB277_14:                             ;   in Loop: Header=BB277_10 Depth=2
	s_delay_alu instid0(SALU_CYCLE_1) | instskip(SKIP_4) | instid1(SALU_CYCLE_1)
	s_or_b32 exec_lo, exec_lo, s28
	v_add_nc_u32_e32 v0, s2, v6
	ds_store_b128 v42, v[2:5]
	v_cmp_le_u64_e32 vcc_lo, s[4:5], v[0:1]
	s_or_b32 s28, vcc_lo, s1
	s_and_saveexec_b32 s29, s28
	s_delay_alu instid0(SALU_CYCLE_1)
	s_xor_b32 s28, exec_lo, s29
; %bb.15:                               ;   in Loop: Header=BB277_10 Depth=2
	v_dual_mov_b32 v0, v1 :: v_dual_mov_b32 v2, v1
	v_mov_b32_e32 v3, v1
	ds_store_b128 v43, v[0:3]
; %bb.16:                               ;   in Loop: Header=BB277_10 Depth=2
	s_and_not1_saveexec_b32 s28, s28
	s_cbranch_execz .LBB277_9
; %bb.17:                               ;   in Loop: Header=BB277_10 Depth=2
	v_mul_u64_e32 v[2:3], s[18:19], v[0:1]
	s_delay_alu instid0(VALU_DEP_1)
	v_lshl_add_u64 v[2:3], v[2:3], 4, v[28:29]
	global_load_b128 v[2:5], v[2:3], off
	s_wait_loadcnt 0x0
	ds_store_2addr_b64 v43, v[2:3], v[4:5] offset1:1
	s_branch .LBB277_9
.LBB277_18:                             ;   in Loop: Header=BB277_7 Depth=1
	s_mul_u64 s[2:3], s[30:31], s[34:35]
	s_delay_alu instid0(SALU_CYCLE_1) | instskip(NEXT) | instid1(SALU_CYCLE_1)
	s_lshl_b64 s[2:3], s[2:3], 4
	s_add_nc_u64 s[2:3], s[26:27], s[2:3]
	s_delay_alu instid0(SALU_CYCLE_1)
	v_lshl_add_u64 v[26:27], v[10:11], 4, s[2:3]
	s_and_saveexec_b32 s28, s11
	s_cbranch_execz .LBB277_23
; %bb.19:                               ;   in Loop: Header=BB277_7 Depth=1
	v_mul_f64_e32 v[2:3], s[8:9], v[40:41]
	v_mul_f64_e32 v[4:5], s[6:7], v[40:41]
	v_lshl_add_u64 v[28:29], v[8:9], 4, v[26:27]
	s_and_b32 vcc_lo, exec_lo, s10
	s_mov_b32 s29, -1
	s_delay_alu instid0(VALU_DEP_3) | instskip(NEXT) | instid1(VALU_DEP_3)
	v_fma_f64 v[2:3], s[6:7], v[38:39], -v[2:3]
	v_fmac_f64_e32 v[4:5], s[8:9], v[38:39]
	s_cbranch_vccz .LBB277_21
; %bb.20:                               ;   in Loop: Header=BB277_7 Depth=1
	global_load_b128 v[38:41], v[28:29], off
	s_mov_b32 s29, 0
	s_wait_loadcnt 0x0
	v_mul_f64_e32 v[44:45], s[24:25], v[40:41]
	v_mul_f64_e32 v[40:41], s[22:23], v[40:41]
	s_delay_alu instid0(VALU_DEP_2) | instskip(NEXT) | instid1(VALU_DEP_2)
	v_fma_f64 v[44:45], s[22:23], v[38:39], -v[44:45]
	v_fmac_f64_e32 v[40:41], s[24:25], v[38:39]
	s_delay_alu instid0(VALU_DEP_2) | instskip(NEXT) | instid1(VALU_DEP_2)
	v_add_f64_e32 v[38:39], v[2:3], v[44:45]
	v_add_f64_e32 v[40:41], v[4:5], v[40:41]
	global_store_b128 v[28:29], v[38:41], off
.LBB277_21:                             ;   in Loop: Header=BB277_7 Depth=1
	s_and_not1_b32 vcc_lo, exec_lo, s29
	s_cbranch_vccnz .LBB277_23
; %bb.22:                               ;   in Loop: Header=BB277_7 Depth=1
	global_store_b128 v[28:29], v[2:5], off
.LBB277_23:                             ;   in Loop: Header=BB277_7 Depth=1
	s_wait_xcnt 0x0
	s_or_b32 exec_lo, exec_lo, s28
	s_and_saveexec_b32 s28, s12
	s_cbranch_execz .LBB277_28
; %bb.24:                               ;   in Loop: Header=BB277_7 Depth=1
	v_mul_f64_e32 v[2:3], s[8:9], v[36:37]
	v_mul_f64_e32 v[4:5], s[6:7], v[36:37]
	v_lshl_add_u64 v[26:27], v[16:17], 4, v[26:27]
	s_and_not1_b32 vcc_lo, exec_lo, s10
	s_mov_b32 s29, -1
	s_delay_alu instid0(VALU_DEP_3) | instskip(NEXT) | instid1(VALU_DEP_3)
	v_fma_f64 v[2:3], s[6:7], v[34:35], -v[2:3]
	v_fmac_f64_e32 v[4:5], s[8:9], v[34:35]
	s_cbranch_vccnz .LBB277_26
; %bb.25:                               ;   in Loop: Header=BB277_7 Depth=1
	global_load_b128 v[34:37], v[26:27], off
	s_mov_b32 s29, 0
	s_wait_loadcnt 0x0
	v_mul_f64_e32 v[28:29], s[24:25], v[36:37]
	v_mul_f64_e32 v[36:37], s[22:23], v[36:37]
	s_delay_alu instid0(VALU_DEP_2) | instskip(NEXT) | instid1(VALU_DEP_2)
	v_fma_f64 v[28:29], s[22:23], v[34:35], -v[28:29]
	v_fmac_f64_e32 v[36:37], s[24:25], v[34:35]
	s_delay_alu instid0(VALU_DEP_2) | instskip(NEXT) | instid1(VALU_DEP_2)
	v_add_f64_e32 v[34:35], v[2:3], v[28:29]
	v_add_f64_e32 v[36:37], v[4:5], v[36:37]
	global_store_b128 v[26:27], v[34:37], off
.LBB277_26:                             ;   in Loop: Header=BB277_7 Depth=1
	s_and_not1_b32 vcc_lo, exec_lo, s29
	s_cbranch_vccnz .LBB277_28
; %bb.27:                               ;   in Loop: Header=BB277_7 Depth=1
	global_store_b128 v[26:27], v[2:5], off
.LBB277_28:                             ;   in Loop: Header=BB277_7 Depth=1
	s_wait_xcnt 0x0
	s_or_b32 exec_lo, exec_lo, s28
	v_lshl_add_u64 v[26:27], v[12:13], 4, s[2:3]
	s_and_saveexec_b32 s2, s16
	s_cbranch_execz .LBB277_33
; %bb.29:                               ;   in Loop: Header=BB277_7 Depth=1
	v_mul_f64_e32 v[2:3], s[8:9], v[32:33]
	v_mul_f64_e32 v[4:5], s[6:7], v[32:33]
	v_lshl_add_u64 v[28:29], v[8:9], 4, v[26:27]
	s_and_not1_b32 vcc_lo, exec_lo, s10
	s_mov_b32 s3, -1
	s_delay_alu instid0(VALU_DEP_3) | instskip(NEXT) | instid1(VALU_DEP_3)
	v_fma_f64 v[2:3], s[6:7], v[30:31], -v[2:3]
	v_fmac_f64_e32 v[4:5], s[8:9], v[30:31]
	s_cbranch_vccnz .LBB277_31
; %bb.30:                               ;   in Loop: Header=BB277_7 Depth=1
	global_load_b128 v[30:33], v[28:29], off
	s_mov_b32 s3, 0
	s_wait_loadcnt 0x0
	v_mul_f64_e32 v[34:35], s[24:25], v[32:33]
	v_mul_f64_e32 v[32:33], s[22:23], v[32:33]
	s_delay_alu instid0(VALU_DEP_2) | instskip(NEXT) | instid1(VALU_DEP_2)
	v_fma_f64 v[34:35], s[22:23], v[30:31], -v[34:35]
	v_fmac_f64_e32 v[32:33], s[24:25], v[30:31]
	s_delay_alu instid0(VALU_DEP_2) | instskip(NEXT) | instid1(VALU_DEP_2)
	v_add_f64_e32 v[30:31], v[2:3], v[34:35]
	v_add_f64_e32 v[32:33], v[4:5], v[32:33]
	global_store_b128 v[28:29], v[30:33], off
.LBB277_31:                             ;   in Loop: Header=BB277_7 Depth=1
	s_and_not1_b32 vcc_lo, exec_lo, s3
	s_cbranch_vccnz .LBB277_33
; %bb.32:                               ;   in Loop: Header=BB277_7 Depth=1
	global_store_b128 v[28:29], v[2:5], off
.LBB277_33:                             ;   in Loop: Header=BB277_7 Depth=1
	s_wait_xcnt 0x0
	s_or_b32 exec_lo, exec_lo, s2
	s_and_saveexec_b32 s2, s17
	s_cbranch_execz .LBB277_6
; %bb.34:                               ;   in Loop: Header=BB277_7 Depth=1
	s_delay_alu instid0(VALU_DEP_3) | instskip(SKIP_3) | instid1(VALU_DEP_2)
	v_mul_f64_e32 v[2:3], s[8:9], v[24:25]
	v_mul_f64_e32 v[4:5], s[6:7], v[24:25]
	s_and_not1_b32 vcc_lo, exec_lo, s10
	s_mov_b32 s3, -1
	v_fma_f64 v[2:3], s[6:7], v[22:23], -v[2:3]
	s_delay_alu instid0(VALU_DEP_2)
	v_fmac_f64_e32 v[4:5], s[8:9], v[22:23]
	v_lshl_add_u64 v[22:23], v[16:17], 4, v[26:27]
	s_cbranch_vccnz .LBB277_36
; %bb.35:                               ;   in Loop: Header=BB277_7 Depth=1
	global_load_b128 v[24:27], v[22:23], off
	s_mov_b32 s3, 0
	s_wait_loadcnt 0x0
	v_mul_f64_e32 v[28:29], s[24:25], v[26:27]
	v_mul_f64_e32 v[26:27], s[22:23], v[26:27]
	s_delay_alu instid0(VALU_DEP_2) | instskip(NEXT) | instid1(VALU_DEP_2)
	v_fma_f64 v[28:29], s[22:23], v[24:25], -v[28:29]
	v_fmac_f64_e32 v[26:27], s[24:25], v[24:25]
	s_delay_alu instid0(VALU_DEP_2) | instskip(NEXT) | instid1(VALU_DEP_2)
	v_add_f64_e32 v[24:25], v[2:3], v[28:29]
	v_add_f64_e32 v[26:27], v[4:5], v[26:27]
	global_store_b128 v[22:23], v[24:27], off
.LBB277_36:                             ;   in Loop: Header=BB277_7 Depth=1
	s_and_not1_b32 vcc_lo, exec_lo, s3
	s_cbranch_vccnz .LBB277_6
; %bb.37:                               ;   in Loop: Header=BB277_7 Depth=1
	global_store_b128 v[22:23], v[2:5], off
	s_branch .LBB277_6
.LBB277_38:
.LBB277_39:
	s_sendmsg sendmsg(MSG_DEALLOC_VGPRS)
	s_endpgm
	.section	.rodata,"a",@progbits
	.p2align	6, 0x0
	.amdhsa_kernel _ZL29rocblas_internal_gemmt_kernelIlLi16ELi32ELi8ELc67ELc84ELc85ELb1ELb0E19rocblas_complex_numIdES1_PKS1_PS1_EviT_T9_T10_S5_lS7_S5_lS6_T11_S5_li
		.amdhsa_group_segment_fixed_size 8192
		.amdhsa_private_segment_fixed_size 0
		.amdhsa_kernarg_size 124
		.amdhsa_user_sgpr_count 2
		.amdhsa_user_sgpr_dispatch_ptr 0
		.amdhsa_user_sgpr_queue_ptr 0
		.amdhsa_user_sgpr_kernarg_segment_ptr 1
		.amdhsa_user_sgpr_dispatch_id 0
		.amdhsa_user_sgpr_kernarg_preload_length 0
		.amdhsa_user_sgpr_kernarg_preload_offset 0
		.amdhsa_user_sgpr_private_segment_size 0
		.amdhsa_wavefront_size32 1
		.amdhsa_uses_dynamic_stack 0
		.amdhsa_enable_private_segment 0
		.amdhsa_system_sgpr_workgroup_id_x 1
		.amdhsa_system_sgpr_workgroup_id_y 1
		.amdhsa_system_sgpr_workgroup_id_z 1
		.amdhsa_system_sgpr_workgroup_info 0
		.amdhsa_system_vgpr_workitem_id 1
		.amdhsa_next_free_vgpr 130
		.amdhsa_next_free_sgpr 41
		.amdhsa_named_barrier_count 0
		.amdhsa_reserve_vcc 1
		.amdhsa_float_round_mode_32 0
		.amdhsa_float_round_mode_16_64 0
		.amdhsa_float_denorm_mode_32 3
		.amdhsa_float_denorm_mode_16_64 3
		.amdhsa_fp16_overflow 0
		.amdhsa_memory_ordered 1
		.amdhsa_forward_progress 1
		.amdhsa_inst_pref_size 23
		.amdhsa_round_robin_scheduling 0
		.amdhsa_exception_fp_ieee_invalid_op 0
		.amdhsa_exception_fp_denorm_src 0
		.amdhsa_exception_fp_ieee_div_zero 0
		.amdhsa_exception_fp_ieee_overflow 0
		.amdhsa_exception_fp_ieee_underflow 0
		.amdhsa_exception_fp_ieee_inexact 0
		.amdhsa_exception_int_div_zero 0
	.end_amdhsa_kernel
	.section	.text._ZL29rocblas_internal_gemmt_kernelIlLi16ELi32ELi8ELc67ELc84ELc85ELb1ELb0E19rocblas_complex_numIdES1_PKS1_PS1_EviT_T9_T10_S5_lS7_S5_lS6_T11_S5_li,"axG",@progbits,_ZL29rocblas_internal_gemmt_kernelIlLi16ELi32ELi8ELc67ELc84ELc85ELb1ELb0E19rocblas_complex_numIdES1_PKS1_PS1_EviT_T9_T10_S5_lS7_S5_lS6_T11_S5_li,comdat
.Lfunc_end277:
	.size	_ZL29rocblas_internal_gemmt_kernelIlLi16ELi32ELi8ELc67ELc84ELc85ELb1ELb0E19rocblas_complex_numIdES1_PKS1_PS1_EviT_T9_T10_S5_lS7_S5_lS6_T11_S5_li, .Lfunc_end277-_ZL29rocblas_internal_gemmt_kernelIlLi16ELi32ELi8ELc67ELc84ELc85ELb1ELb0E19rocblas_complex_numIdES1_PKS1_PS1_EviT_T9_T10_S5_lS7_S5_lS6_T11_S5_li
                                        ; -- End function
	.set _ZL29rocblas_internal_gemmt_kernelIlLi16ELi32ELi8ELc67ELc84ELc85ELb1ELb0E19rocblas_complex_numIdES1_PKS1_PS1_EviT_T9_T10_S5_lS7_S5_lS6_T11_S5_li.num_vgpr, 130
	.set _ZL29rocblas_internal_gemmt_kernelIlLi16ELi32ELi8ELc67ELc84ELc85ELb1ELb0E19rocblas_complex_numIdES1_PKS1_PS1_EviT_T9_T10_S5_lS7_S5_lS6_T11_S5_li.num_agpr, 0
	.set _ZL29rocblas_internal_gemmt_kernelIlLi16ELi32ELi8ELc67ELc84ELc85ELb1ELb0E19rocblas_complex_numIdES1_PKS1_PS1_EviT_T9_T10_S5_lS7_S5_lS6_T11_S5_li.numbered_sgpr, 41
	.set _ZL29rocblas_internal_gemmt_kernelIlLi16ELi32ELi8ELc67ELc84ELc85ELb1ELb0E19rocblas_complex_numIdES1_PKS1_PS1_EviT_T9_T10_S5_lS7_S5_lS6_T11_S5_li.num_named_barrier, 0
	.set _ZL29rocblas_internal_gemmt_kernelIlLi16ELi32ELi8ELc67ELc84ELc85ELb1ELb0E19rocblas_complex_numIdES1_PKS1_PS1_EviT_T9_T10_S5_lS7_S5_lS6_T11_S5_li.private_seg_size, 0
	.set _ZL29rocblas_internal_gemmt_kernelIlLi16ELi32ELi8ELc67ELc84ELc85ELb1ELb0E19rocblas_complex_numIdES1_PKS1_PS1_EviT_T9_T10_S5_lS7_S5_lS6_T11_S5_li.uses_vcc, 1
	.set _ZL29rocblas_internal_gemmt_kernelIlLi16ELi32ELi8ELc67ELc84ELc85ELb1ELb0E19rocblas_complex_numIdES1_PKS1_PS1_EviT_T9_T10_S5_lS7_S5_lS6_T11_S5_li.uses_flat_scratch, 0
	.set _ZL29rocblas_internal_gemmt_kernelIlLi16ELi32ELi8ELc67ELc84ELc85ELb1ELb0E19rocblas_complex_numIdES1_PKS1_PS1_EviT_T9_T10_S5_lS7_S5_lS6_T11_S5_li.has_dyn_sized_stack, 0
	.set _ZL29rocblas_internal_gemmt_kernelIlLi16ELi32ELi8ELc67ELc84ELc85ELb1ELb0E19rocblas_complex_numIdES1_PKS1_PS1_EviT_T9_T10_S5_lS7_S5_lS6_T11_S5_li.has_recursion, 0
	.set _ZL29rocblas_internal_gemmt_kernelIlLi16ELi32ELi8ELc67ELc84ELc85ELb1ELb0E19rocblas_complex_numIdES1_PKS1_PS1_EviT_T9_T10_S5_lS7_S5_lS6_T11_S5_li.has_indirect_call, 0
	.section	.AMDGPU.csdata,"",@progbits
; Kernel info:
; codeLenInByte = 2840
; TotalNumSgprs: 43
; NumVgprs: 130
; ScratchSize: 0
; MemoryBound: 1
; FloatMode: 240
; IeeeMode: 1
; LDSByteSize: 8192 bytes/workgroup (compile time only)
; SGPRBlocks: 0
; VGPRBlocks: 8
; NumSGPRsForWavesPerEU: 43
; NumVGPRsForWavesPerEU: 130
; NamedBarCnt: 0
; Occupancy: 7
; WaveLimiterHint : 0
; COMPUTE_PGM_RSRC2:SCRATCH_EN: 0
; COMPUTE_PGM_RSRC2:USER_SGPR: 2
; COMPUTE_PGM_RSRC2:TRAP_HANDLER: 0
; COMPUTE_PGM_RSRC2:TGID_X_EN: 1
; COMPUTE_PGM_RSRC2:TGID_Y_EN: 1
; COMPUTE_PGM_RSRC2:TGID_Z_EN: 1
; COMPUTE_PGM_RSRC2:TIDIG_COMP_CNT: 1
	.section	.text._ZL29rocblas_internal_gemmt_kernelIlLi16ELi32ELi8ELc67ELc67ELc85ELb1ELb1E19rocblas_complex_numIdES1_PKS1_PS1_EviT_T9_T10_S5_lS7_S5_lS6_T11_S5_li,"axG",@progbits,_ZL29rocblas_internal_gemmt_kernelIlLi16ELi32ELi8ELc67ELc67ELc85ELb1ELb1E19rocblas_complex_numIdES1_PKS1_PS1_EviT_T9_T10_S5_lS7_S5_lS6_T11_S5_li,comdat
	.globl	_ZL29rocblas_internal_gemmt_kernelIlLi16ELi32ELi8ELc67ELc67ELc85ELb1ELb1E19rocblas_complex_numIdES1_PKS1_PS1_EviT_T9_T10_S5_lS7_S5_lS6_T11_S5_li ; -- Begin function _ZL29rocblas_internal_gemmt_kernelIlLi16ELi32ELi8ELc67ELc67ELc85ELb1ELb1E19rocblas_complex_numIdES1_PKS1_PS1_EviT_T9_T10_S5_lS7_S5_lS6_T11_S5_li
	.p2align	8
	.type	_ZL29rocblas_internal_gemmt_kernelIlLi16ELi32ELi8ELc67ELc67ELc85ELb1ELb1E19rocblas_complex_numIdES1_PKS1_PS1_EviT_T9_T10_S5_lS7_S5_lS6_T11_S5_li,@function
_ZL29rocblas_internal_gemmt_kernelIlLi16ELi32ELi8ELc67ELc67ELc85ELb1ELb1E19rocblas_complex_numIdES1_PKS1_PS1_EviT_T9_T10_S5_lS7_S5_lS6_T11_S5_li: ; @_ZL29rocblas_internal_gemmt_kernelIlLi16ELi32ELi8ELc67ELc67ELc85ELb1ELb1E19rocblas_complex_numIdES1_PKS1_PS1_EviT_T9_T10_S5_lS7_S5_lS6_T11_S5_li
; %bb.0:
	s_clause 0x1
	s_load_b256 s[24:31], s[0:1], 0x48
	s_load_b512 s[8:23], s[0:1], 0x8
	s_wait_kmcnt 0x0
	v_cmp_eq_f64_e64 s3, s[26:27], 1.0
	v_cmp_eq_f64_e64 s2, s[28:29], 0
	s_and_b32 s3, s3, s2
	s_delay_alu instid0(SALU_CYCLE_1)
	s_and_not1_b32 vcc_lo, exec_lo, s3
	s_mov_b32 s3, -1
	s_cbranch_vccnz .LBB278_3
; %bb.1:
	s_cmp_lg_u64 s[8:9], 0
	s_cbranch_scc0 .LBB278_36
; %bb.2:
	v_cmp_neq_f64_e64 s3, s[10:11], 0
	v_cmp_neq_f64_e64 s4, s[12:13], 0
	s_or_b32 s3, s3, s4
.LBB278_3:
	s_delay_alu instid0(SALU_CYCLE_1)
	s_and_b32 vcc_lo, exec_lo, s3
	s_cbranch_vccz .LBB278_37
; %bb.4:
	s_load_b32 s33, s[0:1], 0x78
	s_bfe_u32 s3, ttmp6, 0x40014
	s_lshr_b32 s4, ttmp7, 16
	s_add_co_i32 s3, s3, 1
	s_bfe_u32 s6, ttmp6, 0x40008
	s_mul_i32 s5, s4, s3
	s_getreg_b32 s3, hwreg(HW_REG_IB_STS2, 6, 4)
	s_add_co_i32 s6, s6, s5
	s_cmp_eq_u32 s3, 0
	s_mov_b32 s35, 0
	s_cselect_b32 s34, s4, s6
	s_wait_kmcnt 0x0
	s_cmp_ge_u32 s34, s33
	s_cbranch_scc1 .LBB278_37
; %bb.5:
	v_and_b32_e32 v14, 0x3ff, v0
	v_bfe_u32 v10, v0, 10, 10
	s_bfe_u32 s4, ttmp6, 0x4000c
	s_bfe_u32 s6, ttmp6, 0x40010
	s_add_co_i32 s4, s4, 1
	s_and_b32 s7, ttmp7, 0xffff
	s_add_co_i32 s6, s6, 1
	v_lshl_add_u32 v15, v10, 4, v14
	s_and_b32 s5, ttmp6, 15
	s_mul_i32 s4, ttmp9, s4
	s_mul_i32 s6, s7, s6
	s_bfe_u32 s36, ttmp6, 0x40004
	s_add_co_i32 s5, s5, s4
	s_add_co_i32 s36, s36, s6
	s_cmp_eq_u32 s3, 0
	v_and_b32_e32 v18, 31, v15
	s_cselect_b32 s3, ttmp9, s5
	s_cselect_b32 s36, s7, s36
	s_load_b128 s[4:7], s[0:1], 0x68
	s_lshl_b32 s3, s3, 5
	s_lshl_b32 s36, s36, 5
	s_delay_alu instid0(SALU_CYCLE_1)
	v_dual_add_nc_u32 v6, s36, v10 :: v_dual_bitop2_b32 v8, 7, v0 bitop3:0x40
	v_or_b32_e32 v2, s3, v18
	v_cmp_neq_f64_e64 s37, s[10:11], 0
	v_cmp_neq_f64_e64 s38, s[12:13], 0
	v_lshl_add_u32 v17, v10, 7, 0x1000
	v_dual_add_nc_u32 v0, 16, v6 :: v_dual_ashrrev_i32 v7, 31, v6
	v_ashrrev_i32_e32 v3, 31, v2
	v_dual_lshlrev_b32 v9, 4, v14 :: v_dual_lshrrev_b32 v19, 3, v15
	s_delay_alu instid0(VALU_DEP_3) | instskip(NEXT) | instid1(VALU_DEP_3)
	v_dual_add_nc_u32 v14, s3, v14 :: v_dual_ashrrev_i32 v1, 31, v0
	v_mul_u64_e32 v[4:5], s[16:17], v[2:3]
	v_cmp_neq_f64_e64 s16, s[26:27], 0
	s_load_b32 s17, s[0:1], 0x0
	v_lshlrev_b32_e32 v3, 4, v8
	s_wait_kmcnt 0x0
	v_mul_u64_e32 v[10:11], s[4:5], v[6:7]
	v_mul_u64_e32 v[12:13], s[4:5], v[0:1]
	v_add_nc_u32_e32 v20, s36, v19
	s_xor_b32 s40, s2, -1
	v_dual_lshrrev_b32 v16, 5, v15 :: v_dual_lshlrev_b32 v1, 4, v18
	v_cmp_le_i32_e32 vcc_lo, v14, v6
	v_add_nc_u32_e32 v18, 16, v14
	v_lshl_or_b32 v3, v19, 7, v3
	v_dual_ashrrev_i32 v21, 31, v20 :: v_dual_ashrrev_i32 v15, 31, v14
	v_cmp_gt_i64_e64 s39, s[8:9], 0
	v_cmp_le_i32_e64 s4, v14, v0
	v_cmp_le_i32_e64 s5, v18, v0
	v_lshl_or_b32 v46, v16, 9, v1
	v_add_nc_u32_e32 v47, 0x1000, v3
	v_dual_ashrrev_i32 v19, 31, v18 :: v_dual_mov_b32 v25, 0
	v_cmp_gt_i32_e64 s2, s17, v6
	v_cmp_gt_i32_e64 s3, s17, v0
	;; [unrolled: 1-line block ×4, first 2 shown]
	v_lshl_add_u64 v[20:21], v[20:21], 4, s[20:21]
	s_or_b32 s20, s37, s38
	s_and_b32 s4, s3, s4
	s_and_b32 s5, s3, s5
	v_lshl_add_u64 v[22:23], v[4:5], 4, s[14:15]
	s_and_b32 s14, s2, vcc_lo
	v_cmp_le_i32_e32 vcc_lo, v18, v6
	s_or_b32 s16, s16, s40
	s_and_b32 s15, s20, s39
	s_and_b32 s17, s2, vcc_lo
	s_branch .LBB278_7
.LBB278_6:                              ;   in Loop: Header=BB278_7 Depth=1
	s_wait_xcnt 0x0
	s_or_b32 exec_lo, exec_lo, s2
	s_add_co_i32 s34, s34, 0x10000
	s_delay_alu instid0(SALU_CYCLE_1)
	s_cmp_lt_u32 s34, s33
	s_cbranch_scc0 .LBB278_37
.LBB278_7:                              ; =>This Loop Header: Depth=1
                                        ;     Child Loop BB278_10 Depth 2
	v_mov_b64_e32 v[42:43], 0
	v_mov_b64_e32 v[44:45], 0
	;; [unrolled: 1-line block ×8, first 2 shown]
	s_and_not1_b32 vcc_lo, exec_lo, s15
	s_cbranch_vccnz .LBB278_16
; %bb.8:                                ;   in Loop: Header=BB278_7 Depth=1
	s_mul_u64 s[2:3], s[24:25], s[34:35]
	s_mul_u64 s[20:21], s[18:19], s[34:35]
	v_mov_b64_e32 v[28:29], 0
	v_mov_b64_e32 v[26:27], 0
	;; [unrolled: 1-line block ×8, first 2 shown]
	v_lshl_add_u64 v[30:31], s[20:21], 4, v[22:23]
	v_lshl_add_u64 v[32:33], s[2:3], 4, v[20:21]
	s_mov_b64 s[2:3], 0
	s_branch .LBB278_10
.LBB278_9:                              ;   in Loop: Header=BB278_10 Depth=2
	s_wait_xcnt 0x0
	s_or_b32 exec_lo, exec_lo, s20
	ds_store_b128 v47, v[4:7]
	s_wait_dscnt 0x0
	s_barrier_signal -1
	s_barrier_wait -1
	ds_load_b128 v[0:3], v17
	ds_load_b128 v[4:7], v9
	ds_load_b128 v[48:51], v9 offset:256
	ds_load_b128 v[52:55], v17 offset:2048
	;; [unrolled: 1-line block ×10, first 2 shown]
	s_add_nc_u64 s[2:3], s[2:3], 8
	s_delay_alu instid0(SALU_CYCLE_1)
	v_cmp_gt_i64_e64 s20, s[8:9], s[2:3]
	s_and_b32 vcc_lo, exec_lo, s20
	s_wait_dscnt 0xa
	v_mul_f64_e32 v[88:89], v[2:3], v[6:7]
	v_mul_f64_e32 v[90:91], v[0:1], v[6:7]
	s_wait_dscnt 0x9
	v_mul_f64_e32 v[92:93], v[2:3], v[50:51]
	v_mul_f64_e32 v[94:95], v[0:1], v[50:51]
	s_wait_dscnt 0x8
	v_mul_f64_e32 v[96:97], v[54:55], v[6:7]
	v_mul_f64_e32 v[98:99], v[52:53], v[6:7]
	v_mul_f64_e32 v[6:7], v[54:55], v[50:51]
	v_mul_f64_e32 v[100:101], v[52:53], v[50:51]
	s_wait_dscnt 0x6
	v_mul_f64_e32 v[102:103], v[58:59], v[62:63]
	v_mul_f64_e32 v[104:105], v[56:57], v[62:63]
	s_wait_dscnt 0x5
	v_mul_f64_e32 v[106:107], v[58:59], v[66:67]
	v_mul_f64_e32 v[108:109], v[56:57], v[66:67]
	s_wait_dscnt 0x4
	v_mul_f64_e32 v[110:111], v[70:71], v[62:63]
	v_mul_f64_e32 v[62:63], v[68:69], v[62:63]
	v_mul_f64_e32 v[112:113], v[70:71], v[66:67]
	v_mul_f64_e32 v[66:67], v[68:69], v[66:67]
	;; [unrolled: 11-line block ×3, first 2 shown]
	v_fma_f64 v[88:89], v[0:1], v[4:5], -v[88:89]
	v_fmac_f64_e32 v[90:91], v[2:3], v[4:5]
	v_fma_f64 v[92:93], v[0:1], v[48:49], -v[92:93]
	v_fmac_f64_e32 v[94:95], v[2:3], v[48:49]
	;; [unrolled: 2-line block ×8, first 2 shown]
	ds_load_b128 v[0:3], v17 offset:48
	ds_load_b128 v[4:7], v17 offset:2096
	;; [unrolled: 1-line block ×4, first 2 shown]
	v_fma_f64 v[116:117], v[72:73], v[76:77], -v[116:117]
	v_fmac_f64_e32 v[118:119], v[74:75], v[76:77]
	v_fma_f64 v[72:73], v[72:73], v[80:81], -v[120:121]
	v_fmac_f64_e32 v[122:123], v[74:75], v[80:81]
	;; [unrolled: 2-line block ×4, first 2 shown]
	v_add_f64_e32 v[64:65], v[42:43], v[88:89]
	v_add_f64_e32 v[68:69], v[90:91], v[44:45]
	;; [unrolled: 1-line block ×8, first 2 shown]
	s_wait_dscnt 0x1
	v_mul_f64_e32 v[98:99], v[2:3], v[50:51]
	v_mul_f64_e32 v[100:101], v[0:1], v[50:51]
	s_wait_dscnt 0x0
	v_mul_f64_e32 v[106:107], v[2:3], v[54:55]
	v_mul_f64_e32 v[110:111], v[0:1], v[54:55]
	;; [unrolled: 1-line block ×6, first 2 shown]
	ds_load_b128 v[26:29], v17 offset:64
	ds_load_b128 v[34:37], v9 offset:2048
	;; [unrolled: 1-line block ×4, first 2 shown]
	v_add_f64_e32 v[80:81], v[64:65], v[102:103]
	v_add_f64_e32 v[84:85], v[104:105], v[68:69]
	;; [unrolled: 1-line block ×8, first 2 shown]
	s_wait_dscnt 0x2
	v_mul_f64_e32 v[96:97], v[28:29], v[36:37]
	v_mul_f64_e32 v[102:103], v[26:27], v[36:37]
	s_wait_dscnt 0x1
	v_mul_f64_e32 v[104:105], v[28:29], v[40:41]
	v_mul_f64_e32 v[108:109], v[26:27], v[40:41]
	;; [unrolled: 3-line block ×3, first 2 shown]
	v_mul_f64_e32 v[36:37], v[44:45], v[40:41]
	v_mul_f64_e32 v[126:127], v[42:43], v[40:41]
	v_fma_f64 v[40:41], v[0:1], v[48:49], -v[98:99]
	v_fmac_f64_e32 v[100:101], v[2:3], v[48:49]
	v_fma_f64 v[98:99], v[0:1], v[52:53], -v[106:107]
	v_fmac_f64_e32 v[110:111], v[2:3], v[52:53]
	;; [unrolled: 2-line block ×4, first 2 shown]
	ds_load_b128 v[54:57], v17 offset:80
	ds_load_b128 v[58:61], v17 offset:2128
	;; [unrolled: 1-line block ×4, first 2 shown]
	v_add_f64_e32 v[52:53], v[80:81], v[116:117]
	v_add_f64_e32 v[80:81], v[118:119], v[84:85]
	;; [unrolled: 1-line block ×8, first 2 shown]
	v_fma_f64 v[96:97], v[26:27], v[34:35], -v[96:97]
	v_fmac_f64_e32 v[102:103], v[28:29], v[34:35]
	v_fma_f64 v[104:105], v[26:27], v[38:39], -v[104:105]
	s_wait_dscnt 0x1
	v_mul_f64_e32 v[88:89], v[56:57], v[64:65]
	v_mul_f64_e32 v[90:91], v[54:55], v[64:65]
	s_wait_dscnt 0x0
	v_mul_f64_e32 v[92:93], v[56:57], v[68:69]
	v_mul_f64_e32 v[94:95], v[54:55], v[68:69]
	;; [unrolled: 1-line block ×6, first 2 shown]
	v_fmac_f64_e32 v[108:109], v[28:29], v[38:39]
	v_fma_f64 v[120:121], v[42:43], v[34:35], -v[120:121]
	v_fmac_f64_e32 v[124:125], v[44:45], v[34:35]
	v_fma_f64 v[122:123], v[42:43], v[38:39], -v[36:37]
	v_fmac_f64_e32 v[126:127], v[44:45], v[38:39]
	ds_load_b128 v[0:3], v17 offset:96
	ds_load_b128 v[4:7], v9 offset:3072
	;; [unrolled: 1-line block ×4, first 2 shown]
	v_add_f64_e32 v[52:53], v[52:53], v[40:41]
	v_add_f64_e32 v[80:81], v[100:101], v[80:81]
	v_add_f64_e32 v[84:85], v[84:85], v[98:99]
	v_add_f64_e32 v[86:87], v[110:111], v[86:87]
	v_add_f64_e32 v[74:75], v[74:75], v[106:107]
	v_add_f64_e32 v[78:79], v[114:115], v[78:79]
	v_add_f64_e32 v[76:77], v[76:77], v[112:113]
	v_add_f64_e32 v[82:83], v[128:129], v[82:83]
	ds_load_b128 v[26:29], v17 offset:112
	ds_load_b128 v[34:37], v17 offset:2160
	;; [unrolled: 1-line block ×4, first 2 shown]
	s_wait_dscnt 0x0
	v_mul_f64_e32 v[98:99], v[2:3], v[6:7]
	v_mul_f64_e32 v[100:101], v[0:1], v[6:7]
	;; [unrolled: 1-line block ×8, first 2 shown]
	v_fma_f64 v[88:89], v[54:55], v[62:63], -v[88:89]
	v_fmac_f64_e32 v[90:91], v[56:57], v[62:63]
	v_fma_f64 v[54:55], v[54:55], v[66:67], -v[92:93]
	v_fmac_f64_e32 v[94:95], v[56:57], v[66:67]
	;; [unrolled: 2-line block ×4, first 2 shown]
	s_barrier_signal -1
	s_barrier_wait -1
	v_mul_f64_e32 v[92:93], v[26:27], v[44:45]
	v_add_f64_e32 v[52:53], v[52:53], v[96:97]
	v_add_f64_e32 v[60:61], v[102:103], v[80:81]
	;; [unrolled: 1-line block ×8, first 2 shown]
	v_mul_f64_e32 v[82:83], v[28:29], v[40:41]
	v_mul_f64_e32 v[84:85], v[26:27], v[40:41]
	;; [unrolled: 1-line block ×7, first 2 shown]
	v_fma_f64 v[44:45], v[0:1], v[4:5], -v[98:99]
	v_fmac_f64_e32 v[100:101], v[2:3], v[4:5]
	v_fma_f64 v[0:1], v[0:1], v[48:49], -v[106:107]
	v_fmac_f64_e32 v[110:111], v[2:3], v[48:49]
	;; [unrolled: 2-line block ×4, first 2 shown]
	v_fmac_f64_e32 v[92:93], v[28:29], v[42:43]
	v_add_f64_e32 v[48:49], v[52:53], v[88:89]
	v_add_f64_e32 v[52:53], v[90:91], v[60:61]
	;; [unrolled: 1-line block ×8, first 2 shown]
	v_fma_f64 v[66:67], v[26:27], v[38:39], -v[82:83]
	v_fmac_f64_e32 v[84:85], v[28:29], v[38:39]
	v_fma_f64 v[26:27], v[26:27], v[42:43], -v[86:87]
	v_fma_f64 v[28:29], v[34:35], v[38:39], -v[96:97]
	v_fmac_f64_e32 v[102:103], v[36:37], v[38:39]
	v_fma_f64 v[68:69], v[34:35], v[42:43], -v[40:41]
	v_fmac_f64_e32 v[104:105], v[36:37], v[42:43]
	v_add_f64_e32 v[34:35], v[48:49], v[44:45]
	v_add_f64_e32 v[36:37], v[100:101], v[52:53]
	;; [unrolled: 1-line block ×16, first 2 shown]
	s_cbranch_vccz .LBB278_16
.LBB278_10:                             ;   Parent Loop BB278_7 Depth=1
                                        ; =>  This Inner Loop Header: Depth=2
	v_mov_b64_e32 v[0:1], 0
	v_mov_b64_e32 v[2:3], 0
	s_and_saveexec_b32 s20, s0
	s_cbranch_execz .LBB278_14
; %bb.11:                               ;   in Loop: Header=BB278_10 Depth=2
	v_mov_b64_e32 v[2:3], 0
	v_mov_b64_e32 v[0:1], 0
	v_add_nc_u32_e32 v24, s2, v16
	s_mov_b32 s21, exec_lo
	s_delay_alu instid0(VALU_DEP_1)
	v_cmpx_gt_u64_e64 s[8:9], v[24:25]
	s_cbranch_execz .LBB278_13
; %bb.12:                               ;   in Loop: Header=BB278_10 Depth=2
	v_lshl_add_u64 v[0:1], v[24:25], 4, v[30:31]
	global_load_b128 v[0:3], v[0:1], off
	s_wait_loadcnt 0x0
	v_xor_b32_e32 v3, 0x80000000, v3
.LBB278_13:                             ;   in Loop: Header=BB278_10 Depth=2
	s_wait_xcnt 0x0
	s_or_b32 exec_lo, exec_lo, s21
.LBB278_14:                             ;   in Loop: Header=BB278_10 Depth=2
	s_delay_alu instid0(SALU_CYCLE_1)
	s_or_b32 exec_lo, exec_lo, s20
	v_add_nc_u32_e32 v24, s2, v8
	v_mov_b64_e32 v[4:5], 0
	v_mov_b64_e32 v[6:7], 0
	ds_store_b128 v46, v[0:3]
	v_cmp_gt_u64_e32 vcc_lo, s[8:9], v[24:25]
	s_and_b32 s21, vcc_lo, s1
	s_delay_alu instid0(SALU_CYCLE_1)
	s_and_saveexec_b32 s20, s21
	s_cbranch_execz .LBB278_9
; %bb.15:                               ;   in Loop: Header=BB278_10 Depth=2
	v_mul_u64_e32 v[0:1], s[22:23], v[24:25]
	s_delay_alu instid0(VALU_DEP_1)
	v_lshl_add_u64 v[0:1], v[0:1], 4, v[32:33]
	global_load_b128 v[4:7], v[0:1], off
	s_wait_loadcnt 0x0
	v_xor_b32_e32 v7, 0x80000000, v7
	s_branch .LBB278_9
.LBB278_16:                             ;   in Loop: Header=BB278_7 Depth=1
	s_mul_u64 s[2:3], s[6:7], s[34:35]
	s_delay_alu instid0(SALU_CYCLE_1) | instskip(NEXT) | instid1(SALU_CYCLE_1)
	s_lshl_b64 s[2:3], s[2:3], 4
	s_add_nc_u64 s[2:3], s[30:31], s[2:3]
	s_delay_alu instid0(SALU_CYCLE_1)
	v_lshl_add_u64 v[4:5], v[10:11], 4, s[2:3]
	s_and_saveexec_b32 s20, s14
	s_cbranch_execz .LBB278_21
; %bb.17:                               ;   in Loop: Header=BB278_7 Depth=1
	v_mul_f64_e32 v[0:1], s[12:13], v[44:45]
	v_mul_f64_e32 v[2:3], s[10:11], v[44:45]
	v_lshl_add_u64 v[6:7], v[14:15], 4, v[4:5]
	s_and_b32 vcc_lo, exec_lo, s16
	s_mov_b32 s21, -1
	s_delay_alu instid0(VALU_DEP_3) | instskip(NEXT) | instid1(VALU_DEP_3)
	v_fma_f64 v[0:1], s[10:11], v[42:43], -v[0:1]
	v_fmac_f64_e32 v[2:3], s[12:13], v[42:43]
	s_cbranch_vccz .LBB278_19
; %bb.18:                               ;   in Loop: Header=BB278_7 Depth=1
	global_load_b128 v[30:33], v[6:7], off
	s_mov_b32 s21, 0
	s_wait_loadcnt 0x0
	v_mul_f64_e32 v[42:43], s[28:29], v[32:33]
	v_mul_f64_e32 v[32:33], s[26:27], v[32:33]
	s_delay_alu instid0(VALU_DEP_2) | instskip(NEXT) | instid1(VALU_DEP_2)
	v_fma_f64 v[42:43], s[26:27], v[30:31], -v[42:43]
	v_fmac_f64_e32 v[32:33], s[28:29], v[30:31]
	s_delay_alu instid0(VALU_DEP_2) | instskip(NEXT) | instid1(VALU_DEP_2)
	v_add_f64_e32 v[30:31], v[0:1], v[42:43]
	v_add_f64_e32 v[32:33], v[2:3], v[32:33]
	global_store_b128 v[6:7], v[30:33], off
.LBB278_19:                             ;   in Loop: Header=BB278_7 Depth=1
	s_and_not1_b32 vcc_lo, exec_lo, s21
	s_cbranch_vccnz .LBB278_21
; %bb.20:                               ;   in Loop: Header=BB278_7 Depth=1
	global_store_b128 v[6:7], v[0:3], off
.LBB278_21:                             ;   in Loop: Header=BB278_7 Depth=1
	s_wait_xcnt 0x0
	s_or_b32 exec_lo, exec_lo, s20
	s_and_saveexec_b32 s20, s17
	s_cbranch_execz .LBB278_26
; %bb.22:                               ;   in Loop: Header=BB278_7 Depth=1
	v_mul_f64_e32 v[0:1], s[12:13], v[40:41]
	v_mul_f64_e32 v[2:3], s[10:11], v[40:41]
	v_lshl_add_u64 v[4:5], v[18:19], 4, v[4:5]
	s_and_not1_b32 vcc_lo, exec_lo, s16
	s_mov_b32 s21, -1
	s_delay_alu instid0(VALU_DEP_3) | instskip(NEXT) | instid1(VALU_DEP_3)
	v_fma_f64 v[0:1], s[10:11], v[38:39], -v[0:1]
	v_fmac_f64_e32 v[2:3], s[12:13], v[38:39]
	s_cbranch_vccnz .LBB278_24
; %bb.23:                               ;   in Loop: Header=BB278_7 Depth=1
	global_load_b128 v[30:33], v[4:5], off
	s_mov_b32 s21, 0
	s_wait_loadcnt 0x0
	v_mul_f64_e32 v[6:7], s[28:29], v[32:33]
	v_mul_f64_e32 v[32:33], s[26:27], v[32:33]
	s_delay_alu instid0(VALU_DEP_2) | instskip(NEXT) | instid1(VALU_DEP_2)
	v_fma_f64 v[6:7], s[26:27], v[30:31], -v[6:7]
	v_fmac_f64_e32 v[32:33], s[28:29], v[30:31]
	s_delay_alu instid0(VALU_DEP_2) | instskip(NEXT) | instid1(VALU_DEP_2)
	v_add_f64_e32 v[30:31], v[0:1], v[6:7]
	v_add_f64_e32 v[32:33], v[2:3], v[32:33]
	global_store_b128 v[4:5], v[30:33], off
.LBB278_24:                             ;   in Loop: Header=BB278_7 Depth=1
	s_and_not1_b32 vcc_lo, exec_lo, s21
	s_cbranch_vccnz .LBB278_26
; %bb.25:                               ;   in Loop: Header=BB278_7 Depth=1
	global_store_b128 v[4:5], v[0:3], off
.LBB278_26:                             ;   in Loop: Header=BB278_7 Depth=1
	s_wait_xcnt 0x0
	s_or_b32 exec_lo, exec_lo, s20
	v_lshl_add_u64 v[4:5], v[12:13], 4, s[2:3]
	s_and_saveexec_b32 s2, s4
	s_cbranch_execz .LBB278_31
; %bb.27:                               ;   in Loop: Header=BB278_7 Depth=1
	v_mul_f64_e32 v[0:1], s[12:13], v[36:37]
	v_mul_f64_e32 v[2:3], s[10:11], v[36:37]
	v_lshl_add_u64 v[6:7], v[14:15], 4, v[4:5]
	s_and_not1_b32 vcc_lo, exec_lo, s16
	s_mov_b32 s3, -1
	s_delay_alu instid0(VALU_DEP_3) | instskip(NEXT) | instid1(VALU_DEP_3)
	v_fma_f64 v[0:1], s[10:11], v[34:35], -v[0:1]
	v_fmac_f64_e32 v[2:3], s[12:13], v[34:35]
	s_cbranch_vccnz .LBB278_29
; %bb.28:                               ;   in Loop: Header=BB278_7 Depth=1
	global_load_b128 v[30:33], v[6:7], off
	s_mov_b32 s3, 0
	s_wait_loadcnt 0x0
	v_mul_f64_e32 v[34:35], s[28:29], v[32:33]
	v_mul_f64_e32 v[32:33], s[26:27], v[32:33]
	s_delay_alu instid0(VALU_DEP_2) | instskip(NEXT) | instid1(VALU_DEP_2)
	v_fma_f64 v[34:35], s[26:27], v[30:31], -v[34:35]
	v_fmac_f64_e32 v[32:33], s[28:29], v[30:31]
	s_delay_alu instid0(VALU_DEP_2) | instskip(NEXT) | instid1(VALU_DEP_2)
	v_add_f64_e32 v[30:31], v[0:1], v[34:35]
	v_add_f64_e32 v[32:33], v[2:3], v[32:33]
	global_store_b128 v[6:7], v[30:33], off
.LBB278_29:                             ;   in Loop: Header=BB278_7 Depth=1
	s_and_not1_b32 vcc_lo, exec_lo, s3
	s_cbranch_vccnz .LBB278_31
; %bb.30:                               ;   in Loop: Header=BB278_7 Depth=1
	global_store_b128 v[6:7], v[0:3], off
.LBB278_31:                             ;   in Loop: Header=BB278_7 Depth=1
	s_wait_xcnt 0x0
	s_or_b32 exec_lo, exec_lo, s2
	s_and_saveexec_b32 s2, s5
	s_cbranch_execz .LBB278_6
; %bb.32:                               ;   in Loop: Header=BB278_7 Depth=1
	s_delay_alu instid0(VALU_DEP_3) | instskip(SKIP_4) | instid1(VALU_DEP_3)
	v_mul_f64_e32 v[0:1], s[12:13], v[28:29]
	v_mul_f64_e32 v[2:3], s[10:11], v[28:29]
	v_lshl_add_u64 v[4:5], v[18:19], 4, v[4:5]
	s_and_not1_b32 vcc_lo, exec_lo, s16
	s_mov_b32 s3, -1
	v_fma_f64 v[0:1], s[10:11], v[26:27], -v[0:1]
	s_delay_alu instid0(VALU_DEP_3)
	v_fmac_f64_e32 v[2:3], s[12:13], v[26:27]
	s_cbranch_vccnz .LBB278_34
; %bb.33:                               ;   in Loop: Header=BB278_7 Depth=1
	global_load_b128 v[26:29], v[4:5], off
	s_mov_b32 s3, 0
	s_wait_loadcnt 0x0
	v_mul_f64_e32 v[6:7], s[28:29], v[28:29]
	v_mul_f64_e32 v[28:29], s[26:27], v[28:29]
	s_delay_alu instid0(VALU_DEP_2) | instskip(NEXT) | instid1(VALU_DEP_2)
	v_fma_f64 v[6:7], s[26:27], v[26:27], -v[6:7]
	v_fmac_f64_e32 v[28:29], s[28:29], v[26:27]
	s_delay_alu instid0(VALU_DEP_2) | instskip(NEXT) | instid1(VALU_DEP_2)
	v_add_f64_e32 v[26:27], v[0:1], v[6:7]
	v_add_f64_e32 v[28:29], v[2:3], v[28:29]
	global_store_b128 v[4:5], v[26:29], off
.LBB278_34:                             ;   in Loop: Header=BB278_7 Depth=1
	s_and_not1_b32 vcc_lo, exec_lo, s3
	s_cbranch_vccnz .LBB278_6
; %bb.35:                               ;   in Loop: Header=BB278_7 Depth=1
	global_store_b128 v[4:5], v[0:3], off
	s_branch .LBB278_6
.LBB278_36:
.LBB278_37:
	s_sendmsg sendmsg(MSG_DEALLOC_VGPRS)
	s_endpgm
	.section	.rodata,"a",@progbits
	.p2align	6, 0x0
	.amdhsa_kernel _ZL29rocblas_internal_gemmt_kernelIlLi16ELi32ELi8ELc67ELc67ELc85ELb1ELb1E19rocblas_complex_numIdES1_PKS1_PS1_EviT_T9_T10_S5_lS7_S5_lS6_T11_S5_li
		.amdhsa_group_segment_fixed_size 8192
		.amdhsa_private_segment_fixed_size 0
		.amdhsa_kernarg_size 124
		.amdhsa_user_sgpr_count 2
		.amdhsa_user_sgpr_dispatch_ptr 0
		.amdhsa_user_sgpr_queue_ptr 0
		.amdhsa_user_sgpr_kernarg_segment_ptr 1
		.amdhsa_user_sgpr_dispatch_id 0
		.amdhsa_user_sgpr_kernarg_preload_length 0
		.amdhsa_user_sgpr_kernarg_preload_offset 0
		.amdhsa_user_sgpr_private_segment_size 0
		.amdhsa_wavefront_size32 1
		.amdhsa_uses_dynamic_stack 0
		.amdhsa_enable_private_segment 0
		.amdhsa_system_sgpr_workgroup_id_x 1
		.amdhsa_system_sgpr_workgroup_id_y 1
		.amdhsa_system_sgpr_workgroup_id_z 1
		.amdhsa_system_sgpr_workgroup_info 0
		.amdhsa_system_vgpr_workitem_id 1
		.amdhsa_next_free_vgpr 130
		.amdhsa_next_free_sgpr 41
		.amdhsa_named_barrier_count 0
		.amdhsa_reserve_vcc 1
		.amdhsa_float_round_mode_32 0
		.amdhsa_float_round_mode_16_64 0
		.amdhsa_float_denorm_mode_32 3
		.amdhsa_float_denorm_mode_16_64 3
		.amdhsa_fp16_overflow 0
		.amdhsa_memory_ordered 1
		.amdhsa_forward_progress 1
		.amdhsa_inst_pref_size 23
		.amdhsa_round_robin_scheduling 0
		.amdhsa_exception_fp_ieee_invalid_op 0
		.amdhsa_exception_fp_denorm_src 0
		.amdhsa_exception_fp_ieee_div_zero 0
		.amdhsa_exception_fp_ieee_overflow 0
		.amdhsa_exception_fp_ieee_underflow 0
		.amdhsa_exception_fp_ieee_inexact 0
		.amdhsa_exception_int_div_zero 0
	.end_amdhsa_kernel
	.section	.text._ZL29rocblas_internal_gemmt_kernelIlLi16ELi32ELi8ELc67ELc67ELc85ELb1ELb1E19rocblas_complex_numIdES1_PKS1_PS1_EviT_T9_T10_S5_lS7_S5_lS6_T11_S5_li,"axG",@progbits,_ZL29rocblas_internal_gemmt_kernelIlLi16ELi32ELi8ELc67ELc67ELc85ELb1ELb1E19rocblas_complex_numIdES1_PKS1_PS1_EviT_T9_T10_S5_lS7_S5_lS6_T11_S5_li,comdat
.Lfunc_end278:
	.size	_ZL29rocblas_internal_gemmt_kernelIlLi16ELi32ELi8ELc67ELc67ELc85ELb1ELb1E19rocblas_complex_numIdES1_PKS1_PS1_EviT_T9_T10_S5_lS7_S5_lS6_T11_S5_li, .Lfunc_end278-_ZL29rocblas_internal_gemmt_kernelIlLi16ELi32ELi8ELc67ELc67ELc85ELb1ELb1E19rocblas_complex_numIdES1_PKS1_PS1_EviT_T9_T10_S5_lS7_S5_lS6_T11_S5_li
                                        ; -- End function
	.set _ZL29rocblas_internal_gemmt_kernelIlLi16ELi32ELi8ELc67ELc67ELc85ELb1ELb1E19rocblas_complex_numIdES1_PKS1_PS1_EviT_T9_T10_S5_lS7_S5_lS6_T11_S5_li.num_vgpr, 130
	.set _ZL29rocblas_internal_gemmt_kernelIlLi16ELi32ELi8ELc67ELc67ELc85ELb1ELb1E19rocblas_complex_numIdES1_PKS1_PS1_EviT_T9_T10_S5_lS7_S5_lS6_T11_S5_li.num_agpr, 0
	.set _ZL29rocblas_internal_gemmt_kernelIlLi16ELi32ELi8ELc67ELc67ELc85ELb1ELb1E19rocblas_complex_numIdES1_PKS1_PS1_EviT_T9_T10_S5_lS7_S5_lS6_T11_S5_li.numbered_sgpr, 41
	.set _ZL29rocblas_internal_gemmt_kernelIlLi16ELi32ELi8ELc67ELc67ELc85ELb1ELb1E19rocblas_complex_numIdES1_PKS1_PS1_EviT_T9_T10_S5_lS7_S5_lS6_T11_S5_li.num_named_barrier, 0
	.set _ZL29rocblas_internal_gemmt_kernelIlLi16ELi32ELi8ELc67ELc67ELc85ELb1ELb1E19rocblas_complex_numIdES1_PKS1_PS1_EviT_T9_T10_S5_lS7_S5_lS6_T11_S5_li.private_seg_size, 0
	.set _ZL29rocblas_internal_gemmt_kernelIlLi16ELi32ELi8ELc67ELc67ELc85ELb1ELb1E19rocblas_complex_numIdES1_PKS1_PS1_EviT_T9_T10_S5_lS7_S5_lS6_T11_S5_li.uses_vcc, 1
	.set _ZL29rocblas_internal_gemmt_kernelIlLi16ELi32ELi8ELc67ELc67ELc85ELb1ELb1E19rocblas_complex_numIdES1_PKS1_PS1_EviT_T9_T10_S5_lS7_S5_lS6_T11_S5_li.uses_flat_scratch, 0
	.set _ZL29rocblas_internal_gemmt_kernelIlLi16ELi32ELi8ELc67ELc67ELc85ELb1ELb1E19rocblas_complex_numIdES1_PKS1_PS1_EviT_T9_T10_S5_lS7_S5_lS6_T11_S5_li.has_dyn_sized_stack, 0
	.set _ZL29rocblas_internal_gemmt_kernelIlLi16ELi32ELi8ELc67ELc67ELc85ELb1ELb1E19rocblas_complex_numIdES1_PKS1_PS1_EviT_T9_T10_S5_lS7_S5_lS6_T11_S5_li.has_recursion, 0
	.set _ZL29rocblas_internal_gemmt_kernelIlLi16ELi32ELi8ELc67ELc67ELc85ELb1ELb1E19rocblas_complex_numIdES1_PKS1_PS1_EviT_T9_T10_S5_lS7_S5_lS6_T11_S5_li.has_indirect_call, 0
	.section	.AMDGPU.csdata,"",@progbits
; Kernel info:
; codeLenInByte = 2824
; TotalNumSgprs: 43
; NumVgprs: 130
; ScratchSize: 0
; MemoryBound: 1
; FloatMode: 240
; IeeeMode: 1
; LDSByteSize: 8192 bytes/workgroup (compile time only)
; SGPRBlocks: 0
; VGPRBlocks: 8
; NumSGPRsForWavesPerEU: 43
; NumVGPRsForWavesPerEU: 130
; NamedBarCnt: 0
; Occupancy: 7
; WaveLimiterHint : 0
; COMPUTE_PGM_RSRC2:SCRATCH_EN: 0
; COMPUTE_PGM_RSRC2:USER_SGPR: 2
; COMPUTE_PGM_RSRC2:TRAP_HANDLER: 0
; COMPUTE_PGM_RSRC2:TGID_X_EN: 1
; COMPUTE_PGM_RSRC2:TGID_Y_EN: 1
; COMPUTE_PGM_RSRC2:TGID_Z_EN: 1
; COMPUTE_PGM_RSRC2:TIDIG_COMP_CNT: 1
	.section	.text._ZL29rocblas_internal_gemmt_kernelIlLi16ELi32ELi8ELc78ELc78ELc76ELb0ELb0E19rocblas_complex_numIdES1_PKS1_PS1_EviT_T9_T10_S5_lS7_S5_lS6_T11_S5_li,"axG",@progbits,_ZL29rocblas_internal_gemmt_kernelIlLi16ELi32ELi8ELc78ELc78ELc76ELb0ELb0E19rocblas_complex_numIdES1_PKS1_PS1_EviT_T9_T10_S5_lS7_S5_lS6_T11_S5_li,comdat
	.globl	_ZL29rocblas_internal_gemmt_kernelIlLi16ELi32ELi8ELc78ELc78ELc76ELb0ELb0E19rocblas_complex_numIdES1_PKS1_PS1_EviT_T9_T10_S5_lS7_S5_lS6_T11_S5_li ; -- Begin function _ZL29rocblas_internal_gemmt_kernelIlLi16ELi32ELi8ELc78ELc78ELc76ELb0ELb0E19rocblas_complex_numIdES1_PKS1_PS1_EviT_T9_T10_S5_lS7_S5_lS6_T11_S5_li
	.p2align	8
	.type	_ZL29rocblas_internal_gemmt_kernelIlLi16ELi32ELi8ELc78ELc78ELc76ELb0ELb0E19rocblas_complex_numIdES1_PKS1_PS1_EviT_T9_T10_S5_lS7_S5_lS6_T11_S5_li,@function
_ZL29rocblas_internal_gemmt_kernelIlLi16ELi32ELi8ELc78ELc78ELc76ELb0ELb0E19rocblas_complex_numIdES1_PKS1_PS1_EviT_T9_T10_S5_lS7_S5_lS6_T11_S5_li: ; @_ZL29rocblas_internal_gemmt_kernelIlLi16ELi32ELi8ELc78ELc78ELc76ELb0ELb0E19rocblas_complex_numIdES1_PKS1_PS1_EviT_T9_T10_S5_lS7_S5_lS6_T11_S5_li
; %bb.0:
	s_clause 0x1
	s_load_b256 s[24:31], s[0:1], 0x48
	s_load_b512 s[8:23], s[0:1], 0x8
	s_wait_kmcnt 0x0
	v_cmp_eq_f64_e64 s3, s[26:27], 1.0
	v_cmp_eq_f64_e64 s2, s[28:29], 0
	s_and_b32 s3, s3, s2
	s_delay_alu instid0(SALU_CYCLE_1)
	s_and_not1_b32 vcc_lo, exec_lo, s3
	s_mov_b32 s3, -1
	s_cbranch_vccnz .LBB279_3
; %bb.1:
	s_cmp_lg_u64 s[8:9], 0
	s_cbranch_scc0 .LBB279_41
; %bb.2:
	v_cmp_neq_f64_e64 s3, s[10:11], 0
	v_cmp_neq_f64_e64 s4, s[12:13], 0
	s_or_b32 s3, s3, s4
.LBB279_3:
	s_delay_alu instid0(SALU_CYCLE_1)
	s_and_b32 vcc_lo, exec_lo, s3
	s_cbranch_vccz .LBB279_42
; %bb.4:
	s_load_b32 s33, s[0:1], 0x78
	s_bfe_u32 s3, ttmp6, 0x40014
	s_lshr_b32 s4, ttmp7, 16
	s_add_co_i32 s3, s3, 1
	s_bfe_u32 s6, ttmp6, 0x40008
	s_mul_i32 s5, s4, s3
	s_getreg_b32 s3, hwreg(HW_REG_IB_STS2, 6, 4)
	s_add_co_i32 s6, s6, s5
	s_cmp_eq_u32 s3, 0
	s_mov_b32 s35, 0
	s_cselect_b32 s34, s4, s6
	s_wait_kmcnt 0x0
	s_cmp_ge_u32 s34, s33
	s_cbranch_scc1 .LBB279_42
; %bb.5:
	v_and_b32_e32 v9, 0x3ff, v0
	v_bfe_u32 v11, v0, 10, 10
	s_bfe_u32 s4, ttmp6, 0x4000c
	s_bfe_u32 s6, ttmp6, 0x40010
	s_add_co_i32 s4, s4, 1
	s_and_b32 s7, ttmp7, 0xffff
	s_add_co_i32 s6, s6, 1
	v_lshl_add_u32 v8, v11, 4, v9
	s_and_b32 s5, ttmp6, 15
	s_mul_i32 s4, ttmp9, s4
	s_mul_i32 s6, s7, s6
	s_bfe_u32 s36, ttmp6, 0x40004
	s_add_co_i32 s5, s5, s4
	s_add_co_i32 s36, s36, s6
	s_cmp_eq_u32 s3, 0
	v_lshrrev_b32_e32 v16, 3, v8
	s_cselect_b32 s3, s7, s36
	s_cselect_b32 s36, ttmp9, s5
	s_lshl_b32 s3, s3, 5
	s_load_b128 s[4:7], s[0:1], 0x68
	v_dual_add_nc_u32 v2, s3, v16 :: v_dual_add_nc_u32 v4, s3, v11
	v_dual_lshlrev_b32 v7, 4, v9 :: v_dual_bitop2_b32 v6, 7, v0 bitop3:0x40
	v_cmp_neq_f64_e64 s37, s[10:11], 0
	s_delay_alu instid0(VALU_DEP_3)
	v_dual_ashrrev_i32 v3, 31, v2 :: v_dual_add_nc_u32 v22, 16, v4
	v_and_b32_e32 v17, 31, v8
	v_cmp_neq_f64_e64 s38, s[12:13], 0
	s_xor_b32 s40, s2, -1
	v_mul_u64_e32 v[0:1], s[22:23], v[2:3]
	v_lshlrev_b32_e32 v3, 4, v6
	s_load_b32 s22, s[0:1], 0x0
	s_wait_xcnt 0x0
	s_lshl_b32 s0, s36, 5
	s_delay_alu instid0(SALU_CYCLE_1)
	v_dual_ashrrev_i32 v5, 31, v4 :: v_dual_add_nc_u32 v10, s0, v9
	v_ashrrev_i32_e32 v23, 31, v22
	v_cmp_neq_f64_e64 s23, s[26:27], 0
	v_dual_lshrrev_b32 v8, 5, v8 :: v_dual_bitop2_b32 v18, s0, v17 bitop3:0x54
	s_wait_kmcnt 0x0
	v_mul_u64_e32 v[12:13], s[4:5], v[4:5]
	v_mul_u64_e32 v[14:15], s[4:5], v[22:23]
	v_lshlrev_b32_e32 v5, 4, v17
	v_lshl_or_b32 v3, v16, 7, v3
	v_add_nc_u32_e32 v16, 16, v10
	v_cmp_le_i32_e32 vcc_lo, v4, v10
	v_ashrrev_i32_e32 v19, 31, v18
	v_cmp_gt_i64_e64 s39, s[8:9], 0
	v_lshl_or_b32 v9, v8, 9, v5
	v_cmp_le_i32_e64 s3, v4, v16
	v_ashrrev_i32_e32 v17, 31, v16
	v_add_nc_u32_e32 v42, 0x1000, v3
	v_cmp_gt_i32_e64 s2, s22, v10
	v_cmp_gt_i32_e64 s4, s22, v16
	;; [unrolled: 1-line block ×3, first 2 shown]
	v_cmp_le_i32_e64 s5, s22, v18
	v_cmp_gt_i32_e64 s1, s22, v2
	v_lshl_add_u64 v[18:19], v[18:19], 4, s[14:15]
	s_and_b32 s15, vcc_lo, s2
	v_cmp_le_i32_e32 vcc_lo, v22, v10
	v_lshl_add_u32 v43, v11, 7, 0x1000
	v_ashrrev_i32_e32 v11, 31, v10
	v_lshl_add_u64 v[20:21], v[0:1], 4, s[20:21]
	s_and_b32 s20, s3, s4
	v_cmp_le_i32_e64 s3, v22, v16
	v_mov_b32_e32 v1, 0
	s_or_b32 s36, s37, s38
	s_and_b32 s22, vcc_lo, s2
	s_and_b32 s21, s36, s39
	s_or_b32 s14, s23, s40
	s_and_b32 s4, s3, s4
	s_xor_b32 s1, s1, -1
                                        ; implicit-def: $vgpr22_vgpr23
	s_branch .LBB279_7
.LBB279_6:                              ;   in Loop: Header=BB279_7 Depth=1
	s_wait_xcnt 0x0
	s_or_b32 exec_lo, exec_lo, s2
	s_add_co_i32 s34, s34, 0x10000
	s_delay_alu instid0(SALU_CYCLE_1)
	s_cmp_lt_u32 s34, s33
	s_cbranch_scc0 .LBB279_42
.LBB279_7:                              ; =>This Loop Header: Depth=1
                                        ;     Child Loop BB279_10 Depth 2
	v_mov_b64_e32 v[34:35], 0
	s_and_not1_b32 vcc_lo, exec_lo, s21
	s_cbranch_vccnz .LBB279_20
; %bb.8:                                ;   in Loop: Header=BB279_7 Depth=1
	s_mul_u64 s[2:3], s[24:25], s[34:35]
	s_mul_u64 s[36:37], s[18:19], s[34:35]
	v_mov_b64_e32 v[38:39], 0
	v_mov_b64_e32 v[40:41], 0
	;; [unrolled: 1-line block ×8, first 2 shown]
	v_lshl_add_u64 v[4:5], s[36:37], 4, v[18:19]
	v_lshl_add_u64 v[24:25], s[2:3], 4, v[20:21]
	s_mov_b64 s[2:3], 0
	s_branch .LBB279_10
.LBB279_9:                              ;   in Loop: Header=BB279_10 Depth=2
	s_wait_xcnt 0x0
	s_or_b32 exec_lo, exec_lo, s23
	s_wait_dscnt 0x0
	s_barrier_signal -1
	s_barrier_wait -1
	ds_load_b128 v[44:47], v43
	ds_load_b128 v[48:51], v43 offset:16
	ds_load_b128 v[52:55], v43 offset:32
	;; [unrolled: 1-line block ×3, first 2 shown]
	ds_load_b128 v[60:63], v7
	s_add_nc_u64 s[2:3], s[2:3], 8
	s_delay_alu instid0(SALU_CYCLE_1) | instskip(SKIP_4) | instid1(VALU_DEP_2)
	v_cmp_gt_i64_e64 s23, s[8:9], s[2:3]
	s_and_b32 vcc_lo, exec_lo, s23
	s_wait_dscnt 0x0
	v_mul_f64_e32 v[2:3], v[46:47], v[62:63]
	v_mul_f64_e32 v[64:65], v[44:45], v[62:63]
	v_fma_f64 v[2:3], v[44:45], v[60:61], -v[2:3]
	s_delay_alu instid0(VALU_DEP_2) | instskip(NEXT) | instid1(VALU_DEP_2)
	v_fmac_f64_e32 v[64:65], v[46:47], v[60:61]
	v_add_f64_e32 v[2:3], v[34:35], v[2:3]
	s_delay_alu instid0(VALU_DEP_2) | instskip(SKIP_3) | instid1(VALU_DEP_1)
	v_add_f64_e32 v[64:65], v[64:65], v[36:37]
	ds_load_b128 v[34:37], v7 offset:256
	s_wait_dscnt 0x0
	v_mul_f64_e32 v[66:67], v[46:47], v[36:37]
	v_fma_f64 v[66:67], v[44:45], v[34:35], -v[66:67]
	v_mul_f64_e32 v[44:45], v[44:45], v[36:37]
	s_delay_alu instid0(VALU_DEP_1) | instskip(NEXT) | instid1(VALU_DEP_3)
	v_fmac_f64_e32 v[44:45], v[46:47], v[34:35]
	v_add_f64_e32 v[46:47], v[26:27], v[66:67]
	s_delay_alu instid0(VALU_DEP_2) | instskip(SKIP_4) | instid1(VALU_DEP_2)
	v_add_f64_e32 v[44:45], v[44:45], v[28:29]
	ds_load_b128 v[26:29], v43 offset:2048
	s_wait_dscnt 0x0
	v_mul_f64_e32 v[66:67], v[28:29], v[62:63]
	v_mul_f64_e32 v[62:63], v[26:27], v[62:63]
	v_fma_f64 v[66:67], v[26:27], v[60:61], -v[66:67]
	s_delay_alu instid0(VALU_DEP_2) | instskip(NEXT) | instid1(VALU_DEP_2)
	v_fmac_f64_e32 v[62:63], v[28:29], v[60:61]
	v_add_f64_e32 v[60:61], v[30:31], v[66:67]
	v_mul_f64_e32 v[30:31], v[28:29], v[36:37]
	s_delay_alu instid0(VALU_DEP_3) | instskip(NEXT) | instid1(VALU_DEP_2)
	v_add_f64_e32 v[62:63], v[62:63], v[32:33]
	v_fma_f64 v[30:31], v[26:27], v[34:35], -v[30:31]
	v_mul_f64_e32 v[26:27], v[26:27], v[36:37]
	s_delay_alu instid0(VALU_DEP_2) | instskip(NEXT) | instid1(VALU_DEP_2)
	v_add_f64_e32 v[40:41], v[40:41], v[30:31]
	v_fmac_f64_e32 v[26:27], v[28:29], v[34:35]
	s_delay_alu instid0(VALU_DEP_1) | instskip(SKIP_4) | instid1(VALU_DEP_2)
	v_add_f64_e32 v[38:39], v[26:27], v[38:39]
	ds_load_b128 v[26:29], v7 offset:512
	s_wait_dscnt 0x0
	v_mul_f64_e32 v[30:31], v[50:51], v[28:29]
	v_mul_f64_e32 v[32:33], v[48:49], v[28:29]
	v_fma_f64 v[30:31], v[48:49], v[26:27], -v[30:31]
	s_delay_alu instid0(VALU_DEP_2) | instskip(NEXT) | instid1(VALU_DEP_2)
	v_fmac_f64_e32 v[32:33], v[50:51], v[26:27]
	v_add_f64_e32 v[2:3], v[2:3], v[30:31]
	s_delay_alu instid0(VALU_DEP_2) | instskip(SKIP_4) | instid1(VALU_DEP_2)
	v_add_f64_e32 v[64:65], v[32:33], v[64:65]
	ds_load_b128 v[30:33], v7 offset:768
	s_wait_dscnt 0x0
	v_mul_f64_e32 v[34:35], v[50:51], v[32:33]
	v_mul_f64_e32 v[36:37], v[48:49], v[32:33]
	v_fma_f64 v[34:35], v[48:49], v[30:31], -v[34:35]
	s_delay_alu instid0(VALU_DEP_2) | instskip(NEXT) | instid1(VALU_DEP_2)
	v_fmac_f64_e32 v[36:37], v[50:51], v[30:31]
	v_add_f64_e32 v[46:47], v[46:47], v[34:35]
	s_delay_alu instid0(VALU_DEP_2) | instskip(SKIP_4) | instid1(VALU_DEP_2)
	v_add_f64_e32 v[44:45], v[36:37], v[44:45]
	ds_load_b128 v[34:37], v43 offset:2064
	s_wait_dscnt 0x0
	v_mul_f64_e32 v[48:49], v[36:37], v[28:29]
	v_mul_f64_e32 v[28:29], v[34:35], v[28:29]
	v_fma_f64 v[48:49], v[34:35], v[26:27], -v[48:49]
	s_delay_alu instid0(VALU_DEP_2) | instskip(SKIP_1) | instid1(VALU_DEP_3)
	v_fmac_f64_e32 v[28:29], v[36:37], v[26:27]
	v_mul_f64_e32 v[26:27], v[36:37], v[32:33]
	v_add_f64_e32 v[48:49], v[60:61], v[48:49]
	s_delay_alu instid0(VALU_DEP_3) | instskip(SKIP_1) | instid1(VALU_DEP_4)
	v_add_f64_e32 v[50:51], v[28:29], v[62:63]
	v_mul_f64_e32 v[28:29], v[34:35], v[32:33]
	v_fma_f64 v[26:27], v[34:35], v[30:31], -v[26:27]
	s_delay_alu instid0(VALU_DEP_2) | instskip(NEXT) | instid1(VALU_DEP_2)
	v_fmac_f64_e32 v[28:29], v[36:37], v[30:31]
	v_add_f64_e32 v[40:41], v[40:41], v[26:27]
	s_delay_alu instid0(VALU_DEP_2) | instskip(SKIP_4) | instid1(VALU_DEP_2)
	v_add_f64_e32 v[38:39], v[28:29], v[38:39]
	ds_load_b128 v[26:29], v7 offset:1024
	s_wait_dscnt 0x0
	v_mul_f64_e32 v[30:31], v[54:55], v[28:29]
	v_mul_f64_e32 v[32:33], v[52:53], v[28:29]
	v_fma_f64 v[30:31], v[52:53], v[26:27], -v[30:31]
	s_delay_alu instid0(VALU_DEP_2) | instskip(NEXT) | instid1(VALU_DEP_2)
	v_fmac_f64_e32 v[32:33], v[54:55], v[26:27]
	v_add_f64_e32 v[2:3], v[2:3], v[30:31]
	s_delay_alu instid0(VALU_DEP_2) | instskip(SKIP_4) | instid1(VALU_DEP_2)
	v_add_f64_e32 v[60:61], v[32:33], v[64:65]
	ds_load_b128 v[30:33], v7 offset:1280
	s_wait_dscnt 0x0
	v_mul_f64_e32 v[34:35], v[54:55], v[32:33]
	;; [unrolled: 10-line block ×3, first 2 shown]
	v_mul_f64_e32 v[28:29], v[34:35], v[28:29]
	v_fma_f64 v[52:53], v[34:35], v[26:27], -v[52:53]
	s_delay_alu instid0(VALU_DEP_2) | instskip(SKIP_1) | instid1(VALU_DEP_3)
	v_fmac_f64_e32 v[28:29], v[36:37], v[26:27]
	v_mul_f64_e32 v[26:27], v[36:37], v[32:33]
	v_add_f64_e32 v[48:49], v[48:49], v[52:53]
	s_delay_alu instid0(VALU_DEP_3) | instskip(SKIP_1) | instid1(VALU_DEP_4)
	v_add_f64_e32 v[50:51], v[28:29], v[50:51]
	v_mul_f64_e32 v[28:29], v[34:35], v[32:33]
	v_fma_f64 v[26:27], v[34:35], v[30:31], -v[26:27]
	s_delay_alu instid0(VALU_DEP_2) | instskip(NEXT) | instid1(VALU_DEP_2)
	v_fmac_f64_e32 v[28:29], v[36:37], v[30:31]
	v_add_f64_e32 v[40:41], v[40:41], v[26:27]
	s_delay_alu instid0(VALU_DEP_2) | instskip(SKIP_4) | instid1(VALU_DEP_2)
	v_add_f64_e32 v[38:39], v[28:29], v[38:39]
	ds_load_b128 v[26:29], v7 offset:1536
	s_wait_dscnt 0x0
	v_mul_f64_e32 v[30:31], v[58:59], v[28:29]
	v_mul_f64_e32 v[32:33], v[56:57], v[28:29]
	v_fma_f64 v[30:31], v[56:57], v[26:27], -v[30:31]
	s_delay_alu instid0(VALU_DEP_2) | instskip(NEXT) | instid1(VALU_DEP_2)
	v_fmac_f64_e32 v[32:33], v[58:59], v[26:27]
	v_add_f64_e32 v[2:3], v[2:3], v[30:31]
	s_delay_alu instid0(VALU_DEP_2) | instskip(SKIP_4) | instid1(VALU_DEP_2)
	v_add_f64_e32 v[52:53], v[32:33], v[60:61]
	ds_load_b128 v[30:33], v7 offset:1792
	s_wait_dscnt 0x0
	v_mul_f64_e32 v[34:35], v[58:59], v[32:33]
	;; [unrolled: 10-line block ×3, first 2 shown]
	v_mul_f64_e32 v[28:29], v[34:35], v[28:29]
	v_fma_f64 v[54:55], v[34:35], v[26:27], -v[54:55]
	s_delay_alu instid0(VALU_DEP_2) | instskip(SKIP_1) | instid1(VALU_DEP_3)
	v_fmac_f64_e32 v[28:29], v[36:37], v[26:27]
	v_mul_f64_e32 v[26:27], v[36:37], v[32:33]
	v_add_f64_e32 v[48:49], v[48:49], v[54:55]
	s_delay_alu instid0(VALU_DEP_3) | instskip(SKIP_1) | instid1(VALU_DEP_4)
	v_add_f64_e32 v[50:51], v[28:29], v[50:51]
	v_mul_f64_e32 v[28:29], v[34:35], v[32:33]
	v_fma_f64 v[26:27], v[34:35], v[30:31], -v[26:27]
	s_delay_alu instid0(VALU_DEP_2) | instskip(NEXT) | instid1(VALU_DEP_2)
	v_fmac_f64_e32 v[28:29], v[36:37], v[30:31]
	v_add_f64_e32 v[40:41], v[40:41], v[26:27]
	s_delay_alu instid0(VALU_DEP_2)
	v_add_f64_e32 v[38:39], v[28:29], v[38:39]
	ds_load_b128 v[26:29], v43 offset:64
	ds_load_b128 v[30:33], v7 offset:2048
	s_wait_dscnt 0x0
	v_mul_f64_e32 v[34:35], v[28:29], v[32:33]
	v_mul_f64_e32 v[36:37], v[26:27], v[32:33]
	s_delay_alu instid0(VALU_DEP_2) | instskip(NEXT) | instid1(VALU_DEP_2)
	v_fma_f64 v[34:35], v[26:27], v[30:31], -v[34:35]
	v_fmac_f64_e32 v[36:37], v[28:29], v[30:31]
	s_delay_alu instid0(VALU_DEP_2) | instskip(NEXT) | instid1(VALU_DEP_2)
	v_add_f64_e32 v[2:3], v[2:3], v[34:35]
	v_add_f64_e32 v[52:53], v[36:37], v[52:53]
	ds_load_b128 v[34:37], v7 offset:2304
	s_wait_dscnt 0x0
	v_mul_f64_e32 v[54:55], v[28:29], v[36:37]
	s_delay_alu instid0(VALU_DEP_1) | instskip(SKIP_1) | instid1(VALU_DEP_2)
	v_fma_f64 v[54:55], v[26:27], v[34:35], -v[54:55]
	v_mul_f64_e32 v[26:27], v[26:27], v[36:37]
	v_add_f64_e32 v[46:47], v[46:47], v[54:55]
	s_delay_alu instid0(VALU_DEP_2) | instskip(NEXT) | instid1(VALU_DEP_1)
	v_fmac_f64_e32 v[26:27], v[28:29], v[34:35]
	v_add_f64_e32 v[44:45], v[26:27], v[44:45]
	ds_load_b128 v[26:29], v43 offset:2112
	s_wait_dscnt 0x0
	v_mul_f64_e32 v[54:55], v[28:29], v[32:33]
	v_mul_f64_e32 v[32:33], v[26:27], v[32:33]
	s_delay_alu instid0(VALU_DEP_2) | instskip(NEXT) | instid1(VALU_DEP_2)
	v_fma_f64 v[54:55], v[26:27], v[30:31], -v[54:55]
	v_fmac_f64_e32 v[32:33], v[28:29], v[30:31]
	v_mul_f64_e32 v[30:31], v[28:29], v[36:37]
	s_delay_alu instid0(VALU_DEP_3) | instskip(NEXT) | instid1(VALU_DEP_3)
	v_add_f64_e32 v[48:49], v[48:49], v[54:55]
	v_add_f64_e32 v[50:51], v[32:33], v[50:51]
	s_delay_alu instid0(VALU_DEP_3) | instskip(SKIP_1) | instid1(VALU_DEP_2)
	v_fma_f64 v[30:31], v[26:27], v[34:35], -v[30:31]
	v_mul_f64_e32 v[26:27], v[26:27], v[36:37]
	v_add_f64_e32 v[40:41], v[40:41], v[30:31]
	s_delay_alu instid0(VALU_DEP_2) | instskip(NEXT) | instid1(VALU_DEP_1)
	v_fmac_f64_e32 v[26:27], v[28:29], v[34:35]
	v_add_f64_e32 v[38:39], v[26:27], v[38:39]
	ds_load_b128 v[26:29], v43 offset:80
	ds_load_b128 v[30:33], v7 offset:2560
	s_wait_dscnt 0x0
	v_mul_f64_e32 v[34:35], v[28:29], v[32:33]
	v_mul_f64_e32 v[36:37], v[26:27], v[32:33]
	s_delay_alu instid0(VALU_DEP_2) | instskip(NEXT) | instid1(VALU_DEP_2)
	v_fma_f64 v[34:35], v[26:27], v[30:31], -v[34:35]
	v_fmac_f64_e32 v[36:37], v[28:29], v[30:31]
	s_delay_alu instid0(VALU_DEP_2) | instskip(NEXT) | instid1(VALU_DEP_2)
	v_add_f64_e32 v[2:3], v[2:3], v[34:35]
	v_add_f64_e32 v[52:53], v[36:37], v[52:53]
	ds_load_b128 v[34:37], v7 offset:2816
	s_wait_dscnt 0x0
	v_mul_f64_e32 v[54:55], v[28:29], v[36:37]
	s_delay_alu instid0(VALU_DEP_1) | instskip(SKIP_1) | instid1(VALU_DEP_2)
	v_fma_f64 v[54:55], v[26:27], v[34:35], -v[54:55]
	v_mul_f64_e32 v[26:27], v[26:27], v[36:37]
	v_add_f64_e32 v[46:47], v[46:47], v[54:55]
	s_delay_alu instid0(VALU_DEP_2) | instskip(NEXT) | instid1(VALU_DEP_1)
	v_fmac_f64_e32 v[26:27], v[28:29], v[34:35]
	v_add_f64_e32 v[44:45], v[26:27], v[44:45]
	ds_load_b128 v[26:29], v43 offset:2128
	s_wait_dscnt 0x0
	v_mul_f64_e32 v[54:55], v[28:29], v[32:33]
	v_mul_f64_e32 v[32:33], v[26:27], v[32:33]
	s_delay_alu instid0(VALU_DEP_2) | instskip(NEXT) | instid1(VALU_DEP_2)
	v_fma_f64 v[54:55], v[26:27], v[30:31], -v[54:55]
	v_fmac_f64_e32 v[32:33], v[28:29], v[30:31]
	v_mul_f64_e32 v[30:31], v[28:29], v[36:37]
	s_delay_alu instid0(VALU_DEP_3) | instskip(NEXT) | instid1(VALU_DEP_3)
	v_add_f64_e32 v[48:49], v[48:49], v[54:55]
	v_add_f64_e32 v[50:51], v[32:33], v[50:51]
	s_delay_alu instid0(VALU_DEP_3) | instskip(SKIP_1) | instid1(VALU_DEP_2)
	v_fma_f64 v[30:31], v[26:27], v[34:35], -v[30:31]
	v_mul_f64_e32 v[26:27], v[26:27], v[36:37]
	v_add_f64_e32 v[40:41], v[40:41], v[30:31]
	s_delay_alu instid0(VALU_DEP_2) | instskip(NEXT) | instid1(VALU_DEP_1)
	v_fmac_f64_e32 v[26:27], v[28:29], v[34:35]
	;; [unrolled: 39-line block ×3, first 2 shown]
	v_add_f64_e32 v[56:57], v[26:27], v[38:39]
	ds_load_b128 v[26:29], v43 offset:112
	ds_load_b128 v[30:33], v7 offset:3584
	;; [unrolled: 1-line block ×3, first 2 shown]
	s_wait_dscnt 0x1
	v_mul_f64_e32 v[34:35], v[28:29], v[32:33]
	v_mul_f64_e32 v[36:37], v[26:27], v[32:33]
	s_delay_alu instid0(VALU_DEP_2) | instskip(NEXT) | instid1(VALU_DEP_2)
	v_fma_f64 v[34:35], v[26:27], v[30:31], -v[34:35]
	v_fmac_f64_e32 v[36:37], v[28:29], v[30:31]
	s_delay_alu instid0(VALU_DEP_2) | instskip(NEXT) | instid1(VALU_DEP_2)
	v_add_f64_e32 v[34:35], v[2:3], v[34:35]
	v_add_f64_e32 v[36:37], v[36:37], v[52:53]
	s_wait_dscnt 0x0
	v_mul_f64_e32 v[2:3], v[28:29], v[40:41]
	v_mul_f64_e32 v[52:53], v[26:27], v[40:41]
	s_delay_alu instid0(VALU_DEP_2) | instskip(NEXT) | instid1(VALU_DEP_2)
	v_fma_f64 v[2:3], v[26:27], v[38:39], -v[2:3]
	v_fmac_f64_e32 v[52:53], v[28:29], v[38:39]
	s_delay_alu instid0(VALU_DEP_2) | instskip(NEXT) | instid1(VALU_DEP_2)
	v_add_f64_e32 v[26:27], v[46:47], v[2:3]
	v_add_f64_e32 v[28:29], v[52:53], v[44:45]
	ds_load_b128 v[44:47], v43 offset:2160
	s_wait_dscnt 0x0
	s_barrier_signal -1
	s_barrier_wait -1
	v_mul_f64_e32 v[2:3], v[46:47], v[32:33]
	v_mul_f64_e32 v[32:33], v[44:45], v[32:33]
	s_delay_alu instid0(VALU_DEP_2) | instskip(NEXT) | instid1(VALU_DEP_2)
	v_fma_f64 v[2:3], v[44:45], v[30:31], -v[2:3]
	v_fmac_f64_e32 v[32:33], v[46:47], v[30:31]
	s_delay_alu instid0(VALU_DEP_2) | instskip(SKIP_1) | instid1(VALU_DEP_3)
	v_add_f64_e32 v[30:31], v[48:49], v[2:3]
	v_mul_f64_e32 v[2:3], v[46:47], v[40:41]
	v_add_f64_e32 v[32:33], v[32:33], v[50:51]
	s_delay_alu instid0(VALU_DEP_2) | instskip(SKIP_1) | instid1(VALU_DEP_2)
	v_fma_f64 v[2:3], v[44:45], v[38:39], -v[2:3]
	v_mul_f64_e32 v[44:45], v[44:45], v[40:41]
	v_add_f64_e32 v[40:41], v[54:55], v[2:3]
	s_delay_alu instid0(VALU_DEP_2) | instskip(NEXT) | instid1(VALU_DEP_1)
	v_fmac_f64_e32 v[44:45], v[46:47], v[38:39]
	v_add_f64_e32 v[38:39], v[44:45], v[56:57]
	s_cbranch_vccz .LBB279_21
.LBB279_10:                             ;   Parent Loop BB279_7 Depth=1
                                        ; =>  This Inner Loop Header: Depth=2
	s_mov_b32 s23, 0
	s_mov_b32 s37, s5
	s_and_saveexec_b32 s36, s0
	s_cbranch_execnz .LBB279_18
; %bb.11:                               ;   in Loop: Header=BB279_10 Depth=2
	s_or_b32 exec_lo, exec_lo, s36
	s_and_saveexec_b32 s36, s37
	s_delay_alu instid0(SALU_CYCLE_1)
	s_xor_b32 s36, exec_lo, s36
	s_cbranch_execnz .LBB279_19
.LBB279_12:                             ;   in Loop: Header=BB279_10 Depth=2
	s_or_b32 exec_lo, exec_lo, s36
	s_and_saveexec_b32 s36, s23
	s_cbranch_execz .LBB279_14
.LBB279_13:                             ;   in Loop: Header=BB279_10 Depth=2
	v_mul_u64_e32 v[2:3], s[16:17], v[22:23]
	s_delay_alu instid0(VALU_DEP_1)
	v_lshl_add_u64 v[2:3], v[2:3], 4, v[4:5]
	global_load_b128 v[44:47], v[2:3], off
	s_wait_loadcnt 0x0
	ds_store_2addr_b64 v9, v[44:45], v[46:47] offset1:1
.LBB279_14:                             ;   in Loop: Header=BB279_10 Depth=2
	s_wait_xcnt 0x0
	s_or_b32 exec_lo, exec_lo, s36
	v_add_nc_u32_e32 v0, s2, v6
	s_delay_alu instid0(VALU_DEP_1) | instskip(SKIP_1) | instid1(SALU_CYCLE_1)
	v_cmp_le_u64_e32 vcc_lo, s[8:9], v[0:1]
	s_or_b32 s23, vcc_lo, s1
	s_and_saveexec_b32 s36, s23
	s_delay_alu instid0(SALU_CYCLE_1)
	s_xor_b32 s23, exec_lo, s36
; %bb.15:                               ;   in Loop: Header=BB279_10 Depth=2
	v_dual_mov_b32 v0, v1 :: v_dual_mov_b32 v2, v1
	v_mov_b32_e32 v3, v1
	ds_store_b128 v42, v[0:3]
; %bb.16:                               ;   in Loop: Header=BB279_10 Depth=2
	s_and_not1_saveexec_b32 s23, s23
	s_cbranch_execz .LBB279_9
; %bb.17:                               ;   in Loop: Header=BB279_10 Depth=2
	v_lshl_add_u64 v[2:3], v[0:1], 4, v[24:25]
	global_load_b128 v[44:47], v[2:3], off
	s_wait_loadcnt 0x0
	ds_store_2addr_b64 v42, v[44:45], v[46:47] offset1:1
	s_branch .LBB279_9
.LBB279_18:                             ;   in Loop: Header=BB279_10 Depth=2
	v_add_nc_u32_e32 v0, s2, v8
	s_and_not1_b32 s37, s5, exec_lo
	s_mov_b32 s23, exec_lo
	s_delay_alu instid0(VALU_DEP_1) | instskip(SKIP_2) | instid1(SALU_CYCLE_1)
	v_cmp_le_u64_e32 vcc_lo, s[8:9], v[0:1]
	v_mov_b64_e32 v[22:23], v[0:1]
	s_and_b32 s38, vcc_lo, exec_lo
	s_or_b32 s37, s37, s38
	s_or_b32 exec_lo, exec_lo, s36
	s_and_saveexec_b32 s36, s37
	s_delay_alu instid0(SALU_CYCLE_1)
	s_xor_b32 s36, exec_lo, s36
	s_cbranch_execz .LBB279_12
.LBB279_19:                             ;   in Loop: Header=BB279_10 Depth=2
	v_dual_mov_b32 v0, v1 :: v_dual_mov_b32 v2, v1
	v_mov_b32_e32 v3, v1
	s_and_not1_b32 s23, s23, exec_lo
	ds_store_b128 v9, v[0:3]
	s_or_b32 exec_lo, exec_lo, s36
	s_and_saveexec_b32 s36, s23
	s_cbranch_execnz .LBB279_13
	s_branch .LBB279_14
.LBB279_20:                             ;   in Loop: Header=BB279_7 Depth=1
	v_mov_b64_e32 v[36:37], 0
	v_mov_b64_e32 v[26:27], 0
	;; [unrolled: 1-line block ×7, first 2 shown]
.LBB279_21:                             ;   in Loop: Header=BB279_7 Depth=1
	s_mul_u64 s[2:3], s[6:7], s[34:35]
	s_delay_alu instid0(SALU_CYCLE_1) | instskip(NEXT) | instid1(SALU_CYCLE_1)
	s_lshl_b64 s[2:3], s[2:3], 4
	s_add_nc_u64 s[2:3], s[30:31], s[2:3]
	s_delay_alu instid0(SALU_CYCLE_1)
	v_lshl_add_u64 v[24:25], v[12:13], 4, s[2:3]
	s_and_saveexec_b32 s23, s15
	s_cbranch_execz .LBB279_26
; %bb.22:                               ;   in Loop: Header=BB279_7 Depth=1
	v_mul_f64_e32 v[2:3], s[12:13], v[36:37]
	v_mul_f64_e32 v[4:5], s[10:11], v[36:37]
	s_and_b32 vcc_lo, exec_lo, s14
	s_mov_b32 s36, -1
	s_delay_alu instid0(VALU_DEP_2) | instskip(NEXT) | instid1(VALU_DEP_2)
	v_fma_f64 v[2:3], s[10:11], v[34:35], -v[2:3]
	v_fmac_f64_e32 v[4:5], s[12:13], v[34:35]
	v_lshl_add_u64 v[34:35], v[10:11], 4, v[24:25]
	s_cbranch_vccz .LBB279_24
; %bb.23:                               ;   in Loop: Header=BB279_7 Depth=1
	global_load_b128 v[44:47], v[34:35], off
	s_mov_b32 s36, 0
	s_wait_loadcnt 0x0
	v_mul_f64_e32 v[36:37], s[28:29], v[46:47]
	v_mul_f64_e32 v[46:47], s[26:27], v[46:47]
	s_delay_alu instid0(VALU_DEP_2) | instskip(NEXT) | instid1(VALU_DEP_2)
	v_fma_f64 v[36:37], s[26:27], v[44:45], -v[36:37]
	v_fmac_f64_e32 v[46:47], s[28:29], v[44:45]
	s_delay_alu instid0(VALU_DEP_2) | instskip(NEXT) | instid1(VALU_DEP_2)
	v_add_f64_e32 v[44:45], v[2:3], v[36:37]
	v_add_f64_e32 v[46:47], v[4:5], v[46:47]
	global_store_b128 v[34:35], v[44:47], off
.LBB279_24:                             ;   in Loop: Header=BB279_7 Depth=1
	s_and_not1_b32 vcc_lo, exec_lo, s36
	s_cbranch_vccnz .LBB279_26
; %bb.25:                               ;   in Loop: Header=BB279_7 Depth=1
	global_store_b128 v[34:35], v[2:5], off
.LBB279_26:                             ;   in Loop: Header=BB279_7 Depth=1
	s_wait_xcnt 0x0
	s_or_b32 exec_lo, exec_lo, s23
	s_and_saveexec_b32 s23, s20
	s_cbranch_execz .LBB279_31
; %bb.27:                               ;   in Loop: Header=BB279_7 Depth=1
	v_mul_f64_e32 v[2:3], s[12:13], v[28:29]
	v_mul_f64_e32 v[4:5], s[10:11], v[28:29]
	v_lshl_add_u64 v[24:25], v[16:17], 4, v[24:25]
	s_and_not1_b32 vcc_lo, exec_lo, s14
	s_mov_b32 s36, -1
	s_delay_alu instid0(VALU_DEP_3) | instskip(NEXT) | instid1(VALU_DEP_3)
	v_fma_f64 v[2:3], s[10:11], v[26:27], -v[2:3]
	v_fmac_f64_e32 v[4:5], s[12:13], v[26:27]
	s_cbranch_vccnz .LBB279_29
; %bb.28:                               ;   in Loop: Header=BB279_7 Depth=1
	global_load_b128 v[26:29], v[24:25], off
	s_mov_b32 s36, 0
	s_wait_loadcnt 0x0
	v_mul_f64_e32 v[34:35], s[28:29], v[28:29]
	v_mul_f64_e32 v[28:29], s[26:27], v[28:29]
	s_delay_alu instid0(VALU_DEP_2) | instskip(NEXT) | instid1(VALU_DEP_2)
	v_fma_f64 v[34:35], s[26:27], v[26:27], -v[34:35]
	v_fmac_f64_e32 v[28:29], s[28:29], v[26:27]
	s_delay_alu instid0(VALU_DEP_2) | instskip(NEXT) | instid1(VALU_DEP_2)
	v_add_f64_e32 v[26:27], v[2:3], v[34:35]
	v_add_f64_e32 v[28:29], v[4:5], v[28:29]
	global_store_b128 v[24:25], v[26:29], off
.LBB279_29:                             ;   in Loop: Header=BB279_7 Depth=1
	s_and_not1_b32 vcc_lo, exec_lo, s36
	s_cbranch_vccnz .LBB279_31
; %bb.30:                               ;   in Loop: Header=BB279_7 Depth=1
	global_store_b128 v[24:25], v[2:5], off
.LBB279_31:                             ;   in Loop: Header=BB279_7 Depth=1
	s_wait_xcnt 0x0
	s_or_b32 exec_lo, exec_lo, s23
	v_lshl_add_u64 v[24:25], v[14:15], 4, s[2:3]
	s_and_saveexec_b32 s2, s22
	s_cbranch_execz .LBB279_36
; %bb.32:                               ;   in Loop: Header=BB279_7 Depth=1
	v_mul_f64_e32 v[2:3], s[12:13], v[32:33]
	v_mul_f64_e32 v[4:5], s[10:11], v[32:33]
	v_lshl_add_u64 v[26:27], v[10:11], 4, v[24:25]
	s_and_not1_b32 vcc_lo, exec_lo, s14
	s_mov_b32 s3, -1
	s_delay_alu instid0(VALU_DEP_3) | instskip(NEXT) | instid1(VALU_DEP_3)
	v_fma_f64 v[2:3], s[10:11], v[30:31], -v[2:3]
	v_fmac_f64_e32 v[4:5], s[12:13], v[30:31]
	s_cbranch_vccnz .LBB279_34
; %bb.33:                               ;   in Loop: Header=BB279_7 Depth=1
	global_load_b128 v[28:31], v[26:27], off
	s_mov_b32 s3, 0
	s_wait_loadcnt 0x0
	v_mul_f64_e32 v[32:33], s[28:29], v[30:31]
	v_mul_f64_e32 v[30:31], s[26:27], v[30:31]
	s_delay_alu instid0(VALU_DEP_2) | instskip(NEXT) | instid1(VALU_DEP_2)
	v_fma_f64 v[32:33], s[26:27], v[28:29], -v[32:33]
	v_fmac_f64_e32 v[30:31], s[28:29], v[28:29]
	s_delay_alu instid0(VALU_DEP_2) | instskip(NEXT) | instid1(VALU_DEP_2)
	v_add_f64_e32 v[28:29], v[2:3], v[32:33]
	v_add_f64_e32 v[30:31], v[4:5], v[30:31]
	global_store_b128 v[26:27], v[28:31], off
.LBB279_34:                             ;   in Loop: Header=BB279_7 Depth=1
	s_and_not1_b32 vcc_lo, exec_lo, s3
	s_cbranch_vccnz .LBB279_36
; %bb.35:                               ;   in Loop: Header=BB279_7 Depth=1
	global_store_b128 v[26:27], v[2:5], off
.LBB279_36:                             ;   in Loop: Header=BB279_7 Depth=1
	s_wait_xcnt 0x0
	s_or_b32 exec_lo, exec_lo, s2
	s_and_saveexec_b32 s2, s4
	s_cbranch_execz .LBB279_6
; %bb.37:                               ;   in Loop: Header=BB279_7 Depth=1
	s_delay_alu instid0(VALU_DEP_3) | instskip(SKIP_4) | instid1(VALU_DEP_3)
	v_mul_f64_e32 v[2:3], s[12:13], v[38:39]
	v_mul_f64_e32 v[4:5], s[10:11], v[38:39]
	v_lshl_add_u64 v[24:25], v[16:17], 4, v[24:25]
	s_and_not1_b32 vcc_lo, exec_lo, s14
	s_mov_b32 s3, -1
	v_fma_f64 v[2:3], s[10:11], v[40:41], -v[2:3]
	s_delay_alu instid0(VALU_DEP_3)
	v_fmac_f64_e32 v[4:5], s[12:13], v[40:41]
	s_cbranch_vccnz .LBB279_39
; %bb.38:                               ;   in Loop: Header=BB279_7 Depth=1
	global_load_b128 v[26:29], v[24:25], off
	s_mov_b32 s3, 0
	s_wait_loadcnt 0x0
	v_mul_f64_e32 v[30:31], s[28:29], v[28:29]
	v_mul_f64_e32 v[28:29], s[26:27], v[28:29]
	s_delay_alu instid0(VALU_DEP_2) | instskip(NEXT) | instid1(VALU_DEP_2)
	v_fma_f64 v[30:31], s[26:27], v[26:27], -v[30:31]
	v_fmac_f64_e32 v[28:29], s[28:29], v[26:27]
	s_delay_alu instid0(VALU_DEP_2) | instskip(NEXT) | instid1(VALU_DEP_2)
	v_add_f64_e32 v[26:27], v[2:3], v[30:31]
	v_add_f64_e32 v[28:29], v[4:5], v[28:29]
	global_store_b128 v[24:25], v[26:29], off
.LBB279_39:                             ;   in Loop: Header=BB279_7 Depth=1
	s_and_not1_b32 vcc_lo, exec_lo, s3
	s_cbranch_vccnz .LBB279_6
; %bb.40:                               ;   in Loop: Header=BB279_7 Depth=1
	global_store_b128 v[24:25], v[2:5], off
	s_branch .LBB279_6
.LBB279_41:
.LBB279_42:
	s_sendmsg sendmsg(MSG_DEALLOC_VGPRS)
	s_endpgm
	.section	.rodata,"a",@progbits
	.p2align	6, 0x0
	.amdhsa_kernel _ZL29rocblas_internal_gemmt_kernelIlLi16ELi32ELi8ELc78ELc78ELc76ELb0ELb0E19rocblas_complex_numIdES1_PKS1_PS1_EviT_T9_T10_S5_lS7_S5_lS6_T11_S5_li
		.amdhsa_group_segment_fixed_size 8192
		.amdhsa_private_segment_fixed_size 0
		.amdhsa_kernarg_size 124
		.amdhsa_user_sgpr_count 2
		.amdhsa_user_sgpr_dispatch_ptr 0
		.amdhsa_user_sgpr_queue_ptr 0
		.amdhsa_user_sgpr_kernarg_segment_ptr 1
		.amdhsa_user_sgpr_dispatch_id 0
		.amdhsa_user_sgpr_kernarg_preload_length 0
		.amdhsa_user_sgpr_kernarg_preload_offset 0
		.amdhsa_user_sgpr_private_segment_size 0
		.amdhsa_wavefront_size32 1
		.amdhsa_uses_dynamic_stack 0
		.amdhsa_enable_private_segment 0
		.amdhsa_system_sgpr_workgroup_id_x 1
		.amdhsa_system_sgpr_workgroup_id_y 1
		.amdhsa_system_sgpr_workgroup_id_z 1
		.amdhsa_system_sgpr_workgroup_info 0
		.amdhsa_system_vgpr_workitem_id 1
		.amdhsa_next_free_vgpr 68
		.amdhsa_next_free_sgpr 41
		.amdhsa_named_barrier_count 0
		.amdhsa_reserve_vcc 1
		.amdhsa_float_round_mode_32 0
		.amdhsa_float_round_mode_16_64 0
		.amdhsa_float_denorm_mode_32 3
		.amdhsa_float_denorm_mode_16_64 3
		.amdhsa_fp16_overflow 0
		.amdhsa_memory_ordered 1
		.amdhsa_forward_progress 1
		.amdhsa_inst_pref_size 26
		.amdhsa_round_robin_scheduling 0
		.amdhsa_exception_fp_ieee_invalid_op 0
		.amdhsa_exception_fp_denorm_src 0
		.amdhsa_exception_fp_ieee_div_zero 0
		.amdhsa_exception_fp_ieee_overflow 0
		.amdhsa_exception_fp_ieee_underflow 0
		.amdhsa_exception_fp_ieee_inexact 0
		.amdhsa_exception_int_div_zero 0
	.end_amdhsa_kernel
	.section	.text._ZL29rocblas_internal_gemmt_kernelIlLi16ELi32ELi8ELc78ELc78ELc76ELb0ELb0E19rocblas_complex_numIdES1_PKS1_PS1_EviT_T9_T10_S5_lS7_S5_lS6_T11_S5_li,"axG",@progbits,_ZL29rocblas_internal_gemmt_kernelIlLi16ELi32ELi8ELc78ELc78ELc76ELb0ELb0E19rocblas_complex_numIdES1_PKS1_PS1_EviT_T9_T10_S5_lS7_S5_lS6_T11_S5_li,comdat
.Lfunc_end279:
	.size	_ZL29rocblas_internal_gemmt_kernelIlLi16ELi32ELi8ELc78ELc78ELc76ELb0ELb0E19rocblas_complex_numIdES1_PKS1_PS1_EviT_T9_T10_S5_lS7_S5_lS6_T11_S5_li, .Lfunc_end279-_ZL29rocblas_internal_gemmt_kernelIlLi16ELi32ELi8ELc78ELc78ELc76ELb0ELb0E19rocblas_complex_numIdES1_PKS1_PS1_EviT_T9_T10_S5_lS7_S5_lS6_T11_S5_li
                                        ; -- End function
	.set _ZL29rocblas_internal_gemmt_kernelIlLi16ELi32ELi8ELc78ELc78ELc76ELb0ELb0E19rocblas_complex_numIdES1_PKS1_PS1_EviT_T9_T10_S5_lS7_S5_lS6_T11_S5_li.num_vgpr, 68
	.set _ZL29rocblas_internal_gemmt_kernelIlLi16ELi32ELi8ELc78ELc78ELc76ELb0ELb0E19rocblas_complex_numIdES1_PKS1_PS1_EviT_T9_T10_S5_lS7_S5_lS6_T11_S5_li.num_agpr, 0
	.set _ZL29rocblas_internal_gemmt_kernelIlLi16ELi32ELi8ELc78ELc78ELc76ELb0ELb0E19rocblas_complex_numIdES1_PKS1_PS1_EviT_T9_T10_S5_lS7_S5_lS6_T11_S5_li.numbered_sgpr, 41
	.set _ZL29rocblas_internal_gemmt_kernelIlLi16ELi32ELi8ELc78ELc78ELc76ELb0ELb0E19rocblas_complex_numIdES1_PKS1_PS1_EviT_T9_T10_S5_lS7_S5_lS6_T11_S5_li.num_named_barrier, 0
	.set _ZL29rocblas_internal_gemmt_kernelIlLi16ELi32ELi8ELc78ELc78ELc76ELb0ELb0E19rocblas_complex_numIdES1_PKS1_PS1_EviT_T9_T10_S5_lS7_S5_lS6_T11_S5_li.private_seg_size, 0
	.set _ZL29rocblas_internal_gemmt_kernelIlLi16ELi32ELi8ELc78ELc78ELc76ELb0ELb0E19rocblas_complex_numIdES1_PKS1_PS1_EviT_T9_T10_S5_lS7_S5_lS6_T11_S5_li.uses_vcc, 1
	.set _ZL29rocblas_internal_gemmt_kernelIlLi16ELi32ELi8ELc78ELc78ELc76ELb0ELb0E19rocblas_complex_numIdES1_PKS1_PS1_EviT_T9_T10_S5_lS7_S5_lS6_T11_S5_li.uses_flat_scratch, 0
	.set _ZL29rocblas_internal_gemmt_kernelIlLi16ELi32ELi8ELc78ELc78ELc76ELb0ELb0E19rocblas_complex_numIdES1_PKS1_PS1_EviT_T9_T10_S5_lS7_S5_lS6_T11_S5_li.has_dyn_sized_stack, 0
	.set _ZL29rocblas_internal_gemmt_kernelIlLi16ELi32ELi8ELc78ELc78ELc76ELb0ELb0E19rocblas_complex_numIdES1_PKS1_PS1_EviT_T9_T10_S5_lS7_S5_lS6_T11_S5_li.has_recursion, 0
	.set _ZL29rocblas_internal_gemmt_kernelIlLi16ELi32ELi8ELc78ELc78ELc76ELb0ELb0E19rocblas_complex_numIdES1_PKS1_PS1_EviT_T9_T10_S5_lS7_S5_lS6_T11_S5_li.has_indirect_call, 0
	.section	.AMDGPU.csdata,"",@progbits
; Kernel info:
; codeLenInByte = 3216
; TotalNumSgprs: 43
; NumVgprs: 68
; ScratchSize: 0
; MemoryBound: 0
; FloatMode: 240
; IeeeMode: 1
; LDSByteSize: 8192 bytes/workgroup (compile time only)
; SGPRBlocks: 0
; VGPRBlocks: 4
; NumSGPRsForWavesPerEU: 43
; NumVGPRsForWavesPerEU: 68
; NamedBarCnt: 0
; Occupancy: 12
; WaveLimiterHint : 0
; COMPUTE_PGM_RSRC2:SCRATCH_EN: 0
; COMPUTE_PGM_RSRC2:USER_SGPR: 2
; COMPUTE_PGM_RSRC2:TRAP_HANDLER: 0
; COMPUTE_PGM_RSRC2:TGID_X_EN: 1
; COMPUTE_PGM_RSRC2:TGID_Y_EN: 1
; COMPUTE_PGM_RSRC2:TGID_Z_EN: 1
; COMPUTE_PGM_RSRC2:TIDIG_COMP_CNT: 1
	.section	.text._ZL29rocblas_internal_gemmt_kernelIlLi16ELi32ELi8ELc78ELc84ELc76ELb0ELb0E19rocblas_complex_numIdES1_PKS1_PS1_EviT_T9_T10_S5_lS7_S5_lS6_T11_S5_li,"axG",@progbits,_ZL29rocblas_internal_gemmt_kernelIlLi16ELi32ELi8ELc78ELc84ELc76ELb0ELb0E19rocblas_complex_numIdES1_PKS1_PS1_EviT_T9_T10_S5_lS7_S5_lS6_T11_S5_li,comdat
	.globl	_ZL29rocblas_internal_gemmt_kernelIlLi16ELi32ELi8ELc78ELc84ELc76ELb0ELb0E19rocblas_complex_numIdES1_PKS1_PS1_EviT_T9_T10_S5_lS7_S5_lS6_T11_S5_li ; -- Begin function _ZL29rocblas_internal_gemmt_kernelIlLi16ELi32ELi8ELc78ELc84ELc76ELb0ELb0E19rocblas_complex_numIdES1_PKS1_PS1_EviT_T9_T10_S5_lS7_S5_lS6_T11_S5_li
	.p2align	8
	.type	_ZL29rocblas_internal_gemmt_kernelIlLi16ELi32ELi8ELc78ELc84ELc76ELb0ELb0E19rocblas_complex_numIdES1_PKS1_PS1_EviT_T9_T10_S5_lS7_S5_lS6_T11_S5_li,@function
_ZL29rocblas_internal_gemmt_kernelIlLi16ELi32ELi8ELc78ELc84ELc76ELb0ELb0E19rocblas_complex_numIdES1_PKS1_PS1_EviT_T9_T10_S5_lS7_S5_lS6_T11_S5_li: ; @_ZL29rocblas_internal_gemmt_kernelIlLi16ELi32ELi8ELc78ELc84ELc76ELb0ELb0E19rocblas_complex_numIdES1_PKS1_PS1_EviT_T9_T10_S5_lS7_S5_lS6_T11_S5_li
; %bb.0:
	s_clause 0x1
	s_load_b256 s[24:31], s[0:1], 0x48
	s_load_b512 s[8:23], s[0:1], 0x8
	s_wait_kmcnt 0x0
	v_cmp_eq_f64_e64 s3, s[26:27], 1.0
	v_cmp_eq_f64_e64 s2, s[28:29], 0
	s_and_b32 s3, s3, s2
	s_delay_alu instid0(SALU_CYCLE_1)
	s_and_not1_b32 vcc_lo, exec_lo, s3
	s_mov_b32 s3, -1
	s_cbranch_vccnz .LBB280_3
; %bb.1:
	s_cmp_lg_u64 s[8:9], 0
	s_cbranch_scc0 .LBB280_41
; %bb.2:
	v_cmp_neq_f64_e64 s3, s[10:11], 0
	v_cmp_neq_f64_e64 s4, s[12:13], 0
	s_or_b32 s3, s3, s4
.LBB280_3:
	s_delay_alu instid0(SALU_CYCLE_1)
	s_and_b32 vcc_lo, exec_lo, s3
	s_cbranch_vccz .LBB280_42
; %bb.4:
	s_load_b32 s33, s[0:1], 0x78
	s_bfe_u32 s3, ttmp6, 0x40014
	s_lshr_b32 s4, ttmp7, 16
	s_add_co_i32 s3, s3, 1
	s_bfe_u32 s6, ttmp6, 0x40008
	s_mul_i32 s5, s4, s3
	s_getreg_b32 s3, hwreg(HW_REG_IB_STS2, 6, 4)
	s_add_co_i32 s6, s6, s5
	s_cmp_eq_u32 s3, 0
	s_mov_b32 s35, 0
	s_cselect_b32 s34, s4, s6
	s_wait_kmcnt 0x0
	s_cmp_ge_u32 s34, s33
	s_cbranch_scc1 .LBB280_42
; %bb.5:
	s_clause 0x1
	s_load_b128 s[4:7], s[0:1], 0x68
	s_load_b32 s38, s[0:1], 0x0
	s_wait_xcnt 0x0
	s_bfe_u32 s1, ttmp6, 0x4000c
	s_bfe_u32 s40, ttmp6, 0x40010
	s_and_b32 s39, ttmp7, 0xffff
	s_add_co_i32 s1, s1, 1
	s_add_co_i32 s40, s40, 1
	v_and_b32_e32 v15, 0x3ff, v0
	v_bfe_u32 v21, v0, 10, 10
	s_and_b32 s0, ttmp6, 15
	s_bfe_u32 s41, ttmp6, 0x40004
	s_mul_i32 s1, ttmp9, s1
	s_mul_i32 s40, s39, s40
	s_add_co_i32 s0, s0, s1
	s_add_co_i32 s41, s41, s40
	s_cmp_eq_u32 s3, 0
	v_lshl_add_u32 v1, v21, 4, v15
	s_cselect_b32 s1, s39, s41
	s_cselect_b32 s0, ttmp9, s0
	s_lshl_b32 s1, s1, 5
	s_delay_alu instid0(VALU_DEP_1) | instskip(SKIP_4) | instid1(VALU_DEP_3)
	v_dual_lshrrev_b32 v5, 3, v1 :: v_dual_bitop2_b32 v6, 7, v0 bitop3:0x40
	v_dual_lshrrev_b32 v8, 5, v1 :: v_dual_bitop2_b32 v3, 31, v1 bitop3:0x40
	s_lshl_b32 s3, s0, 5
	v_add_nc_u32_e32 v0, s1, v21
	v_cmp_neq_f64_e64 s36, s[10:11], 0
	v_dual_add_nc_u32 v4, s1, v5 :: v_dual_bitop2_b32 v2, s3, v3 bitop3:0x54
	v_cmp_neq_f64_e64 s37, s[12:13], 0
	s_delay_alu instid0(VALU_DEP_4) | instskip(SKIP_2) | instid1(VALU_DEP_3)
	v_dual_add_nc_u32 v22, 16, v0 :: v_dual_ashrrev_i32 v1, 31, v0
	v_cmp_neq_f64_e64 s40, s[26:27], 0
	v_dual_add_nc_u32 v14, s3, v15 :: v_dual_lshlrev_b32 v42, 4, v15
	v_ashrrev_i32_e32 v23, 31, v22
	s_wait_kmcnt 0x0
	v_mul_u64_e32 v[10:11], s[4:5], v[0:1]
	v_dual_lshlrev_b32 v7, 4, v3 :: v_dual_lshlrev_b32 v9, 4, v6
	v_dual_add_nc_u32 v20, 16, v14 :: v_dual_ashrrev_i32 v15, 31, v14
	v_mul_u64_e32 v[12:13], s[4:5], v[22:23]
	v_ashrrev_i32_e32 v3, 31, v2
	s_xor_b32 s5, s2, -1
	v_cmp_le_i32_e64 s1, v0, v14
	v_cmp_gt_i32_e64 s2, s38, v14
	v_cmp_le_i32_e64 s3, v0, v20
	v_cmp_gt_i32_e64 s4, s38, v20
	v_lshl_or_b32 v1, v5, 7, v9
	v_ashrrev_i32_e32 v5, 31, v4
	v_cmp_gt_i64_e64 s39, s[8:9], 0
	v_lshl_add_u64 v[16:17], v[2:3], 4, s[14:15]
	v_cmp_gt_i32_e32 vcc_lo, s38, v4
	s_and_b32 s14, s1, s2
	s_and_b32 s15, s3, s4
	v_cmp_le_i32_e64 s1, v22, v14
	v_cmp_le_i32_e64 s3, v22, v20
	v_cmp_gt_i32_e64 s0, s38, v2
	v_lshl_or_b32 v7, v8, 9, v7
	v_add_nc_u32_e32 v9, 0x1000, v1
	v_lshl_add_u64 v[18:19], v[4:5], 4, s[20:21]
	s_or_b32 s37, s36, s37
	v_cmp_le_i32_e64 s36, s38, v2
	v_lshl_add_u32 v43, v21, 7, 0x1000
	v_dual_ashrrev_i32 v21, 31, v20 :: v_dual_mov_b32 v1, 0
	s_or_b32 s5, s40, s5
	s_and_b32 s20, s37, s39
	s_and_b32 s1, s1, s2
	;; [unrolled: 1-line block ×3, first 2 shown]
	s_xor_b32 s21, vcc_lo, -1
                                        ; implicit-def: $vgpr22_vgpr23
	s_branch .LBB280_7
.LBB280_6:                              ;   in Loop: Header=BB280_7 Depth=1
	s_wait_xcnt 0x0
	s_or_b32 exec_lo, exec_lo, s2
	s_add_co_i32 s34, s34, 0x10000
	s_delay_alu instid0(SALU_CYCLE_1)
	s_cmp_lt_u32 s34, s33
	s_cbranch_scc0 .LBB280_42
.LBB280_7:                              ; =>This Loop Header: Depth=1
                                        ;     Child Loop BB280_10 Depth 2
	v_mov_b64_e32 v[34:35], 0
	s_and_not1_b32 vcc_lo, exec_lo, s20
	s_cbranch_vccnz .LBB280_20
; %bb.8:                                ;   in Loop: Header=BB280_7 Depth=1
	s_mul_u64 s[2:3], s[24:25], s[34:35]
	s_mul_u64 s[38:39], s[18:19], s[34:35]
	v_mov_b64_e32 v[38:39], 0
	v_mov_b64_e32 v[40:41], 0
	;; [unrolled: 1-line block ×8, first 2 shown]
	v_lshl_add_u64 v[4:5], s[38:39], 4, v[16:17]
	v_lshl_add_u64 v[24:25], s[2:3], 4, v[18:19]
	s_mov_b64 s[2:3], 0
	s_branch .LBB280_10
.LBB280_9:                              ;   in Loop: Header=BB280_10 Depth=2
	s_wait_xcnt 0x0
	s_or_b32 exec_lo, exec_lo, s37
	s_wait_dscnt 0x0
	s_barrier_signal -1
	s_barrier_wait -1
	ds_load_b128 v[44:47], v43
	ds_load_b128 v[48:51], v43 offset:16
	ds_load_b128 v[52:55], v43 offset:32
	;; [unrolled: 1-line block ×3, first 2 shown]
	ds_load_b128 v[60:63], v42
	s_add_nc_u64 s[2:3], s[2:3], 8
	s_delay_alu instid0(SALU_CYCLE_1) | instskip(SKIP_4) | instid1(VALU_DEP_2)
	v_cmp_gt_i64_e64 s37, s[8:9], s[2:3]
	s_and_b32 vcc_lo, exec_lo, s37
	s_wait_dscnt 0x0
	v_mul_f64_e32 v[2:3], v[46:47], v[62:63]
	v_mul_f64_e32 v[64:65], v[44:45], v[62:63]
	v_fma_f64 v[2:3], v[44:45], v[60:61], -v[2:3]
	s_delay_alu instid0(VALU_DEP_2) | instskip(NEXT) | instid1(VALU_DEP_2)
	v_fmac_f64_e32 v[64:65], v[46:47], v[60:61]
	v_add_f64_e32 v[2:3], v[34:35], v[2:3]
	s_delay_alu instid0(VALU_DEP_2) | instskip(SKIP_3) | instid1(VALU_DEP_1)
	v_add_f64_e32 v[64:65], v[64:65], v[36:37]
	ds_load_b128 v[34:37], v42 offset:256
	s_wait_dscnt 0x0
	v_mul_f64_e32 v[66:67], v[46:47], v[36:37]
	v_fma_f64 v[66:67], v[44:45], v[34:35], -v[66:67]
	v_mul_f64_e32 v[44:45], v[44:45], v[36:37]
	s_delay_alu instid0(VALU_DEP_1) | instskip(NEXT) | instid1(VALU_DEP_3)
	v_fmac_f64_e32 v[44:45], v[46:47], v[34:35]
	v_add_f64_e32 v[46:47], v[26:27], v[66:67]
	s_delay_alu instid0(VALU_DEP_2) | instskip(SKIP_4) | instid1(VALU_DEP_2)
	v_add_f64_e32 v[44:45], v[44:45], v[28:29]
	ds_load_b128 v[26:29], v43 offset:2048
	s_wait_dscnt 0x0
	v_mul_f64_e32 v[66:67], v[28:29], v[62:63]
	v_mul_f64_e32 v[62:63], v[26:27], v[62:63]
	v_fma_f64 v[66:67], v[26:27], v[60:61], -v[66:67]
	s_delay_alu instid0(VALU_DEP_2) | instskip(NEXT) | instid1(VALU_DEP_2)
	v_fmac_f64_e32 v[62:63], v[28:29], v[60:61]
	v_add_f64_e32 v[60:61], v[30:31], v[66:67]
	v_mul_f64_e32 v[30:31], v[28:29], v[36:37]
	s_delay_alu instid0(VALU_DEP_3) | instskip(NEXT) | instid1(VALU_DEP_2)
	v_add_f64_e32 v[62:63], v[62:63], v[32:33]
	v_fma_f64 v[30:31], v[26:27], v[34:35], -v[30:31]
	v_mul_f64_e32 v[26:27], v[26:27], v[36:37]
	s_delay_alu instid0(VALU_DEP_2) | instskip(NEXT) | instid1(VALU_DEP_2)
	v_add_f64_e32 v[40:41], v[40:41], v[30:31]
	v_fmac_f64_e32 v[26:27], v[28:29], v[34:35]
	s_delay_alu instid0(VALU_DEP_1) | instskip(SKIP_4) | instid1(VALU_DEP_2)
	v_add_f64_e32 v[38:39], v[26:27], v[38:39]
	ds_load_b128 v[26:29], v42 offset:512
	s_wait_dscnt 0x0
	v_mul_f64_e32 v[30:31], v[50:51], v[28:29]
	v_mul_f64_e32 v[32:33], v[48:49], v[28:29]
	v_fma_f64 v[30:31], v[48:49], v[26:27], -v[30:31]
	s_delay_alu instid0(VALU_DEP_2) | instskip(NEXT) | instid1(VALU_DEP_2)
	v_fmac_f64_e32 v[32:33], v[50:51], v[26:27]
	v_add_f64_e32 v[2:3], v[2:3], v[30:31]
	s_delay_alu instid0(VALU_DEP_2) | instskip(SKIP_4) | instid1(VALU_DEP_2)
	v_add_f64_e32 v[64:65], v[32:33], v[64:65]
	ds_load_b128 v[30:33], v42 offset:768
	s_wait_dscnt 0x0
	v_mul_f64_e32 v[34:35], v[50:51], v[32:33]
	v_mul_f64_e32 v[36:37], v[48:49], v[32:33]
	v_fma_f64 v[34:35], v[48:49], v[30:31], -v[34:35]
	s_delay_alu instid0(VALU_DEP_2) | instskip(NEXT) | instid1(VALU_DEP_2)
	v_fmac_f64_e32 v[36:37], v[50:51], v[30:31]
	v_add_f64_e32 v[46:47], v[46:47], v[34:35]
	s_delay_alu instid0(VALU_DEP_2) | instskip(SKIP_4) | instid1(VALU_DEP_2)
	v_add_f64_e32 v[44:45], v[36:37], v[44:45]
	ds_load_b128 v[34:37], v43 offset:2064
	s_wait_dscnt 0x0
	v_mul_f64_e32 v[48:49], v[36:37], v[28:29]
	v_mul_f64_e32 v[28:29], v[34:35], v[28:29]
	v_fma_f64 v[48:49], v[34:35], v[26:27], -v[48:49]
	s_delay_alu instid0(VALU_DEP_2) | instskip(SKIP_1) | instid1(VALU_DEP_3)
	v_fmac_f64_e32 v[28:29], v[36:37], v[26:27]
	v_mul_f64_e32 v[26:27], v[36:37], v[32:33]
	v_add_f64_e32 v[48:49], v[60:61], v[48:49]
	s_delay_alu instid0(VALU_DEP_3) | instskip(SKIP_1) | instid1(VALU_DEP_4)
	v_add_f64_e32 v[50:51], v[28:29], v[62:63]
	v_mul_f64_e32 v[28:29], v[34:35], v[32:33]
	v_fma_f64 v[26:27], v[34:35], v[30:31], -v[26:27]
	s_delay_alu instid0(VALU_DEP_2) | instskip(NEXT) | instid1(VALU_DEP_2)
	v_fmac_f64_e32 v[28:29], v[36:37], v[30:31]
	v_add_f64_e32 v[40:41], v[40:41], v[26:27]
	s_delay_alu instid0(VALU_DEP_2) | instskip(SKIP_4) | instid1(VALU_DEP_2)
	v_add_f64_e32 v[38:39], v[28:29], v[38:39]
	ds_load_b128 v[26:29], v42 offset:1024
	s_wait_dscnt 0x0
	v_mul_f64_e32 v[30:31], v[54:55], v[28:29]
	v_mul_f64_e32 v[32:33], v[52:53], v[28:29]
	v_fma_f64 v[30:31], v[52:53], v[26:27], -v[30:31]
	s_delay_alu instid0(VALU_DEP_2) | instskip(NEXT) | instid1(VALU_DEP_2)
	v_fmac_f64_e32 v[32:33], v[54:55], v[26:27]
	v_add_f64_e32 v[2:3], v[2:3], v[30:31]
	s_delay_alu instid0(VALU_DEP_2) | instskip(SKIP_4) | instid1(VALU_DEP_2)
	v_add_f64_e32 v[60:61], v[32:33], v[64:65]
	ds_load_b128 v[30:33], v42 offset:1280
	s_wait_dscnt 0x0
	v_mul_f64_e32 v[34:35], v[54:55], v[32:33]
	;; [unrolled: 10-line block ×3, first 2 shown]
	v_mul_f64_e32 v[28:29], v[34:35], v[28:29]
	v_fma_f64 v[52:53], v[34:35], v[26:27], -v[52:53]
	s_delay_alu instid0(VALU_DEP_2) | instskip(SKIP_1) | instid1(VALU_DEP_3)
	v_fmac_f64_e32 v[28:29], v[36:37], v[26:27]
	v_mul_f64_e32 v[26:27], v[36:37], v[32:33]
	v_add_f64_e32 v[48:49], v[48:49], v[52:53]
	s_delay_alu instid0(VALU_DEP_3) | instskip(SKIP_1) | instid1(VALU_DEP_4)
	v_add_f64_e32 v[50:51], v[28:29], v[50:51]
	v_mul_f64_e32 v[28:29], v[34:35], v[32:33]
	v_fma_f64 v[26:27], v[34:35], v[30:31], -v[26:27]
	s_delay_alu instid0(VALU_DEP_2) | instskip(NEXT) | instid1(VALU_DEP_2)
	v_fmac_f64_e32 v[28:29], v[36:37], v[30:31]
	v_add_f64_e32 v[40:41], v[40:41], v[26:27]
	s_delay_alu instid0(VALU_DEP_2) | instskip(SKIP_4) | instid1(VALU_DEP_2)
	v_add_f64_e32 v[38:39], v[28:29], v[38:39]
	ds_load_b128 v[26:29], v42 offset:1536
	s_wait_dscnt 0x0
	v_mul_f64_e32 v[30:31], v[58:59], v[28:29]
	v_mul_f64_e32 v[32:33], v[56:57], v[28:29]
	v_fma_f64 v[30:31], v[56:57], v[26:27], -v[30:31]
	s_delay_alu instid0(VALU_DEP_2) | instskip(NEXT) | instid1(VALU_DEP_2)
	v_fmac_f64_e32 v[32:33], v[58:59], v[26:27]
	v_add_f64_e32 v[2:3], v[2:3], v[30:31]
	s_delay_alu instid0(VALU_DEP_2) | instskip(SKIP_4) | instid1(VALU_DEP_2)
	v_add_f64_e32 v[52:53], v[32:33], v[60:61]
	ds_load_b128 v[30:33], v42 offset:1792
	s_wait_dscnt 0x0
	v_mul_f64_e32 v[34:35], v[58:59], v[32:33]
	;; [unrolled: 10-line block ×3, first 2 shown]
	v_mul_f64_e32 v[28:29], v[34:35], v[28:29]
	v_fma_f64 v[54:55], v[34:35], v[26:27], -v[54:55]
	s_delay_alu instid0(VALU_DEP_2) | instskip(SKIP_1) | instid1(VALU_DEP_3)
	v_fmac_f64_e32 v[28:29], v[36:37], v[26:27]
	v_mul_f64_e32 v[26:27], v[36:37], v[32:33]
	v_add_f64_e32 v[48:49], v[48:49], v[54:55]
	s_delay_alu instid0(VALU_DEP_3) | instskip(SKIP_1) | instid1(VALU_DEP_4)
	v_add_f64_e32 v[50:51], v[28:29], v[50:51]
	v_mul_f64_e32 v[28:29], v[34:35], v[32:33]
	v_fma_f64 v[26:27], v[34:35], v[30:31], -v[26:27]
	s_delay_alu instid0(VALU_DEP_2) | instskip(NEXT) | instid1(VALU_DEP_2)
	v_fmac_f64_e32 v[28:29], v[36:37], v[30:31]
	v_add_f64_e32 v[40:41], v[40:41], v[26:27]
	s_delay_alu instid0(VALU_DEP_2)
	v_add_f64_e32 v[38:39], v[28:29], v[38:39]
	ds_load_b128 v[26:29], v43 offset:64
	ds_load_b128 v[30:33], v42 offset:2048
	s_wait_dscnt 0x0
	v_mul_f64_e32 v[34:35], v[28:29], v[32:33]
	v_mul_f64_e32 v[36:37], v[26:27], v[32:33]
	s_delay_alu instid0(VALU_DEP_2) | instskip(NEXT) | instid1(VALU_DEP_2)
	v_fma_f64 v[34:35], v[26:27], v[30:31], -v[34:35]
	v_fmac_f64_e32 v[36:37], v[28:29], v[30:31]
	s_delay_alu instid0(VALU_DEP_2) | instskip(NEXT) | instid1(VALU_DEP_2)
	v_add_f64_e32 v[2:3], v[2:3], v[34:35]
	v_add_f64_e32 v[52:53], v[36:37], v[52:53]
	ds_load_b128 v[34:37], v42 offset:2304
	s_wait_dscnt 0x0
	v_mul_f64_e32 v[54:55], v[28:29], v[36:37]
	s_delay_alu instid0(VALU_DEP_1) | instskip(SKIP_1) | instid1(VALU_DEP_2)
	v_fma_f64 v[54:55], v[26:27], v[34:35], -v[54:55]
	v_mul_f64_e32 v[26:27], v[26:27], v[36:37]
	v_add_f64_e32 v[46:47], v[46:47], v[54:55]
	s_delay_alu instid0(VALU_DEP_2) | instskip(NEXT) | instid1(VALU_DEP_1)
	v_fmac_f64_e32 v[26:27], v[28:29], v[34:35]
	v_add_f64_e32 v[44:45], v[26:27], v[44:45]
	ds_load_b128 v[26:29], v43 offset:2112
	s_wait_dscnt 0x0
	v_mul_f64_e32 v[54:55], v[28:29], v[32:33]
	v_mul_f64_e32 v[32:33], v[26:27], v[32:33]
	s_delay_alu instid0(VALU_DEP_2) | instskip(NEXT) | instid1(VALU_DEP_2)
	v_fma_f64 v[54:55], v[26:27], v[30:31], -v[54:55]
	v_fmac_f64_e32 v[32:33], v[28:29], v[30:31]
	v_mul_f64_e32 v[30:31], v[28:29], v[36:37]
	s_delay_alu instid0(VALU_DEP_3) | instskip(NEXT) | instid1(VALU_DEP_3)
	v_add_f64_e32 v[48:49], v[48:49], v[54:55]
	v_add_f64_e32 v[50:51], v[32:33], v[50:51]
	s_delay_alu instid0(VALU_DEP_3) | instskip(SKIP_1) | instid1(VALU_DEP_2)
	v_fma_f64 v[30:31], v[26:27], v[34:35], -v[30:31]
	v_mul_f64_e32 v[26:27], v[26:27], v[36:37]
	v_add_f64_e32 v[40:41], v[40:41], v[30:31]
	s_delay_alu instid0(VALU_DEP_2) | instskip(NEXT) | instid1(VALU_DEP_1)
	v_fmac_f64_e32 v[26:27], v[28:29], v[34:35]
	v_add_f64_e32 v[38:39], v[26:27], v[38:39]
	ds_load_b128 v[26:29], v43 offset:80
	ds_load_b128 v[30:33], v42 offset:2560
	s_wait_dscnt 0x0
	v_mul_f64_e32 v[34:35], v[28:29], v[32:33]
	v_mul_f64_e32 v[36:37], v[26:27], v[32:33]
	s_delay_alu instid0(VALU_DEP_2) | instskip(NEXT) | instid1(VALU_DEP_2)
	v_fma_f64 v[34:35], v[26:27], v[30:31], -v[34:35]
	v_fmac_f64_e32 v[36:37], v[28:29], v[30:31]
	s_delay_alu instid0(VALU_DEP_2) | instskip(NEXT) | instid1(VALU_DEP_2)
	v_add_f64_e32 v[2:3], v[2:3], v[34:35]
	v_add_f64_e32 v[52:53], v[36:37], v[52:53]
	ds_load_b128 v[34:37], v42 offset:2816
	s_wait_dscnt 0x0
	v_mul_f64_e32 v[54:55], v[28:29], v[36:37]
	s_delay_alu instid0(VALU_DEP_1) | instskip(SKIP_1) | instid1(VALU_DEP_2)
	v_fma_f64 v[54:55], v[26:27], v[34:35], -v[54:55]
	v_mul_f64_e32 v[26:27], v[26:27], v[36:37]
	v_add_f64_e32 v[46:47], v[46:47], v[54:55]
	s_delay_alu instid0(VALU_DEP_2) | instskip(NEXT) | instid1(VALU_DEP_1)
	v_fmac_f64_e32 v[26:27], v[28:29], v[34:35]
	v_add_f64_e32 v[44:45], v[26:27], v[44:45]
	ds_load_b128 v[26:29], v43 offset:2128
	s_wait_dscnt 0x0
	v_mul_f64_e32 v[54:55], v[28:29], v[32:33]
	v_mul_f64_e32 v[32:33], v[26:27], v[32:33]
	s_delay_alu instid0(VALU_DEP_2) | instskip(NEXT) | instid1(VALU_DEP_2)
	v_fma_f64 v[54:55], v[26:27], v[30:31], -v[54:55]
	v_fmac_f64_e32 v[32:33], v[28:29], v[30:31]
	v_mul_f64_e32 v[30:31], v[28:29], v[36:37]
	s_delay_alu instid0(VALU_DEP_3) | instskip(NEXT) | instid1(VALU_DEP_3)
	v_add_f64_e32 v[48:49], v[48:49], v[54:55]
	v_add_f64_e32 v[50:51], v[32:33], v[50:51]
	s_delay_alu instid0(VALU_DEP_3) | instskip(SKIP_1) | instid1(VALU_DEP_2)
	v_fma_f64 v[30:31], v[26:27], v[34:35], -v[30:31]
	v_mul_f64_e32 v[26:27], v[26:27], v[36:37]
	v_add_f64_e32 v[40:41], v[40:41], v[30:31]
	s_delay_alu instid0(VALU_DEP_2) | instskip(NEXT) | instid1(VALU_DEP_1)
	v_fmac_f64_e32 v[26:27], v[28:29], v[34:35]
	;; [unrolled: 39-line block ×3, first 2 shown]
	v_add_f64_e32 v[56:57], v[26:27], v[38:39]
	ds_load_b128 v[26:29], v43 offset:112
	ds_load_b128 v[30:33], v42 offset:3584
	;; [unrolled: 1-line block ×3, first 2 shown]
	s_wait_dscnt 0x1
	v_mul_f64_e32 v[34:35], v[28:29], v[32:33]
	v_mul_f64_e32 v[36:37], v[26:27], v[32:33]
	s_delay_alu instid0(VALU_DEP_2) | instskip(NEXT) | instid1(VALU_DEP_2)
	v_fma_f64 v[34:35], v[26:27], v[30:31], -v[34:35]
	v_fmac_f64_e32 v[36:37], v[28:29], v[30:31]
	s_delay_alu instid0(VALU_DEP_2) | instskip(NEXT) | instid1(VALU_DEP_2)
	v_add_f64_e32 v[34:35], v[2:3], v[34:35]
	v_add_f64_e32 v[36:37], v[36:37], v[52:53]
	s_wait_dscnt 0x0
	v_mul_f64_e32 v[2:3], v[28:29], v[40:41]
	v_mul_f64_e32 v[52:53], v[26:27], v[40:41]
	s_delay_alu instid0(VALU_DEP_2) | instskip(NEXT) | instid1(VALU_DEP_2)
	v_fma_f64 v[2:3], v[26:27], v[38:39], -v[2:3]
	v_fmac_f64_e32 v[52:53], v[28:29], v[38:39]
	s_delay_alu instid0(VALU_DEP_2) | instskip(NEXT) | instid1(VALU_DEP_2)
	v_add_f64_e32 v[26:27], v[46:47], v[2:3]
	v_add_f64_e32 v[28:29], v[52:53], v[44:45]
	ds_load_b128 v[44:47], v43 offset:2160
	s_wait_dscnt 0x0
	s_barrier_signal -1
	s_barrier_wait -1
	v_mul_f64_e32 v[2:3], v[46:47], v[32:33]
	v_mul_f64_e32 v[32:33], v[44:45], v[32:33]
	s_delay_alu instid0(VALU_DEP_2) | instskip(NEXT) | instid1(VALU_DEP_2)
	v_fma_f64 v[2:3], v[44:45], v[30:31], -v[2:3]
	v_fmac_f64_e32 v[32:33], v[46:47], v[30:31]
	s_delay_alu instid0(VALU_DEP_2) | instskip(SKIP_1) | instid1(VALU_DEP_3)
	v_add_f64_e32 v[30:31], v[48:49], v[2:3]
	v_mul_f64_e32 v[2:3], v[46:47], v[40:41]
	v_add_f64_e32 v[32:33], v[32:33], v[50:51]
	s_delay_alu instid0(VALU_DEP_2) | instskip(SKIP_1) | instid1(VALU_DEP_2)
	v_fma_f64 v[2:3], v[44:45], v[38:39], -v[2:3]
	v_mul_f64_e32 v[44:45], v[44:45], v[40:41]
	v_add_f64_e32 v[40:41], v[54:55], v[2:3]
	s_delay_alu instid0(VALU_DEP_2) | instskip(NEXT) | instid1(VALU_DEP_1)
	v_fmac_f64_e32 v[44:45], v[46:47], v[38:39]
	v_add_f64_e32 v[38:39], v[44:45], v[56:57]
	s_cbranch_vccz .LBB280_21
.LBB280_10:                             ;   Parent Loop BB280_7 Depth=1
                                        ; =>  This Inner Loop Header: Depth=2
	s_mov_b32 s37, 0
	s_mov_b32 s39, s36
	s_and_saveexec_b32 s38, s0
	s_cbranch_execnz .LBB280_18
; %bb.11:                               ;   in Loop: Header=BB280_10 Depth=2
	s_or_b32 exec_lo, exec_lo, s38
	s_and_saveexec_b32 s38, s39
	s_delay_alu instid0(SALU_CYCLE_1)
	s_xor_b32 s38, exec_lo, s38
	s_cbranch_execnz .LBB280_19
.LBB280_12:                             ;   in Loop: Header=BB280_10 Depth=2
	s_or_b32 exec_lo, exec_lo, s38
	s_and_saveexec_b32 s38, s37
	s_cbranch_execz .LBB280_14
.LBB280_13:                             ;   in Loop: Header=BB280_10 Depth=2
	v_mul_u64_e32 v[2:3], s[16:17], v[22:23]
	s_delay_alu instid0(VALU_DEP_1)
	v_lshl_add_u64 v[2:3], v[2:3], 4, v[4:5]
	global_load_b128 v[44:47], v[2:3], off
	s_wait_loadcnt 0x0
	ds_store_2addr_b64 v7, v[44:45], v[46:47] offset1:1
.LBB280_14:                             ;   in Loop: Header=BB280_10 Depth=2
	s_wait_xcnt 0x0
	s_or_b32 exec_lo, exec_lo, s38
	v_add_nc_u32_e32 v0, s2, v6
	s_delay_alu instid0(VALU_DEP_1) | instskip(SKIP_1) | instid1(SALU_CYCLE_1)
	v_cmp_le_u64_e32 vcc_lo, s[8:9], v[0:1]
	s_or_b32 s37, vcc_lo, s21
	s_and_saveexec_b32 s38, s37
	s_delay_alu instid0(SALU_CYCLE_1)
	s_xor_b32 s37, exec_lo, s38
; %bb.15:                               ;   in Loop: Header=BB280_10 Depth=2
	v_dual_mov_b32 v0, v1 :: v_dual_mov_b32 v2, v1
	v_mov_b32_e32 v3, v1
	ds_store_b128 v9, v[0:3]
; %bb.16:                               ;   in Loop: Header=BB280_10 Depth=2
	s_and_not1_saveexec_b32 s37, s37
	s_cbranch_execz .LBB280_9
; %bb.17:                               ;   in Loop: Header=BB280_10 Depth=2
	v_mul_u64_e32 v[2:3], s[22:23], v[0:1]
	s_delay_alu instid0(VALU_DEP_1)
	v_lshl_add_u64 v[2:3], v[2:3], 4, v[24:25]
	global_load_b128 v[44:47], v[2:3], off
	s_wait_loadcnt 0x0
	ds_store_2addr_b64 v9, v[44:45], v[46:47] offset1:1
	s_branch .LBB280_9
.LBB280_18:                             ;   in Loop: Header=BB280_10 Depth=2
	v_add_nc_u32_e32 v0, s2, v8
	s_and_not1_b32 s39, s36, exec_lo
	s_mov_b32 s37, exec_lo
	s_delay_alu instid0(VALU_DEP_1) | instskip(SKIP_2) | instid1(SALU_CYCLE_1)
	v_cmp_le_u64_e32 vcc_lo, s[8:9], v[0:1]
	v_mov_b64_e32 v[22:23], v[0:1]
	s_and_b32 s40, vcc_lo, exec_lo
	s_or_b32 s39, s39, s40
	s_or_b32 exec_lo, exec_lo, s38
	s_and_saveexec_b32 s38, s39
	s_delay_alu instid0(SALU_CYCLE_1)
	s_xor_b32 s38, exec_lo, s38
	s_cbranch_execz .LBB280_12
.LBB280_19:                             ;   in Loop: Header=BB280_10 Depth=2
	v_dual_mov_b32 v0, v1 :: v_dual_mov_b32 v2, v1
	v_mov_b32_e32 v3, v1
	s_and_not1_b32 s37, s37, exec_lo
	ds_store_b128 v7, v[0:3]
	s_or_b32 exec_lo, exec_lo, s38
	s_and_saveexec_b32 s38, s37
	s_cbranch_execnz .LBB280_13
	s_branch .LBB280_14
.LBB280_20:                             ;   in Loop: Header=BB280_7 Depth=1
	v_mov_b64_e32 v[36:37], 0
	v_mov_b64_e32 v[26:27], 0
	;; [unrolled: 1-line block ×7, first 2 shown]
.LBB280_21:                             ;   in Loop: Header=BB280_7 Depth=1
	s_mul_u64 s[2:3], s[6:7], s[34:35]
	s_delay_alu instid0(SALU_CYCLE_1) | instskip(NEXT) | instid1(SALU_CYCLE_1)
	s_lshl_b64 s[2:3], s[2:3], 4
	s_add_nc_u64 s[2:3], s[30:31], s[2:3]
	s_delay_alu instid0(SALU_CYCLE_1)
	v_lshl_add_u64 v[24:25], v[10:11], 4, s[2:3]
	s_and_saveexec_b32 s37, s14
	s_cbranch_execz .LBB280_26
; %bb.22:                               ;   in Loop: Header=BB280_7 Depth=1
	v_mul_f64_e32 v[2:3], s[12:13], v[36:37]
	v_mul_f64_e32 v[4:5], s[10:11], v[36:37]
	s_and_b32 vcc_lo, exec_lo, s5
	s_mov_b32 s38, -1
	s_delay_alu instid0(VALU_DEP_2) | instskip(NEXT) | instid1(VALU_DEP_2)
	v_fma_f64 v[2:3], s[10:11], v[34:35], -v[2:3]
	v_fmac_f64_e32 v[4:5], s[12:13], v[34:35]
	v_lshl_add_u64 v[34:35], v[14:15], 4, v[24:25]
	s_cbranch_vccz .LBB280_24
; %bb.23:                               ;   in Loop: Header=BB280_7 Depth=1
	global_load_b128 v[44:47], v[34:35], off
	s_mov_b32 s38, 0
	s_wait_loadcnt 0x0
	v_mul_f64_e32 v[36:37], s[28:29], v[46:47]
	v_mul_f64_e32 v[46:47], s[26:27], v[46:47]
	s_delay_alu instid0(VALU_DEP_2) | instskip(NEXT) | instid1(VALU_DEP_2)
	v_fma_f64 v[36:37], s[26:27], v[44:45], -v[36:37]
	v_fmac_f64_e32 v[46:47], s[28:29], v[44:45]
	s_delay_alu instid0(VALU_DEP_2) | instskip(NEXT) | instid1(VALU_DEP_2)
	v_add_f64_e32 v[44:45], v[2:3], v[36:37]
	v_add_f64_e32 v[46:47], v[4:5], v[46:47]
	global_store_b128 v[34:35], v[44:47], off
.LBB280_24:                             ;   in Loop: Header=BB280_7 Depth=1
	s_and_not1_b32 vcc_lo, exec_lo, s38
	s_cbranch_vccnz .LBB280_26
; %bb.25:                               ;   in Loop: Header=BB280_7 Depth=1
	global_store_b128 v[34:35], v[2:5], off
.LBB280_26:                             ;   in Loop: Header=BB280_7 Depth=1
	s_wait_xcnt 0x0
	s_or_b32 exec_lo, exec_lo, s37
	s_and_saveexec_b32 s37, s15
	s_cbranch_execz .LBB280_31
; %bb.27:                               ;   in Loop: Header=BB280_7 Depth=1
	v_mul_f64_e32 v[2:3], s[12:13], v[28:29]
	v_mul_f64_e32 v[4:5], s[10:11], v[28:29]
	v_lshl_add_u64 v[24:25], v[20:21], 4, v[24:25]
	s_and_not1_b32 vcc_lo, exec_lo, s5
	s_mov_b32 s38, -1
	s_delay_alu instid0(VALU_DEP_3) | instskip(NEXT) | instid1(VALU_DEP_3)
	v_fma_f64 v[2:3], s[10:11], v[26:27], -v[2:3]
	v_fmac_f64_e32 v[4:5], s[12:13], v[26:27]
	s_cbranch_vccnz .LBB280_29
; %bb.28:                               ;   in Loop: Header=BB280_7 Depth=1
	global_load_b128 v[26:29], v[24:25], off
	s_mov_b32 s38, 0
	s_wait_loadcnt 0x0
	v_mul_f64_e32 v[34:35], s[28:29], v[28:29]
	v_mul_f64_e32 v[28:29], s[26:27], v[28:29]
	s_delay_alu instid0(VALU_DEP_2) | instskip(NEXT) | instid1(VALU_DEP_2)
	v_fma_f64 v[34:35], s[26:27], v[26:27], -v[34:35]
	v_fmac_f64_e32 v[28:29], s[28:29], v[26:27]
	s_delay_alu instid0(VALU_DEP_2) | instskip(NEXT) | instid1(VALU_DEP_2)
	v_add_f64_e32 v[26:27], v[2:3], v[34:35]
	v_add_f64_e32 v[28:29], v[4:5], v[28:29]
	global_store_b128 v[24:25], v[26:29], off
.LBB280_29:                             ;   in Loop: Header=BB280_7 Depth=1
	s_and_not1_b32 vcc_lo, exec_lo, s38
	s_cbranch_vccnz .LBB280_31
; %bb.30:                               ;   in Loop: Header=BB280_7 Depth=1
	global_store_b128 v[24:25], v[2:5], off
.LBB280_31:                             ;   in Loop: Header=BB280_7 Depth=1
	s_wait_xcnt 0x0
	s_or_b32 exec_lo, exec_lo, s37
	v_lshl_add_u64 v[24:25], v[12:13], 4, s[2:3]
	s_and_saveexec_b32 s2, s1
	s_cbranch_execz .LBB280_36
; %bb.32:                               ;   in Loop: Header=BB280_7 Depth=1
	v_mul_f64_e32 v[2:3], s[12:13], v[32:33]
	v_mul_f64_e32 v[4:5], s[10:11], v[32:33]
	v_lshl_add_u64 v[26:27], v[14:15], 4, v[24:25]
	s_and_not1_b32 vcc_lo, exec_lo, s5
	s_mov_b32 s3, -1
	s_delay_alu instid0(VALU_DEP_3) | instskip(NEXT) | instid1(VALU_DEP_3)
	v_fma_f64 v[2:3], s[10:11], v[30:31], -v[2:3]
	v_fmac_f64_e32 v[4:5], s[12:13], v[30:31]
	s_cbranch_vccnz .LBB280_34
; %bb.33:                               ;   in Loop: Header=BB280_7 Depth=1
	global_load_b128 v[28:31], v[26:27], off
	s_mov_b32 s3, 0
	s_wait_loadcnt 0x0
	v_mul_f64_e32 v[32:33], s[28:29], v[30:31]
	v_mul_f64_e32 v[30:31], s[26:27], v[30:31]
	s_delay_alu instid0(VALU_DEP_2) | instskip(NEXT) | instid1(VALU_DEP_2)
	v_fma_f64 v[32:33], s[26:27], v[28:29], -v[32:33]
	v_fmac_f64_e32 v[30:31], s[28:29], v[28:29]
	s_delay_alu instid0(VALU_DEP_2) | instskip(NEXT) | instid1(VALU_DEP_2)
	v_add_f64_e32 v[28:29], v[2:3], v[32:33]
	v_add_f64_e32 v[30:31], v[4:5], v[30:31]
	global_store_b128 v[26:27], v[28:31], off
.LBB280_34:                             ;   in Loop: Header=BB280_7 Depth=1
	s_and_not1_b32 vcc_lo, exec_lo, s3
	s_cbranch_vccnz .LBB280_36
; %bb.35:                               ;   in Loop: Header=BB280_7 Depth=1
	global_store_b128 v[26:27], v[2:5], off
.LBB280_36:                             ;   in Loop: Header=BB280_7 Depth=1
	s_wait_xcnt 0x0
	s_or_b32 exec_lo, exec_lo, s2
	s_and_saveexec_b32 s2, s4
	s_cbranch_execz .LBB280_6
; %bb.37:                               ;   in Loop: Header=BB280_7 Depth=1
	s_delay_alu instid0(VALU_DEP_3) | instskip(SKIP_4) | instid1(VALU_DEP_3)
	v_mul_f64_e32 v[2:3], s[12:13], v[38:39]
	v_mul_f64_e32 v[4:5], s[10:11], v[38:39]
	v_lshl_add_u64 v[24:25], v[20:21], 4, v[24:25]
	s_and_not1_b32 vcc_lo, exec_lo, s5
	s_mov_b32 s3, -1
	v_fma_f64 v[2:3], s[10:11], v[40:41], -v[2:3]
	s_delay_alu instid0(VALU_DEP_3)
	v_fmac_f64_e32 v[4:5], s[12:13], v[40:41]
	s_cbranch_vccnz .LBB280_39
; %bb.38:                               ;   in Loop: Header=BB280_7 Depth=1
	global_load_b128 v[26:29], v[24:25], off
	s_mov_b32 s3, 0
	s_wait_loadcnt 0x0
	v_mul_f64_e32 v[30:31], s[28:29], v[28:29]
	v_mul_f64_e32 v[28:29], s[26:27], v[28:29]
	s_delay_alu instid0(VALU_DEP_2) | instskip(NEXT) | instid1(VALU_DEP_2)
	v_fma_f64 v[30:31], s[26:27], v[26:27], -v[30:31]
	v_fmac_f64_e32 v[28:29], s[28:29], v[26:27]
	s_delay_alu instid0(VALU_DEP_2) | instskip(NEXT) | instid1(VALU_DEP_2)
	v_add_f64_e32 v[26:27], v[2:3], v[30:31]
	v_add_f64_e32 v[28:29], v[4:5], v[28:29]
	global_store_b128 v[24:25], v[26:29], off
.LBB280_39:                             ;   in Loop: Header=BB280_7 Depth=1
	s_and_not1_b32 vcc_lo, exec_lo, s3
	s_cbranch_vccnz .LBB280_6
; %bb.40:                               ;   in Loop: Header=BB280_7 Depth=1
	global_store_b128 v[24:25], v[2:5], off
	s_branch .LBB280_6
.LBB280_41:
.LBB280_42:
	s_sendmsg sendmsg(MSG_DEALLOC_VGPRS)
	s_endpgm
	.section	.rodata,"a",@progbits
	.p2align	6, 0x0
	.amdhsa_kernel _ZL29rocblas_internal_gemmt_kernelIlLi16ELi32ELi8ELc78ELc84ELc76ELb0ELb0E19rocblas_complex_numIdES1_PKS1_PS1_EviT_T9_T10_S5_lS7_S5_lS6_T11_S5_li
		.amdhsa_group_segment_fixed_size 8192
		.amdhsa_private_segment_fixed_size 0
		.amdhsa_kernarg_size 124
		.amdhsa_user_sgpr_count 2
		.amdhsa_user_sgpr_dispatch_ptr 0
		.amdhsa_user_sgpr_queue_ptr 0
		.amdhsa_user_sgpr_kernarg_segment_ptr 1
		.amdhsa_user_sgpr_dispatch_id 0
		.amdhsa_user_sgpr_kernarg_preload_length 0
		.amdhsa_user_sgpr_kernarg_preload_offset 0
		.amdhsa_user_sgpr_private_segment_size 0
		.amdhsa_wavefront_size32 1
		.amdhsa_uses_dynamic_stack 0
		.amdhsa_enable_private_segment 0
		.amdhsa_system_sgpr_workgroup_id_x 1
		.amdhsa_system_sgpr_workgroup_id_y 1
		.amdhsa_system_sgpr_workgroup_id_z 1
		.amdhsa_system_sgpr_workgroup_info 0
		.amdhsa_system_vgpr_workitem_id 1
		.amdhsa_next_free_vgpr 68
		.amdhsa_next_free_sgpr 42
		.amdhsa_named_barrier_count 0
		.amdhsa_reserve_vcc 1
		.amdhsa_float_round_mode_32 0
		.amdhsa_float_round_mode_16_64 0
		.amdhsa_float_denorm_mode_32 3
		.amdhsa_float_denorm_mode_16_64 3
		.amdhsa_fp16_overflow 0
		.amdhsa_memory_ordered 1
		.amdhsa_forward_progress 1
		.amdhsa_inst_pref_size 26
		.amdhsa_round_robin_scheduling 0
		.amdhsa_exception_fp_ieee_invalid_op 0
		.amdhsa_exception_fp_denorm_src 0
		.amdhsa_exception_fp_ieee_div_zero 0
		.amdhsa_exception_fp_ieee_overflow 0
		.amdhsa_exception_fp_ieee_underflow 0
		.amdhsa_exception_fp_ieee_inexact 0
		.amdhsa_exception_int_div_zero 0
	.end_amdhsa_kernel
	.section	.text._ZL29rocblas_internal_gemmt_kernelIlLi16ELi32ELi8ELc78ELc84ELc76ELb0ELb0E19rocblas_complex_numIdES1_PKS1_PS1_EviT_T9_T10_S5_lS7_S5_lS6_T11_S5_li,"axG",@progbits,_ZL29rocblas_internal_gemmt_kernelIlLi16ELi32ELi8ELc78ELc84ELc76ELb0ELb0E19rocblas_complex_numIdES1_PKS1_PS1_EviT_T9_T10_S5_lS7_S5_lS6_T11_S5_li,comdat
.Lfunc_end280:
	.size	_ZL29rocblas_internal_gemmt_kernelIlLi16ELi32ELi8ELc78ELc84ELc76ELb0ELb0E19rocblas_complex_numIdES1_PKS1_PS1_EviT_T9_T10_S5_lS7_S5_lS6_T11_S5_li, .Lfunc_end280-_ZL29rocblas_internal_gemmt_kernelIlLi16ELi32ELi8ELc78ELc84ELc76ELb0ELb0E19rocblas_complex_numIdES1_PKS1_PS1_EviT_T9_T10_S5_lS7_S5_lS6_T11_S5_li
                                        ; -- End function
	.set _ZL29rocblas_internal_gemmt_kernelIlLi16ELi32ELi8ELc78ELc84ELc76ELb0ELb0E19rocblas_complex_numIdES1_PKS1_PS1_EviT_T9_T10_S5_lS7_S5_lS6_T11_S5_li.num_vgpr, 68
	.set _ZL29rocblas_internal_gemmt_kernelIlLi16ELi32ELi8ELc78ELc84ELc76ELb0ELb0E19rocblas_complex_numIdES1_PKS1_PS1_EviT_T9_T10_S5_lS7_S5_lS6_T11_S5_li.num_agpr, 0
	.set _ZL29rocblas_internal_gemmt_kernelIlLi16ELi32ELi8ELc78ELc84ELc76ELb0ELb0E19rocblas_complex_numIdES1_PKS1_PS1_EviT_T9_T10_S5_lS7_S5_lS6_T11_S5_li.numbered_sgpr, 42
	.set _ZL29rocblas_internal_gemmt_kernelIlLi16ELi32ELi8ELc78ELc84ELc76ELb0ELb0E19rocblas_complex_numIdES1_PKS1_PS1_EviT_T9_T10_S5_lS7_S5_lS6_T11_S5_li.num_named_barrier, 0
	.set _ZL29rocblas_internal_gemmt_kernelIlLi16ELi32ELi8ELc78ELc84ELc76ELb0ELb0E19rocblas_complex_numIdES1_PKS1_PS1_EviT_T9_T10_S5_lS7_S5_lS6_T11_S5_li.private_seg_size, 0
	.set _ZL29rocblas_internal_gemmt_kernelIlLi16ELi32ELi8ELc78ELc84ELc76ELb0ELb0E19rocblas_complex_numIdES1_PKS1_PS1_EviT_T9_T10_S5_lS7_S5_lS6_T11_S5_li.uses_vcc, 1
	.set _ZL29rocblas_internal_gemmt_kernelIlLi16ELi32ELi8ELc78ELc84ELc76ELb0ELb0E19rocblas_complex_numIdES1_PKS1_PS1_EviT_T9_T10_S5_lS7_S5_lS6_T11_S5_li.uses_flat_scratch, 0
	.set _ZL29rocblas_internal_gemmt_kernelIlLi16ELi32ELi8ELc78ELc84ELc76ELb0ELb0E19rocblas_complex_numIdES1_PKS1_PS1_EviT_T9_T10_S5_lS7_S5_lS6_T11_S5_li.has_dyn_sized_stack, 0
	.set _ZL29rocblas_internal_gemmt_kernelIlLi16ELi32ELi8ELc78ELc84ELc76ELb0ELb0E19rocblas_complex_numIdES1_PKS1_PS1_EviT_T9_T10_S5_lS7_S5_lS6_T11_S5_li.has_recursion, 0
	.set _ZL29rocblas_internal_gemmt_kernelIlLi16ELi32ELi8ELc78ELc84ELc76ELb0ELb0E19rocblas_complex_numIdES1_PKS1_PS1_EviT_T9_T10_S5_lS7_S5_lS6_T11_S5_li.has_indirect_call, 0
	.section	.AMDGPU.csdata,"",@progbits
; Kernel info:
; codeLenInByte = 3240
; TotalNumSgprs: 44
; NumVgprs: 68
; ScratchSize: 0
; MemoryBound: 0
; FloatMode: 240
; IeeeMode: 1
; LDSByteSize: 8192 bytes/workgroup (compile time only)
; SGPRBlocks: 0
; VGPRBlocks: 4
; NumSGPRsForWavesPerEU: 44
; NumVGPRsForWavesPerEU: 68
; NamedBarCnt: 0
; Occupancy: 12
; WaveLimiterHint : 0
; COMPUTE_PGM_RSRC2:SCRATCH_EN: 0
; COMPUTE_PGM_RSRC2:USER_SGPR: 2
; COMPUTE_PGM_RSRC2:TRAP_HANDLER: 0
; COMPUTE_PGM_RSRC2:TGID_X_EN: 1
; COMPUTE_PGM_RSRC2:TGID_Y_EN: 1
; COMPUTE_PGM_RSRC2:TGID_Z_EN: 1
; COMPUTE_PGM_RSRC2:TIDIG_COMP_CNT: 1
	.section	.text._ZL29rocblas_internal_gemmt_kernelIlLi16ELi32ELi8ELc78ELc67ELc76ELb0ELb1E19rocblas_complex_numIdES1_PKS1_PS1_EviT_T9_T10_S5_lS7_S5_lS6_T11_S5_li,"axG",@progbits,_ZL29rocblas_internal_gemmt_kernelIlLi16ELi32ELi8ELc78ELc67ELc76ELb0ELb1E19rocblas_complex_numIdES1_PKS1_PS1_EviT_T9_T10_S5_lS7_S5_lS6_T11_S5_li,comdat
	.globl	_ZL29rocblas_internal_gemmt_kernelIlLi16ELi32ELi8ELc78ELc67ELc76ELb0ELb1E19rocblas_complex_numIdES1_PKS1_PS1_EviT_T9_T10_S5_lS7_S5_lS6_T11_S5_li ; -- Begin function _ZL29rocblas_internal_gemmt_kernelIlLi16ELi32ELi8ELc78ELc67ELc76ELb0ELb1E19rocblas_complex_numIdES1_PKS1_PS1_EviT_T9_T10_S5_lS7_S5_lS6_T11_S5_li
	.p2align	8
	.type	_ZL29rocblas_internal_gemmt_kernelIlLi16ELi32ELi8ELc78ELc67ELc76ELb0ELb1E19rocblas_complex_numIdES1_PKS1_PS1_EviT_T9_T10_S5_lS7_S5_lS6_T11_S5_li,@function
_ZL29rocblas_internal_gemmt_kernelIlLi16ELi32ELi8ELc78ELc67ELc76ELb0ELb1E19rocblas_complex_numIdES1_PKS1_PS1_EviT_T9_T10_S5_lS7_S5_lS6_T11_S5_li: ; @_ZL29rocblas_internal_gemmt_kernelIlLi16ELi32ELi8ELc78ELc67ELc76ELb0ELb1E19rocblas_complex_numIdES1_PKS1_PS1_EviT_T9_T10_S5_lS7_S5_lS6_T11_S5_li
; %bb.0:
	s_clause 0x1
	s_load_b256 s[24:31], s[0:1], 0x48
	s_load_b512 s[8:23], s[0:1], 0x8
	s_wait_kmcnt 0x0
	v_cmp_eq_f64_e64 s2, s[26:27], 1.0
	v_cmp_eq_f64_e64 s3, s[28:29], 0
	s_and_b32 s2, s2, s3
	s_delay_alu instid0(SALU_CYCLE_1)
	s_and_not1_b32 vcc_lo, exec_lo, s2
	s_mov_b32 s2, -1
	s_cbranch_vccnz .LBB281_3
; %bb.1:
	s_cmp_lg_u64 s[8:9], 0
	s_cbranch_scc0 .LBB281_39
; %bb.2:
	v_cmp_neq_f64_e64 s2, s[10:11], 0
	v_cmp_neq_f64_e64 s4, s[12:13], 0
	s_or_b32 s2, s2, s4
.LBB281_3:
	s_delay_alu instid0(SALU_CYCLE_1)
	s_and_b32 vcc_lo, exec_lo, s2
	s_cbranch_vccz .LBB281_40
; %bb.4:
	s_load_b32 s33, s[0:1], 0x78
	s_bfe_u32 s2, ttmp6, 0x40014
	s_lshr_b32 s4, ttmp7, 16
	s_add_co_i32 s2, s2, 1
	s_bfe_u32 s6, ttmp6, 0x40008
	s_mul_i32 s5, s4, s2
	s_getreg_b32 s2, hwreg(HW_REG_IB_STS2, 6, 4)
	s_add_co_i32 s6, s6, s5
	s_cmp_eq_u32 s2, 0
	s_mov_b32 s35, 0
	s_cselect_b32 s34, s4, s6
	s_wait_kmcnt 0x0
	s_cmp_ge_u32 s34, s33
	s_cbranch_scc1 .LBB281_40
; %bb.5:
	s_clause 0x1
	s_load_b128 s[4:7], s[0:1], 0x68
	s_load_b32 s38, s[0:1], 0x0
	s_wait_xcnt 0x0
	s_bfe_u32 s1, ttmp6, 0x4000c
	s_bfe_u32 s40, ttmp6, 0x40010
	s_and_b32 s39, ttmp7, 0xffff
	s_add_co_i32 s1, s1, 1
	s_add_co_i32 s40, s40, 1
	s_and_b32 s0, ttmp6, 15
	s_bfe_u32 s41, ttmp6, 0x40004
	s_mul_i32 s1, ttmp9, s1
	s_mul_i32 s40, s39, s40
	s_add_co_i32 s0, s0, s1
	s_add_co_i32 s41, s41, s40
	s_cmp_eq_u32 s2, 0
	v_and_b32_e32 v17, 0x3ff, v0
	v_bfe_u32 v21, v0, 10, 10
	s_cselect_b32 s1, s39, s41
	s_cselect_b32 s0, ttmp9, s0
	s_lshl_b32 s1, s1, 5
	s_delay_alu instid0(VALU_DEP_1) | instid1(SALU_CYCLE_1)
	v_dual_add_nc_u32 v0, s1, v21 :: v_dual_bitop2_b32 v6, 7, v0 bitop3:0x40
	v_lshl_add_u32 v1, v21, 4, v17
	v_cmp_neq_f64_e64 s40, s[26:27], 0
	v_cmp_neq_f64_e64 s36, s[10:11], 0
	;; [unrolled: 1-line block ×3, first 2 shown]
	s_lshl_b32 s2, s0, 5
	v_dual_lshrrev_b32 v9, 3, v1 :: v_dual_bitop2_b32 v3, 31, v1 bitop3:0x40
	v_dual_add_nc_u32 v4, 16, v0 :: v_dual_lshrrev_b32 v8, 5, v1
	s_delay_alu instid0(VALU_DEP_2) | instskip(NEXT) | instid1(VALU_DEP_2)
	v_dual_ashrrev_i32 v1, 31, v0 :: v_dual_lshlrev_b32 v7, 4, v3
	v_dual_add_nc_u32 v18, s1, v9 :: v_dual_ashrrev_i32 v5, 31, v4
	v_lshlrev_b32_e32 v14, 4, v6
	s_wait_kmcnt 0x0
	s_delay_alu instid0(VALU_DEP_3) | instskip(SKIP_4) | instid1(VALU_DEP_4)
	v_mul_u64_e32 v[10:11], s[4:5], v[0:1]
	v_dual_add_nc_u32 v16, s2, v17 :: v_dual_bitop2_b32 v2, s2, v3 bitop3:0x54
	v_mul_u64_e32 v[12:13], s[4:5], v[4:5]
	v_lshl_or_b32 v1, v9, 7, v14
	v_dual_ashrrev_i32 v19, 31, v18 :: v_dual_lshlrev_b32 v44, 4, v17
	v_ashrrev_i32_e32 v3, 31, v2
	v_cmp_le_i32_e32 vcc_lo, v0, v16
	v_cmp_gt_i32_e64 s2, s38, v16
	v_dual_add_nc_u32 v20, 16, v16 :: v_dual_ashrrev_i32 v17, 31, v16
	v_cmp_gt_i64_e64 s39, s[8:9], 0
	s_xor_b32 s3, s3, -1
	v_lshl_add_u64 v[14:15], v[2:3], 4, s[14:15]
	s_and_b32 s15, vcc_lo, s2
	v_cmp_le_i32_e32 vcc_lo, v0, v20
	v_cmp_le_i32_e64 s4, v4, v16
	v_cmp_le_i32_e64 s5, v4, v20
	s_or_b32 s14, s40, s3
	v_cmp_gt_i32_e64 s3, s38, v20
	s_or_b32 s37, s36, s37
	v_cmp_gt_i32_e64 s0, s38, v2
	v_cmp_le_i32_e64 s36, s38, v2
	v_lshl_or_b32 v7, v8, 9, v7
	v_cmp_gt_i32_e64 s1, s38, v18
	v_add_nc_u32_e32 v9, 0x1000, v1
	v_lshl_add_u64 v[18:19], v[18:19], 4, s[20:21]
	v_lshl_add_u32 v45, v21, 7, 0x1000
	v_dual_ashrrev_i32 v21, 31, v20 :: v_dual_mov_b32 v1, 0
	s_and_b32 s20, s37, s39
	s_and_b32 s21, vcc_lo, s3
	s_and_b32 s4, s4, s2
	s_and_b32 s5, s5, s3
                                        ; implicit-def: $vgpr22_vgpr23
	s_branch .LBB281_7
.LBB281_6:                              ;   in Loop: Header=BB281_7 Depth=1
	s_wait_xcnt 0x0
	s_or_b32 exec_lo, exec_lo, s2
	s_add_co_i32 s34, s34, 0x10000
	s_delay_alu instid0(SALU_CYCLE_1)
	s_cmp_lt_u32 s34, s33
	s_cbranch_scc0 .LBB281_40
.LBB281_7:                              ; =>This Loop Header: Depth=1
                                        ;     Child Loop BB281_10 Depth 2
	v_mov_b64_e32 v[40:41], 0
	s_and_not1_b32 vcc_lo, exec_lo, s20
	s_cbranch_vccnz .LBB281_18
; %bb.8:                                ;   in Loop: Header=BB281_7 Depth=1
	s_mul_u64 s[2:3], s[24:25], s[34:35]
	s_mul_u64 s[38:39], s[18:19], s[34:35]
	v_mov_b64_e32 v[24:25], 0
	v_mov_b64_e32 v[26:27], 0
	;; [unrolled: 1-line block ×8, first 2 shown]
	v_lshl_add_u64 v[28:29], s[38:39], 4, v[14:15]
	v_lshl_add_u64 v[30:31], s[2:3], 4, v[18:19]
	s_mov_b64 s[2:3], 0
	s_branch .LBB281_10
.LBB281_9:                              ;   in Loop: Header=BB281_10 Depth=2
	s_wait_xcnt 0x0
	s_or_b32 exec_lo, exec_lo, s37
	ds_store_b128 v9, v[2:5]
	s_wait_dscnt 0x0
	s_barrier_signal -1
	s_barrier_wait -1
	ds_load_b128 v[2:5], v45
	ds_load_b128 v[46:49], v44
	ds_load_b128 v[50:53], v44 offset:256
	ds_load_b128 v[54:57], v45 offset:2048
	;; [unrolled: 1-line block ×10, first 2 shown]
	s_add_nc_u64 s[2:3], s[2:3], 8
	s_delay_alu instid0(SALU_CYCLE_1)
	v_cmp_gt_i64_e64 s37, s[8:9], s[2:3]
	s_and_b32 vcc_lo, exec_lo, s37
	s_wait_dscnt 0xa
	v_mul_f64_e32 v[90:91], v[4:5], v[48:49]
	v_mul_f64_e32 v[92:93], v[2:3], v[48:49]
	s_wait_dscnt 0x9
	v_mul_f64_e32 v[94:95], v[4:5], v[52:53]
	v_mul_f64_e32 v[96:97], v[2:3], v[52:53]
	s_wait_dscnt 0x8
	v_mul_f64_e32 v[98:99], v[56:57], v[48:49]
	v_mul_f64_e32 v[100:101], v[54:55], v[48:49]
	v_mul_f64_e32 v[48:49], v[56:57], v[52:53]
	v_mul_f64_e32 v[102:103], v[54:55], v[52:53]
	s_wait_dscnt 0x6
	v_mul_f64_e32 v[104:105], v[60:61], v[64:65]
	v_mul_f64_e32 v[106:107], v[58:59], v[64:65]
	s_wait_dscnt 0x5
	v_mul_f64_e32 v[108:109], v[60:61], v[68:69]
	v_mul_f64_e32 v[110:111], v[58:59], v[68:69]
	s_wait_dscnt 0x4
	v_mul_f64_e32 v[112:113], v[72:73], v[64:65]
	v_mul_f64_e32 v[64:65], v[70:71], v[64:65]
	v_mul_f64_e32 v[114:115], v[72:73], v[68:69]
	v_mul_f64_e32 v[68:69], v[70:71], v[68:69]
	s_wait_dscnt 0x2
	v_mul_f64_e32 v[118:119], v[76:77], v[80:81]
	v_mul_f64_e32 v[120:121], v[74:75], v[80:81]
	s_wait_dscnt 0x1
	v_mul_f64_e32 v[122:123], v[76:77], v[84:85]
	v_mul_f64_e32 v[124:125], v[74:75], v[84:85]
	s_wait_dscnt 0x0
	v_mul_f64_e32 v[126:127], v[88:89], v[80:81]
	v_mul_f64_e32 v[80:81], v[86:87], v[80:81]
	v_mul_f64_e32 v[128:129], v[88:89], v[84:85]
	v_mul_f64_e32 v[84:85], v[86:87], v[84:85]
	v_fma_f64 v[90:91], v[2:3], v[46:47], -v[90:91]
	v_fmac_f64_e32 v[92:93], v[4:5], v[46:47]
	v_fma_f64 v[94:95], v[2:3], v[50:51], -v[94:95]
	v_fmac_f64_e32 v[96:97], v[4:5], v[50:51]
	;; [unrolled: 2-line block ×8, first 2 shown]
	ds_load_b128 v[2:5], v45 offset:48
	ds_load_b128 v[46:49], v45 offset:2096
	;; [unrolled: 1-line block ×4, first 2 shown]
	v_fma_f64 v[118:119], v[74:75], v[78:79], -v[118:119]
	v_fmac_f64_e32 v[120:121], v[76:77], v[78:79]
	v_fma_f64 v[74:75], v[74:75], v[82:83], -v[122:123]
	v_fmac_f64_e32 v[124:125], v[76:77], v[82:83]
	;; [unrolled: 2-line block ×4, first 2 shown]
	v_add_f64_e32 v[66:67], v[40:41], v[90:91]
	v_add_f64_e32 v[70:71], v[92:93], v[42:43]
	;; [unrolled: 1-line block ×8, first 2 shown]
	s_wait_dscnt 0x1
	v_mul_f64_e32 v[100:101], v[4:5], v[52:53]
	v_mul_f64_e32 v[102:103], v[2:3], v[52:53]
	s_wait_dscnt 0x0
	v_mul_f64_e32 v[108:109], v[4:5], v[56:57]
	v_mul_f64_e32 v[112:113], v[2:3], v[56:57]
	;; [unrolled: 1-line block ×6, first 2 shown]
	ds_load_b128 v[24:27], v45 offset:64
	ds_load_b128 v[32:35], v44 offset:2048
	;; [unrolled: 1-line block ×4, first 2 shown]
	v_add_f64_e32 v[82:83], v[66:67], v[104:105]
	v_add_f64_e32 v[86:87], v[106:107], v[70:71]
	;; [unrolled: 1-line block ×8, first 2 shown]
	s_wait_dscnt 0x2
	v_mul_f64_e32 v[98:99], v[26:27], v[34:35]
	v_mul_f64_e32 v[104:105], v[24:25], v[34:35]
	s_wait_dscnt 0x1
	v_mul_f64_e32 v[106:107], v[26:27], v[38:39]
	v_mul_f64_e32 v[110:111], v[24:25], v[38:39]
	;; [unrolled: 3-line block ×3, first 2 shown]
	v_mul_f64_e32 v[34:35], v[42:43], v[38:39]
	v_mul_f64_e32 v[128:129], v[40:41], v[38:39]
	v_fma_f64 v[38:39], v[2:3], v[50:51], -v[100:101]
	v_fmac_f64_e32 v[102:103], v[4:5], v[50:51]
	v_fma_f64 v[100:101], v[2:3], v[54:55], -v[108:109]
	v_fmac_f64_e32 v[112:113], v[4:5], v[54:55]
	v_fma_f64 v[108:109], v[46:47], v[50:51], -v[114:115]
	v_fmac_f64_e32 v[116:117], v[48:49], v[50:51]
	v_fma_f64 v[114:115], v[46:47], v[54:55], -v[52:53]
	v_fmac_f64_e32 v[130:131], v[48:49], v[54:55]
	ds_load_b128 v[56:59], v45 offset:80
	ds_load_b128 v[60:63], v45 offset:2128
	;; [unrolled: 1-line block ×4, first 2 shown]
	v_add_f64_e32 v[54:55], v[82:83], v[118:119]
	v_add_f64_e32 v[82:83], v[120:121], v[86:87]
	v_add_f64_e32 v[86:87], v[72:73], v[74:75]
	v_add_f64_e32 v[88:89], v[124:125], v[88:89]
	v_add_f64_e32 v[76:77], v[90:91], v[76:77]
	v_add_f64_e32 v[80:81], v[80:81], v[92:93]
	v_add_f64_e32 v[78:79], v[94:95], v[78:79]
	v_add_f64_e32 v[84:85], v[84:85], v[96:97]
	v_fma_f64 v[98:99], v[24:25], v[32:33], -v[98:99]
	v_fmac_f64_e32 v[104:105], v[26:27], v[32:33]
	v_fma_f64 v[106:107], v[24:25], v[36:37], -v[106:107]
	s_wait_dscnt 0x1
	v_mul_f64_e32 v[90:91], v[58:59], v[66:67]
	v_mul_f64_e32 v[92:93], v[56:57], v[66:67]
	s_wait_dscnt 0x0
	v_mul_f64_e32 v[94:95], v[58:59], v[70:71]
	v_mul_f64_e32 v[96:97], v[56:57], v[70:71]
	;; [unrolled: 1-line block ×6, first 2 shown]
	v_fmac_f64_e32 v[110:111], v[26:27], v[36:37]
	v_fma_f64 v[122:123], v[40:41], v[32:33], -v[122:123]
	v_fmac_f64_e32 v[126:127], v[42:43], v[32:33]
	v_fma_f64 v[124:125], v[40:41], v[36:37], -v[34:35]
	v_fmac_f64_e32 v[128:129], v[42:43], v[36:37]
	ds_load_b128 v[2:5], v45 offset:96
	ds_load_b128 v[46:49], v44 offset:3072
	;; [unrolled: 1-line block ×4, first 2 shown]
	v_add_f64_e32 v[54:55], v[54:55], v[38:39]
	v_add_f64_e32 v[82:83], v[102:103], v[82:83]
	v_add_f64_e32 v[86:87], v[86:87], v[100:101]
	v_add_f64_e32 v[88:89], v[112:113], v[88:89]
	v_add_f64_e32 v[76:77], v[76:77], v[108:109]
	v_add_f64_e32 v[80:81], v[116:117], v[80:81]
	v_add_f64_e32 v[78:79], v[78:79], v[114:115]
	v_add_f64_e32 v[84:85], v[130:131], v[84:85]
	ds_load_b128 v[24:27], v45 offset:112
	ds_load_b128 v[32:35], v45 offset:2160
	;; [unrolled: 1-line block ×4, first 2 shown]
	s_wait_dscnt 0x0
	v_mul_f64_e32 v[100:101], v[4:5], v[48:49]
	v_mul_f64_e32 v[102:103], v[2:3], v[48:49]
	;; [unrolled: 1-line block ×8, first 2 shown]
	v_fma_f64 v[90:91], v[56:57], v[64:65], -v[90:91]
	v_fmac_f64_e32 v[92:93], v[58:59], v[64:65]
	v_fma_f64 v[56:57], v[56:57], v[68:69], -v[94:95]
	v_fmac_f64_e32 v[96:97], v[58:59], v[68:69]
	;; [unrolled: 2-line block ×4, first 2 shown]
	s_barrier_signal -1
	s_barrier_wait -1
	v_mul_f64_e32 v[94:95], v[24:25], v[42:43]
	v_add_f64_e32 v[54:55], v[54:55], v[98:99]
	v_add_f64_e32 v[62:63], v[104:105], v[82:83]
	;; [unrolled: 1-line block ×8, first 2 shown]
	v_mul_f64_e32 v[84:85], v[26:27], v[38:39]
	v_mul_f64_e32 v[86:87], v[24:25], v[38:39]
	;; [unrolled: 1-line block ×7, first 2 shown]
	v_fma_f64 v[42:43], v[2:3], v[46:47], -v[100:101]
	v_fmac_f64_e32 v[102:103], v[4:5], v[46:47]
	v_fma_f64 v[2:3], v[2:3], v[50:51], -v[108:109]
	v_fmac_f64_e32 v[112:113], v[4:5], v[50:51]
	;; [unrolled: 2-line block ×4, first 2 shown]
	v_fmac_f64_e32 v[94:95], v[26:27], v[40:41]
	v_add_f64_e32 v[50:51], v[54:55], v[90:91]
	v_add_f64_e32 v[54:55], v[92:93], v[62:63]
	;; [unrolled: 1-line block ×8, first 2 shown]
	v_fma_f64 v[68:69], v[24:25], v[36:37], -v[84:85]
	v_fmac_f64_e32 v[86:87], v[26:27], v[36:37]
	v_fma_f64 v[24:25], v[24:25], v[40:41], -v[88:89]
	v_fma_f64 v[26:27], v[32:33], v[36:37], -v[98:99]
	v_fmac_f64_e32 v[104:105], v[34:35], v[36:37]
	v_fma_f64 v[70:71], v[32:33], v[40:41], -v[38:39]
	v_fmac_f64_e32 v[106:107], v[34:35], v[40:41]
	v_add_f64_e32 v[32:33], v[50:51], v[42:43]
	v_add_f64_e32 v[34:35], v[102:103], v[54:55]
	;; [unrolled: 1-line block ×16, first 2 shown]
	s_cbranch_vccz .LBB281_19
.LBB281_10:                             ;   Parent Loop BB281_7 Depth=1
                                        ; =>  This Inner Loop Header: Depth=2
	s_mov_b32 s37, 0
	s_mov_b32 s39, s36
	s_and_saveexec_b32 s38, s0
	s_cbranch_execnz .LBB281_16
; %bb.11:                               ;   in Loop: Header=BB281_10 Depth=2
	s_or_b32 exec_lo, exec_lo, s38
	s_and_saveexec_b32 s38, s39
	s_delay_alu instid0(SALU_CYCLE_1)
	s_xor_b32 s38, exec_lo, s38
	s_cbranch_execnz .LBB281_17
.LBB281_12:                             ;   in Loop: Header=BB281_10 Depth=2
	s_or_b32 exec_lo, exec_lo, s38
	s_and_saveexec_b32 s38, s37
	s_cbranch_execz .LBB281_14
.LBB281_13:                             ;   in Loop: Header=BB281_10 Depth=2
	v_mul_u64_e32 v[2:3], s[16:17], v[22:23]
	s_delay_alu instid0(VALU_DEP_1)
	v_lshl_add_u64 v[2:3], v[2:3], 4, v[28:29]
	global_load_b128 v[2:5], v[2:3], off
	s_wait_loadcnt 0x0
	ds_store_2addr_b64 v7, v[2:3], v[4:5] offset1:1
.LBB281_14:                             ;   in Loop: Header=BB281_10 Depth=2
	s_wait_xcnt 0x0
	s_or_b32 exec_lo, exec_lo, s38
	v_add_nc_u32_e32 v0, s2, v6
	v_mov_b64_e32 v[2:3], 0
	v_mov_b64_e32 v[4:5], 0
	s_delay_alu instid0(VALU_DEP_3) | instskip(SKIP_1) | instid1(SALU_CYCLE_1)
	v_cmp_gt_u64_e32 vcc_lo, s[8:9], v[0:1]
	s_and_b32 s38, vcc_lo, s1
	s_and_saveexec_b32 s37, s38
	s_cbranch_execz .LBB281_9
; %bb.15:                               ;   in Loop: Header=BB281_10 Depth=2
	v_mul_u64_e32 v[2:3], s[22:23], v[0:1]
	s_delay_alu instid0(VALU_DEP_1)
	v_lshl_add_u64 v[2:3], v[2:3], 4, v[30:31]
	global_load_b128 v[2:5], v[2:3], off
	s_wait_loadcnt 0x0
	v_xor_b32_e32 v5, 0x80000000, v5
	s_branch .LBB281_9
.LBB281_16:                             ;   in Loop: Header=BB281_10 Depth=2
	v_add_nc_u32_e32 v0, s2, v8
	s_and_not1_b32 s39, s36, exec_lo
	s_mov_b32 s37, exec_lo
	s_delay_alu instid0(VALU_DEP_1) | instskip(SKIP_2) | instid1(SALU_CYCLE_1)
	v_cmp_le_u64_e32 vcc_lo, s[8:9], v[0:1]
	v_mov_b64_e32 v[22:23], v[0:1]
	s_and_b32 s40, vcc_lo, exec_lo
	s_or_b32 s39, s39, s40
	s_or_b32 exec_lo, exec_lo, s38
	s_and_saveexec_b32 s38, s39
	s_delay_alu instid0(SALU_CYCLE_1)
	s_xor_b32 s38, exec_lo, s38
	s_cbranch_execz .LBB281_12
.LBB281_17:                             ;   in Loop: Header=BB281_10 Depth=2
	v_dual_mov_b32 v0, v1 :: v_dual_mov_b32 v2, v1
	v_mov_b32_e32 v3, v1
	s_and_not1_b32 s37, s37, exec_lo
	ds_store_b128 v7, v[0:3]
	s_or_b32 exec_lo, exec_lo, s38
	s_and_saveexec_b32 s38, s37
	s_cbranch_execnz .LBB281_13
	s_branch .LBB281_14
.LBB281_18:                             ;   in Loop: Header=BB281_7 Depth=1
	v_mov_b64_e32 v[42:43], 0
	v_mov_b64_e32 v[36:37], 0
	;; [unrolled: 1-line block ×7, first 2 shown]
.LBB281_19:                             ;   in Loop: Header=BB281_7 Depth=1
	s_mul_u64 s[2:3], s[6:7], s[34:35]
	s_delay_alu instid0(SALU_CYCLE_1) | instskip(NEXT) | instid1(SALU_CYCLE_1)
	s_lshl_b64 s[2:3], s[2:3], 4
	s_add_nc_u64 s[2:3], s[30:31], s[2:3]
	s_delay_alu instid0(SALU_CYCLE_1)
	v_lshl_add_u64 v[28:29], v[10:11], 4, s[2:3]
	s_and_saveexec_b32 s37, s15
	s_cbranch_execz .LBB281_24
; %bb.20:                               ;   in Loop: Header=BB281_7 Depth=1
	v_mul_f64_e32 v[2:3], s[12:13], v[42:43]
	v_mul_f64_e32 v[4:5], s[10:11], v[42:43]
	v_lshl_add_u64 v[30:31], v[16:17], 4, v[28:29]
	s_and_b32 vcc_lo, exec_lo, s14
	s_mov_b32 s38, -1
	s_delay_alu instid0(VALU_DEP_3) | instskip(NEXT) | instid1(VALU_DEP_3)
	v_fma_f64 v[2:3], s[10:11], v[40:41], -v[2:3]
	v_fmac_f64_e32 v[4:5], s[12:13], v[40:41]
	s_cbranch_vccz .LBB281_22
; %bb.21:                               ;   in Loop: Header=BB281_7 Depth=1
	global_load_b128 v[40:43], v[30:31], off
	s_mov_b32 s38, 0
	s_wait_loadcnt 0x0
	v_mul_f64_e32 v[46:47], s[28:29], v[42:43]
	v_mul_f64_e32 v[42:43], s[26:27], v[42:43]
	s_delay_alu instid0(VALU_DEP_2) | instskip(NEXT) | instid1(VALU_DEP_2)
	v_fma_f64 v[46:47], s[26:27], v[40:41], -v[46:47]
	v_fmac_f64_e32 v[42:43], s[28:29], v[40:41]
	s_delay_alu instid0(VALU_DEP_2) | instskip(NEXT) | instid1(VALU_DEP_2)
	v_add_f64_e32 v[40:41], v[2:3], v[46:47]
	v_add_f64_e32 v[42:43], v[4:5], v[42:43]
	global_store_b128 v[30:31], v[40:43], off
.LBB281_22:                             ;   in Loop: Header=BB281_7 Depth=1
	s_and_not1_b32 vcc_lo, exec_lo, s38
	s_cbranch_vccnz .LBB281_24
; %bb.23:                               ;   in Loop: Header=BB281_7 Depth=1
	global_store_b128 v[30:31], v[2:5], off
.LBB281_24:                             ;   in Loop: Header=BB281_7 Depth=1
	s_wait_xcnt 0x0
	s_or_b32 exec_lo, exec_lo, s37
	s_and_saveexec_b32 s37, s21
	s_cbranch_execz .LBB281_29
; %bb.25:                               ;   in Loop: Header=BB281_7 Depth=1
	v_mul_f64_e32 v[2:3], s[12:13], v[38:39]
	v_mul_f64_e32 v[4:5], s[10:11], v[38:39]
	v_lshl_add_u64 v[28:29], v[20:21], 4, v[28:29]
	s_and_not1_b32 vcc_lo, exec_lo, s14
	s_mov_b32 s38, -1
	s_delay_alu instid0(VALU_DEP_3) | instskip(NEXT) | instid1(VALU_DEP_3)
	v_fma_f64 v[2:3], s[10:11], v[36:37], -v[2:3]
	v_fmac_f64_e32 v[4:5], s[12:13], v[36:37]
	s_cbranch_vccnz .LBB281_27
; %bb.26:                               ;   in Loop: Header=BB281_7 Depth=1
	global_load_b128 v[36:39], v[28:29], off
	s_mov_b32 s38, 0
	s_wait_loadcnt 0x0
	v_mul_f64_e32 v[30:31], s[28:29], v[38:39]
	v_mul_f64_e32 v[38:39], s[26:27], v[38:39]
	s_delay_alu instid0(VALU_DEP_2) | instskip(NEXT) | instid1(VALU_DEP_2)
	v_fma_f64 v[30:31], s[26:27], v[36:37], -v[30:31]
	v_fmac_f64_e32 v[38:39], s[28:29], v[36:37]
	s_delay_alu instid0(VALU_DEP_2) | instskip(NEXT) | instid1(VALU_DEP_2)
	v_add_f64_e32 v[36:37], v[2:3], v[30:31]
	v_add_f64_e32 v[38:39], v[4:5], v[38:39]
	global_store_b128 v[28:29], v[36:39], off
.LBB281_27:                             ;   in Loop: Header=BB281_7 Depth=1
	s_and_not1_b32 vcc_lo, exec_lo, s38
	s_cbranch_vccnz .LBB281_29
; %bb.28:                               ;   in Loop: Header=BB281_7 Depth=1
	global_store_b128 v[28:29], v[2:5], off
.LBB281_29:                             ;   in Loop: Header=BB281_7 Depth=1
	s_wait_xcnt 0x0
	s_or_b32 exec_lo, exec_lo, s37
	v_lshl_add_u64 v[28:29], v[12:13], 4, s[2:3]
	s_and_saveexec_b32 s2, s4
	s_cbranch_execz .LBB281_34
; %bb.30:                               ;   in Loop: Header=BB281_7 Depth=1
	v_mul_f64_e32 v[2:3], s[12:13], v[34:35]
	v_mul_f64_e32 v[4:5], s[10:11], v[34:35]
	v_lshl_add_u64 v[30:31], v[16:17], 4, v[28:29]
	s_and_not1_b32 vcc_lo, exec_lo, s14
	s_mov_b32 s3, -1
	s_delay_alu instid0(VALU_DEP_3) | instskip(NEXT) | instid1(VALU_DEP_3)
	v_fma_f64 v[2:3], s[10:11], v[32:33], -v[2:3]
	v_fmac_f64_e32 v[4:5], s[12:13], v[32:33]
	s_cbranch_vccnz .LBB281_32
; %bb.31:                               ;   in Loop: Header=BB281_7 Depth=1
	global_load_b128 v[32:35], v[30:31], off
	s_mov_b32 s3, 0
	s_wait_loadcnt 0x0
	v_mul_f64_e32 v[36:37], s[28:29], v[34:35]
	v_mul_f64_e32 v[34:35], s[26:27], v[34:35]
	s_delay_alu instid0(VALU_DEP_2) | instskip(NEXT) | instid1(VALU_DEP_2)
	v_fma_f64 v[36:37], s[26:27], v[32:33], -v[36:37]
	v_fmac_f64_e32 v[34:35], s[28:29], v[32:33]
	s_delay_alu instid0(VALU_DEP_2) | instskip(NEXT) | instid1(VALU_DEP_2)
	v_add_f64_e32 v[32:33], v[2:3], v[36:37]
	v_add_f64_e32 v[34:35], v[4:5], v[34:35]
	global_store_b128 v[30:31], v[32:35], off
.LBB281_32:                             ;   in Loop: Header=BB281_7 Depth=1
	s_and_not1_b32 vcc_lo, exec_lo, s3
	s_cbranch_vccnz .LBB281_34
; %bb.33:                               ;   in Loop: Header=BB281_7 Depth=1
	global_store_b128 v[30:31], v[2:5], off
.LBB281_34:                             ;   in Loop: Header=BB281_7 Depth=1
	s_wait_xcnt 0x0
	s_or_b32 exec_lo, exec_lo, s2
	s_and_saveexec_b32 s2, s5
	s_cbranch_execz .LBB281_6
; %bb.35:                               ;   in Loop: Header=BB281_7 Depth=1
	s_delay_alu instid0(VALU_DEP_3) | instskip(SKIP_4) | instid1(VALU_DEP_3)
	v_mul_f64_e32 v[2:3], s[12:13], v[24:25]
	v_mul_f64_e32 v[4:5], s[10:11], v[24:25]
	v_lshl_add_u64 v[24:25], v[20:21], 4, v[28:29]
	s_and_not1_b32 vcc_lo, exec_lo, s14
	s_mov_b32 s3, -1
	v_fma_f64 v[2:3], s[10:11], v[26:27], -v[2:3]
	s_delay_alu instid0(VALU_DEP_3)
	v_fmac_f64_e32 v[4:5], s[12:13], v[26:27]
	s_cbranch_vccnz .LBB281_37
; %bb.36:                               ;   in Loop: Header=BB281_7 Depth=1
	global_load_b128 v[26:29], v[24:25], off
	s_mov_b32 s3, 0
	s_wait_loadcnt 0x0
	v_mul_f64_e32 v[30:31], s[28:29], v[28:29]
	v_mul_f64_e32 v[28:29], s[26:27], v[28:29]
	s_delay_alu instid0(VALU_DEP_2) | instskip(NEXT) | instid1(VALU_DEP_2)
	v_fma_f64 v[30:31], s[26:27], v[26:27], -v[30:31]
	v_fmac_f64_e32 v[28:29], s[28:29], v[26:27]
	s_delay_alu instid0(VALU_DEP_2) | instskip(NEXT) | instid1(VALU_DEP_2)
	v_add_f64_e32 v[26:27], v[2:3], v[30:31]
	v_add_f64_e32 v[28:29], v[4:5], v[28:29]
	global_store_b128 v[24:25], v[26:29], off
.LBB281_37:                             ;   in Loop: Header=BB281_7 Depth=1
	s_and_not1_b32 vcc_lo, exec_lo, s3
	s_cbranch_vccnz .LBB281_6
; %bb.38:                               ;   in Loop: Header=BB281_7 Depth=1
	global_store_b128 v[24:25], v[2:5], off
	s_branch .LBB281_6
.LBB281_39:
.LBB281_40:
	s_sendmsg sendmsg(MSG_DEALLOC_VGPRS)
	s_endpgm
	.section	.rodata,"a",@progbits
	.p2align	6, 0x0
	.amdhsa_kernel _ZL29rocblas_internal_gemmt_kernelIlLi16ELi32ELi8ELc78ELc67ELc76ELb0ELb1E19rocblas_complex_numIdES1_PKS1_PS1_EviT_T9_T10_S5_lS7_S5_lS6_T11_S5_li
		.amdhsa_group_segment_fixed_size 8192
		.amdhsa_private_segment_fixed_size 0
		.amdhsa_kernarg_size 124
		.amdhsa_user_sgpr_count 2
		.amdhsa_user_sgpr_dispatch_ptr 0
		.amdhsa_user_sgpr_queue_ptr 0
		.amdhsa_user_sgpr_kernarg_segment_ptr 1
		.amdhsa_user_sgpr_dispatch_id 0
		.amdhsa_user_sgpr_kernarg_preload_length 0
		.amdhsa_user_sgpr_kernarg_preload_offset 0
		.amdhsa_user_sgpr_private_segment_size 0
		.amdhsa_wavefront_size32 1
		.amdhsa_uses_dynamic_stack 0
		.amdhsa_enable_private_segment 0
		.amdhsa_system_sgpr_workgroup_id_x 1
		.amdhsa_system_sgpr_workgroup_id_y 1
		.amdhsa_system_sgpr_workgroup_id_z 1
		.amdhsa_system_sgpr_workgroup_info 0
		.amdhsa_system_vgpr_workitem_id 1
		.amdhsa_next_free_vgpr 132
		.amdhsa_next_free_sgpr 42
		.amdhsa_named_barrier_count 0
		.amdhsa_reserve_vcc 1
		.amdhsa_float_round_mode_32 0
		.amdhsa_float_round_mode_16_64 0
		.amdhsa_float_denorm_mode_32 3
		.amdhsa_float_denorm_mode_16_64 3
		.amdhsa_fp16_overflow 0
		.amdhsa_memory_ordered 1
		.amdhsa_forward_progress 1
		.amdhsa_inst_pref_size 23
		.amdhsa_round_robin_scheduling 0
		.amdhsa_exception_fp_ieee_invalid_op 0
		.amdhsa_exception_fp_denorm_src 0
		.amdhsa_exception_fp_ieee_div_zero 0
		.amdhsa_exception_fp_ieee_overflow 0
		.amdhsa_exception_fp_ieee_underflow 0
		.amdhsa_exception_fp_ieee_inexact 0
		.amdhsa_exception_int_div_zero 0
	.end_amdhsa_kernel
	.section	.text._ZL29rocblas_internal_gemmt_kernelIlLi16ELi32ELi8ELc78ELc67ELc76ELb0ELb1E19rocblas_complex_numIdES1_PKS1_PS1_EviT_T9_T10_S5_lS7_S5_lS6_T11_S5_li,"axG",@progbits,_ZL29rocblas_internal_gemmt_kernelIlLi16ELi32ELi8ELc78ELc67ELc76ELb0ELb1E19rocblas_complex_numIdES1_PKS1_PS1_EviT_T9_T10_S5_lS7_S5_lS6_T11_S5_li,comdat
.Lfunc_end281:
	.size	_ZL29rocblas_internal_gemmt_kernelIlLi16ELi32ELi8ELc78ELc67ELc76ELb0ELb1E19rocblas_complex_numIdES1_PKS1_PS1_EviT_T9_T10_S5_lS7_S5_lS6_T11_S5_li, .Lfunc_end281-_ZL29rocblas_internal_gemmt_kernelIlLi16ELi32ELi8ELc78ELc67ELc76ELb0ELb1E19rocblas_complex_numIdES1_PKS1_PS1_EviT_T9_T10_S5_lS7_S5_lS6_T11_S5_li
                                        ; -- End function
	.set _ZL29rocblas_internal_gemmt_kernelIlLi16ELi32ELi8ELc78ELc67ELc76ELb0ELb1E19rocblas_complex_numIdES1_PKS1_PS1_EviT_T9_T10_S5_lS7_S5_lS6_T11_S5_li.num_vgpr, 132
	.set _ZL29rocblas_internal_gemmt_kernelIlLi16ELi32ELi8ELc78ELc67ELc76ELb0ELb1E19rocblas_complex_numIdES1_PKS1_PS1_EviT_T9_T10_S5_lS7_S5_lS6_T11_S5_li.num_agpr, 0
	.set _ZL29rocblas_internal_gemmt_kernelIlLi16ELi32ELi8ELc78ELc67ELc76ELb0ELb1E19rocblas_complex_numIdES1_PKS1_PS1_EviT_T9_T10_S5_lS7_S5_lS6_T11_S5_li.numbered_sgpr, 42
	.set _ZL29rocblas_internal_gemmt_kernelIlLi16ELi32ELi8ELc78ELc67ELc76ELb0ELb1E19rocblas_complex_numIdES1_PKS1_PS1_EviT_T9_T10_S5_lS7_S5_lS6_T11_S5_li.num_named_barrier, 0
	.set _ZL29rocblas_internal_gemmt_kernelIlLi16ELi32ELi8ELc78ELc67ELc76ELb0ELb1E19rocblas_complex_numIdES1_PKS1_PS1_EviT_T9_T10_S5_lS7_S5_lS6_T11_S5_li.private_seg_size, 0
	.set _ZL29rocblas_internal_gemmt_kernelIlLi16ELi32ELi8ELc78ELc67ELc76ELb0ELb1E19rocblas_complex_numIdES1_PKS1_PS1_EviT_T9_T10_S5_lS7_S5_lS6_T11_S5_li.uses_vcc, 1
	.set _ZL29rocblas_internal_gemmt_kernelIlLi16ELi32ELi8ELc78ELc67ELc76ELb0ELb1E19rocblas_complex_numIdES1_PKS1_PS1_EviT_T9_T10_S5_lS7_S5_lS6_T11_S5_li.uses_flat_scratch, 0
	.set _ZL29rocblas_internal_gemmt_kernelIlLi16ELi32ELi8ELc78ELc67ELc76ELb0ELb1E19rocblas_complex_numIdES1_PKS1_PS1_EviT_T9_T10_S5_lS7_S5_lS6_T11_S5_li.has_dyn_sized_stack, 0
	.set _ZL29rocblas_internal_gemmt_kernelIlLi16ELi32ELi8ELc78ELc67ELc76ELb0ELb1E19rocblas_complex_numIdES1_PKS1_PS1_EviT_T9_T10_S5_lS7_S5_lS6_T11_S5_li.has_recursion, 0
	.set _ZL29rocblas_internal_gemmt_kernelIlLi16ELi32ELi8ELc78ELc67ELc76ELb0ELb1E19rocblas_complex_numIdES1_PKS1_PS1_EviT_T9_T10_S5_lS7_S5_lS6_T11_S5_li.has_indirect_call, 0
	.section	.AMDGPU.csdata,"",@progbits
; Kernel info:
; codeLenInByte = 2936
; TotalNumSgprs: 44
; NumVgprs: 132
; ScratchSize: 0
; MemoryBound: 1
; FloatMode: 240
; IeeeMode: 1
; LDSByteSize: 8192 bytes/workgroup (compile time only)
; SGPRBlocks: 0
; VGPRBlocks: 8
; NumSGPRsForWavesPerEU: 44
; NumVGPRsForWavesPerEU: 132
; NamedBarCnt: 0
; Occupancy: 7
; WaveLimiterHint : 0
; COMPUTE_PGM_RSRC2:SCRATCH_EN: 0
; COMPUTE_PGM_RSRC2:USER_SGPR: 2
; COMPUTE_PGM_RSRC2:TRAP_HANDLER: 0
; COMPUTE_PGM_RSRC2:TGID_X_EN: 1
; COMPUTE_PGM_RSRC2:TGID_Y_EN: 1
; COMPUTE_PGM_RSRC2:TGID_Z_EN: 1
; COMPUTE_PGM_RSRC2:TIDIG_COMP_CNT: 1
	.section	.text._ZL29rocblas_internal_gemmt_kernelIlLi16ELi32ELi8ELc84ELc78ELc76ELb0ELb0E19rocblas_complex_numIdES1_PKS1_PS1_EviT_T9_T10_S5_lS7_S5_lS6_T11_S5_li,"axG",@progbits,_ZL29rocblas_internal_gemmt_kernelIlLi16ELi32ELi8ELc84ELc78ELc76ELb0ELb0E19rocblas_complex_numIdES1_PKS1_PS1_EviT_T9_T10_S5_lS7_S5_lS6_T11_S5_li,comdat
	.globl	_ZL29rocblas_internal_gemmt_kernelIlLi16ELi32ELi8ELc84ELc78ELc76ELb0ELb0E19rocblas_complex_numIdES1_PKS1_PS1_EviT_T9_T10_S5_lS7_S5_lS6_T11_S5_li ; -- Begin function _ZL29rocblas_internal_gemmt_kernelIlLi16ELi32ELi8ELc84ELc78ELc76ELb0ELb0E19rocblas_complex_numIdES1_PKS1_PS1_EviT_T9_T10_S5_lS7_S5_lS6_T11_S5_li
	.p2align	8
	.type	_ZL29rocblas_internal_gemmt_kernelIlLi16ELi32ELi8ELc84ELc78ELc76ELb0ELb0E19rocblas_complex_numIdES1_PKS1_PS1_EviT_T9_T10_S5_lS7_S5_lS6_T11_S5_li,@function
_ZL29rocblas_internal_gemmt_kernelIlLi16ELi32ELi8ELc84ELc78ELc76ELb0ELb0E19rocblas_complex_numIdES1_PKS1_PS1_EviT_T9_T10_S5_lS7_S5_lS6_T11_S5_li: ; @_ZL29rocblas_internal_gemmt_kernelIlLi16ELi32ELi8ELc84ELc78ELc76ELb0ELb0E19rocblas_complex_numIdES1_PKS1_PS1_EviT_T9_T10_S5_lS7_S5_lS6_T11_S5_li
; %bb.0:
	s_clause 0x1
	s_load_b256 s[24:31], s[0:1], 0x48
	s_load_b512 s[8:23], s[0:1], 0x8
	s_wait_kmcnt 0x0
	v_cmp_eq_f64_e64 s3, s[26:27], 1.0
	v_cmp_eq_f64_e64 s2, s[28:29], 0
	s_and_b32 s3, s3, s2
	s_delay_alu instid0(SALU_CYCLE_1)
	s_and_not1_b32 vcc_lo, exec_lo, s3
	s_mov_b32 s3, -1
	s_cbranch_vccnz .LBB282_3
; %bb.1:
	s_cmp_lg_u64 s[8:9], 0
	s_cbranch_scc0 .LBB282_41
; %bb.2:
	v_cmp_neq_f64_e64 s3, s[10:11], 0
	v_cmp_neq_f64_e64 s4, s[12:13], 0
	s_or_b32 s3, s3, s4
.LBB282_3:
	s_delay_alu instid0(SALU_CYCLE_1)
	s_and_b32 vcc_lo, exec_lo, s3
	s_cbranch_vccz .LBB282_42
; %bb.4:
	s_load_b32 s33, s[0:1], 0x78
	s_bfe_u32 s3, ttmp6, 0x40014
	s_lshr_b32 s4, ttmp7, 16
	s_add_co_i32 s3, s3, 1
	s_bfe_u32 s6, ttmp6, 0x40008
	s_mul_i32 s5, s4, s3
	s_getreg_b32 s3, hwreg(HW_REG_IB_STS2, 6, 4)
	s_add_co_i32 s6, s6, s5
	s_cmp_eq_u32 s3, 0
	s_mov_b32 s35, 0
	s_cselect_b32 s34, s4, s6
	s_wait_kmcnt 0x0
	s_cmp_ge_u32 s34, s33
	s_cbranch_scc1 .LBB282_42
; %bb.5:
	v_and_b32_e32 v8, 0x3ff, v0
	v_bfe_u32 v9, v0, 10, 10
	s_bfe_u32 s5, ttmp6, 0x4000c
	s_bfe_u32 s7, ttmp6, 0x40010
	s_and_b32 s6, ttmp7, 0xffff
	s_add_co_i32 s5, s5, 1
	s_add_co_i32 s7, s7, 1
	s_and_b32 s4, ttmp6, 15
	v_lshl_add_u32 v14, v9, 4, v8
	s_mul_i32 s5, ttmp9, s5
	s_mul_i32 s7, s6, s7
	s_bfe_u32 s36, ttmp6, 0x40004
	s_add_co_i32 s4, s4, s5
	s_add_co_i32 s36, s36, s7
	s_cmp_eq_u32 s3, 0
	v_dual_lshrrev_b32 v15, 3, v14 :: v_dual_bitop2_b32 v16, 31, v14 bitop3:0x40
	s_cselect_b32 s3, ttmp9, s4
	s_cselect_b32 s4, s6, s36
	s_lshl_b32 s3, s3, 5
	s_lshl_b32 s36, s4, 5
	s_load_b128 s[4:7], s[0:1], 0x68
	v_dual_add_nc_u32 v4, s36, v15 :: v_dual_bitop2_b32 v2, s3, v16 bitop3:0x54
	v_dual_add_nc_u32 v22, s36, v9 :: v_dual_bitop2_b32 v6, 7, v0 bitop3:0x40
	v_cmp_neq_f64_e64 s37, s[10:11], 0
	s_delay_alu instid0(VALU_DEP_3) | instskip(NEXT) | instid1(VALU_DEP_3)
	v_dual_ashrrev_i32 v3, 31, v2 :: v_dual_ashrrev_i32 v5, 31, v4
	v_dual_add_nc_u32 v0, 16, v22 :: v_dual_ashrrev_i32 v23, 31, v22
	v_cmp_neq_f64_e64 s38, s[12:13], 0
	s_delay_alu instid0(VALU_DEP_3) | instskip(NEXT) | instid1(VALU_DEP_4)
	v_mul_u64_e32 v[18:19], s[16:17], v[2:3]
	v_mul_u64_e32 v[20:21], s[22:23], v[4:5]
	s_delay_alu instid0(VALU_DEP_4)
	v_dual_lshlrev_b32 v3, 4, v6 :: v_dual_ashrrev_i32 v1, 31, v0
	v_cmp_neq_f64_e64 s17, s[26:27], 0
	s_load_b32 s16, s[0:1], 0x0
	v_dual_lshlrev_b32 v7, 4, v8 :: v_dual_add_nc_u32 v8, s3, v8
	v_lshrrev_b32_e32 v14, 5, v14
	s_wait_kmcnt 0x0
	v_mul_u64_e32 v[10:11], s[4:5], v[22:23]
	v_mul_u64_e32 v[12:13], s[4:5], v[0:1]
	v_lshlrev_b32_e32 v1, 4, v16
	v_add_nc_u32_e32 v16, 16, v8
	s_xor_b32 s23, s2, -1
	v_cmp_le_i32_e32 vcc_lo, v22, v8
	v_lshl_add_u32 v43, v9, 7, 0x1000
	v_ashrrev_i32_e32 v9, 31, v8
	v_cmp_le_i32_e64 s3, v22, v16
	v_lshl_or_b32 v3, v15, 7, v3
	v_cmp_gt_i64_e64 s22, s[8:9], 0
	v_lshl_or_b32 v15, v14, 9, v1
	v_dual_ashrrev_i32 v17, 31, v16 :: v_dual_mov_b32 v1, 0
	s_delay_alu instid0(VALU_DEP_4)
	v_add_nc_u32_e32 v42, 0x1000, v3
                                        ; implicit-def: $vgpr22_vgpr23
	v_cmp_gt_i32_e64 s2, s16, v8
	v_cmp_gt_i32_e64 s4, s16, v16
	;; [unrolled: 1-line block ×3, first 2 shown]
	v_cmp_le_i32_e64 s5, s16, v2
	v_cmp_gt_i32_e64 s1, s16, v4
	s_and_b32 s16, s3, s4
	v_lshl_add_u64 v[18:19], v[18:19], 4, s[14:15]
	s_and_b32 s15, vcc_lo, s2
	v_cmp_le_i32_e32 vcc_lo, v0, v8
	v_cmp_le_i32_e64 s3, v0, v16
	v_lshl_add_u64 v[20:21], v[20:21], 4, s[20:21]
	s_or_b32 s36, s37, s38
	s_or_b32 s14, s17, s23
	s_and_b32 s17, s36, s22
	s_and_b32 s20, vcc_lo, s2
	s_and_b32 s4, s3, s4
	s_xor_b32 s1, s1, -1
	s_branch .LBB282_7
.LBB282_6:                              ;   in Loop: Header=BB282_7 Depth=1
	s_wait_xcnt 0x0
	s_or_b32 exec_lo, exec_lo, s2
	s_add_co_i32 s34, s34, 0x10000
	s_delay_alu instid0(SALU_CYCLE_1)
	s_cmp_lt_u32 s34, s33
	s_cbranch_scc0 .LBB282_42
.LBB282_7:                              ; =>This Loop Header: Depth=1
                                        ;     Child Loop BB282_10 Depth 2
	v_mov_b64_e32 v[34:35], 0
	s_and_not1_b32 vcc_lo, exec_lo, s17
	s_cbranch_vccnz .LBB282_20
; %bb.8:                                ;   in Loop: Header=BB282_7 Depth=1
	s_mul_u64 s[2:3], s[24:25], s[34:35]
	s_mul_u64 s[22:23], s[18:19], s[34:35]
	v_mov_b64_e32 v[38:39], 0
	v_mov_b64_e32 v[40:41], 0
	;; [unrolled: 1-line block ×8, first 2 shown]
	v_lshl_add_u64 v[4:5], s[22:23], 4, v[18:19]
	v_lshl_add_u64 v[24:25], s[2:3], 4, v[20:21]
	s_mov_b64 s[2:3], 0
	s_branch .LBB282_10
.LBB282_9:                              ;   in Loop: Header=BB282_10 Depth=2
	s_wait_xcnt 0x0
	s_or_b32 exec_lo, exec_lo, s21
	s_wait_dscnt 0x0
	s_barrier_signal -1
	s_barrier_wait -1
	ds_load_b128 v[44:47], v43
	ds_load_b128 v[48:51], v43 offset:16
	ds_load_b128 v[52:55], v43 offset:32
	;; [unrolled: 1-line block ×3, first 2 shown]
	ds_load_b128 v[60:63], v7
	s_add_nc_u64 s[2:3], s[2:3], 8
	s_delay_alu instid0(SALU_CYCLE_1) | instskip(SKIP_4) | instid1(VALU_DEP_2)
	v_cmp_gt_i64_e64 s21, s[8:9], s[2:3]
	s_and_b32 vcc_lo, exec_lo, s21
	s_wait_dscnt 0x0
	v_mul_f64_e32 v[2:3], v[46:47], v[62:63]
	v_mul_f64_e32 v[64:65], v[44:45], v[62:63]
	v_fma_f64 v[2:3], v[44:45], v[60:61], -v[2:3]
	s_delay_alu instid0(VALU_DEP_2) | instskip(NEXT) | instid1(VALU_DEP_2)
	v_fmac_f64_e32 v[64:65], v[46:47], v[60:61]
	v_add_f64_e32 v[2:3], v[34:35], v[2:3]
	s_delay_alu instid0(VALU_DEP_2) | instskip(SKIP_3) | instid1(VALU_DEP_1)
	v_add_f64_e32 v[64:65], v[64:65], v[36:37]
	ds_load_b128 v[34:37], v7 offset:256
	s_wait_dscnt 0x0
	v_mul_f64_e32 v[66:67], v[46:47], v[36:37]
	v_fma_f64 v[66:67], v[44:45], v[34:35], -v[66:67]
	v_mul_f64_e32 v[44:45], v[44:45], v[36:37]
	s_delay_alu instid0(VALU_DEP_1) | instskip(NEXT) | instid1(VALU_DEP_3)
	v_fmac_f64_e32 v[44:45], v[46:47], v[34:35]
	v_add_f64_e32 v[46:47], v[26:27], v[66:67]
	s_delay_alu instid0(VALU_DEP_2) | instskip(SKIP_4) | instid1(VALU_DEP_2)
	v_add_f64_e32 v[44:45], v[44:45], v[28:29]
	ds_load_b128 v[26:29], v43 offset:2048
	s_wait_dscnt 0x0
	v_mul_f64_e32 v[66:67], v[28:29], v[62:63]
	v_mul_f64_e32 v[62:63], v[26:27], v[62:63]
	v_fma_f64 v[66:67], v[26:27], v[60:61], -v[66:67]
	s_delay_alu instid0(VALU_DEP_2) | instskip(NEXT) | instid1(VALU_DEP_2)
	v_fmac_f64_e32 v[62:63], v[28:29], v[60:61]
	v_add_f64_e32 v[60:61], v[30:31], v[66:67]
	v_mul_f64_e32 v[30:31], v[28:29], v[36:37]
	s_delay_alu instid0(VALU_DEP_3) | instskip(NEXT) | instid1(VALU_DEP_2)
	v_add_f64_e32 v[62:63], v[62:63], v[32:33]
	v_fma_f64 v[30:31], v[26:27], v[34:35], -v[30:31]
	v_mul_f64_e32 v[26:27], v[26:27], v[36:37]
	s_delay_alu instid0(VALU_DEP_2) | instskip(NEXT) | instid1(VALU_DEP_2)
	v_add_f64_e32 v[40:41], v[40:41], v[30:31]
	v_fmac_f64_e32 v[26:27], v[28:29], v[34:35]
	s_delay_alu instid0(VALU_DEP_1) | instskip(SKIP_4) | instid1(VALU_DEP_2)
	v_add_f64_e32 v[38:39], v[26:27], v[38:39]
	ds_load_b128 v[26:29], v7 offset:512
	s_wait_dscnt 0x0
	v_mul_f64_e32 v[30:31], v[50:51], v[28:29]
	v_mul_f64_e32 v[32:33], v[48:49], v[28:29]
	v_fma_f64 v[30:31], v[48:49], v[26:27], -v[30:31]
	s_delay_alu instid0(VALU_DEP_2) | instskip(NEXT) | instid1(VALU_DEP_2)
	v_fmac_f64_e32 v[32:33], v[50:51], v[26:27]
	v_add_f64_e32 v[2:3], v[2:3], v[30:31]
	s_delay_alu instid0(VALU_DEP_2) | instskip(SKIP_4) | instid1(VALU_DEP_2)
	v_add_f64_e32 v[64:65], v[32:33], v[64:65]
	ds_load_b128 v[30:33], v7 offset:768
	s_wait_dscnt 0x0
	v_mul_f64_e32 v[34:35], v[50:51], v[32:33]
	v_mul_f64_e32 v[36:37], v[48:49], v[32:33]
	v_fma_f64 v[34:35], v[48:49], v[30:31], -v[34:35]
	s_delay_alu instid0(VALU_DEP_2) | instskip(NEXT) | instid1(VALU_DEP_2)
	v_fmac_f64_e32 v[36:37], v[50:51], v[30:31]
	v_add_f64_e32 v[46:47], v[46:47], v[34:35]
	s_delay_alu instid0(VALU_DEP_2) | instskip(SKIP_4) | instid1(VALU_DEP_2)
	v_add_f64_e32 v[44:45], v[36:37], v[44:45]
	ds_load_b128 v[34:37], v43 offset:2064
	s_wait_dscnt 0x0
	v_mul_f64_e32 v[48:49], v[36:37], v[28:29]
	v_mul_f64_e32 v[28:29], v[34:35], v[28:29]
	v_fma_f64 v[48:49], v[34:35], v[26:27], -v[48:49]
	s_delay_alu instid0(VALU_DEP_2) | instskip(SKIP_1) | instid1(VALU_DEP_3)
	v_fmac_f64_e32 v[28:29], v[36:37], v[26:27]
	v_mul_f64_e32 v[26:27], v[36:37], v[32:33]
	v_add_f64_e32 v[48:49], v[60:61], v[48:49]
	s_delay_alu instid0(VALU_DEP_3) | instskip(SKIP_1) | instid1(VALU_DEP_4)
	v_add_f64_e32 v[50:51], v[28:29], v[62:63]
	v_mul_f64_e32 v[28:29], v[34:35], v[32:33]
	v_fma_f64 v[26:27], v[34:35], v[30:31], -v[26:27]
	s_delay_alu instid0(VALU_DEP_2) | instskip(NEXT) | instid1(VALU_DEP_2)
	v_fmac_f64_e32 v[28:29], v[36:37], v[30:31]
	v_add_f64_e32 v[40:41], v[40:41], v[26:27]
	s_delay_alu instid0(VALU_DEP_2) | instskip(SKIP_4) | instid1(VALU_DEP_2)
	v_add_f64_e32 v[38:39], v[28:29], v[38:39]
	ds_load_b128 v[26:29], v7 offset:1024
	s_wait_dscnt 0x0
	v_mul_f64_e32 v[30:31], v[54:55], v[28:29]
	v_mul_f64_e32 v[32:33], v[52:53], v[28:29]
	v_fma_f64 v[30:31], v[52:53], v[26:27], -v[30:31]
	s_delay_alu instid0(VALU_DEP_2) | instskip(NEXT) | instid1(VALU_DEP_2)
	v_fmac_f64_e32 v[32:33], v[54:55], v[26:27]
	v_add_f64_e32 v[2:3], v[2:3], v[30:31]
	s_delay_alu instid0(VALU_DEP_2) | instskip(SKIP_4) | instid1(VALU_DEP_2)
	v_add_f64_e32 v[60:61], v[32:33], v[64:65]
	ds_load_b128 v[30:33], v7 offset:1280
	s_wait_dscnt 0x0
	v_mul_f64_e32 v[34:35], v[54:55], v[32:33]
	;; [unrolled: 10-line block ×3, first 2 shown]
	v_mul_f64_e32 v[28:29], v[34:35], v[28:29]
	v_fma_f64 v[52:53], v[34:35], v[26:27], -v[52:53]
	s_delay_alu instid0(VALU_DEP_2) | instskip(SKIP_1) | instid1(VALU_DEP_3)
	v_fmac_f64_e32 v[28:29], v[36:37], v[26:27]
	v_mul_f64_e32 v[26:27], v[36:37], v[32:33]
	v_add_f64_e32 v[48:49], v[48:49], v[52:53]
	s_delay_alu instid0(VALU_DEP_3) | instskip(SKIP_1) | instid1(VALU_DEP_4)
	v_add_f64_e32 v[50:51], v[28:29], v[50:51]
	v_mul_f64_e32 v[28:29], v[34:35], v[32:33]
	v_fma_f64 v[26:27], v[34:35], v[30:31], -v[26:27]
	s_delay_alu instid0(VALU_DEP_2) | instskip(NEXT) | instid1(VALU_DEP_2)
	v_fmac_f64_e32 v[28:29], v[36:37], v[30:31]
	v_add_f64_e32 v[40:41], v[40:41], v[26:27]
	s_delay_alu instid0(VALU_DEP_2) | instskip(SKIP_4) | instid1(VALU_DEP_2)
	v_add_f64_e32 v[38:39], v[28:29], v[38:39]
	ds_load_b128 v[26:29], v7 offset:1536
	s_wait_dscnt 0x0
	v_mul_f64_e32 v[30:31], v[58:59], v[28:29]
	v_mul_f64_e32 v[32:33], v[56:57], v[28:29]
	v_fma_f64 v[30:31], v[56:57], v[26:27], -v[30:31]
	s_delay_alu instid0(VALU_DEP_2) | instskip(NEXT) | instid1(VALU_DEP_2)
	v_fmac_f64_e32 v[32:33], v[58:59], v[26:27]
	v_add_f64_e32 v[2:3], v[2:3], v[30:31]
	s_delay_alu instid0(VALU_DEP_2) | instskip(SKIP_4) | instid1(VALU_DEP_2)
	v_add_f64_e32 v[52:53], v[32:33], v[60:61]
	ds_load_b128 v[30:33], v7 offset:1792
	s_wait_dscnt 0x0
	v_mul_f64_e32 v[34:35], v[58:59], v[32:33]
	;; [unrolled: 10-line block ×3, first 2 shown]
	v_mul_f64_e32 v[28:29], v[34:35], v[28:29]
	v_fma_f64 v[54:55], v[34:35], v[26:27], -v[54:55]
	s_delay_alu instid0(VALU_DEP_2) | instskip(SKIP_1) | instid1(VALU_DEP_3)
	v_fmac_f64_e32 v[28:29], v[36:37], v[26:27]
	v_mul_f64_e32 v[26:27], v[36:37], v[32:33]
	v_add_f64_e32 v[48:49], v[48:49], v[54:55]
	s_delay_alu instid0(VALU_DEP_3) | instskip(SKIP_1) | instid1(VALU_DEP_4)
	v_add_f64_e32 v[50:51], v[28:29], v[50:51]
	v_mul_f64_e32 v[28:29], v[34:35], v[32:33]
	v_fma_f64 v[26:27], v[34:35], v[30:31], -v[26:27]
	s_delay_alu instid0(VALU_DEP_2) | instskip(NEXT) | instid1(VALU_DEP_2)
	v_fmac_f64_e32 v[28:29], v[36:37], v[30:31]
	v_add_f64_e32 v[40:41], v[40:41], v[26:27]
	s_delay_alu instid0(VALU_DEP_2)
	v_add_f64_e32 v[38:39], v[28:29], v[38:39]
	ds_load_b128 v[26:29], v43 offset:64
	ds_load_b128 v[30:33], v7 offset:2048
	s_wait_dscnt 0x0
	v_mul_f64_e32 v[34:35], v[28:29], v[32:33]
	v_mul_f64_e32 v[36:37], v[26:27], v[32:33]
	s_delay_alu instid0(VALU_DEP_2) | instskip(NEXT) | instid1(VALU_DEP_2)
	v_fma_f64 v[34:35], v[26:27], v[30:31], -v[34:35]
	v_fmac_f64_e32 v[36:37], v[28:29], v[30:31]
	s_delay_alu instid0(VALU_DEP_2) | instskip(NEXT) | instid1(VALU_DEP_2)
	v_add_f64_e32 v[2:3], v[2:3], v[34:35]
	v_add_f64_e32 v[52:53], v[36:37], v[52:53]
	ds_load_b128 v[34:37], v7 offset:2304
	s_wait_dscnt 0x0
	v_mul_f64_e32 v[54:55], v[28:29], v[36:37]
	s_delay_alu instid0(VALU_DEP_1) | instskip(SKIP_1) | instid1(VALU_DEP_2)
	v_fma_f64 v[54:55], v[26:27], v[34:35], -v[54:55]
	v_mul_f64_e32 v[26:27], v[26:27], v[36:37]
	v_add_f64_e32 v[46:47], v[46:47], v[54:55]
	s_delay_alu instid0(VALU_DEP_2) | instskip(NEXT) | instid1(VALU_DEP_1)
	v_fmac_f64_e32 v[26:27], v[28:29], v[34:35]
	v_add_f64_e32 v[44:45], v[26:27], v[44:45]
	ds_load_b128 v[26:29], v43 offset:2112
	s_wait_dscnt 0x0
	v_mul_f64_e32 v[54:55], v[28:29], v[32:33]
	v_mul_f64_e32 v[32:33], v[26:27], v[32:33]
	s_delay_alu instid0(VALU_DEP_2) | instskip(NEXT) | instid1(VALU_DEP_2)
	v_fma_f64 v[54:55], v[26:27], v[30:31], -v[54:55]
	v_fmac_f64_e32 v[32:33], v[28:29], v[30:31]
	v_mul_f64_e32 v[30:31], v[28:29], v[36:37]
	s_delay_alu instid0(VALU_DEP_3) | instskip(NEXT) | instid1(VALU_DEP_3)
	v_add_f64_e32 v[48:49], v[48:49], v[54:55]
	v_add_f64_e32 v[50:51], v[32:33], v[50:51]
	s_delay_alu instid0(VALU_DEP_3) | instskip(SKIP_1) | instid1(VALU_DEP_2)
	v_fma_f64 v[30:31], v[26:27], v[34:35], -v[30:31]
	v_mul_f64_e32 v[26:27], v[26:27], v[36:37]
	v_add_f64_e32 v[40:41], v[40:41], v[30:31]
	s_delay_alu instid0(VALU_DEP_2) | instskip(NEXT) | instid1(VALU_DEP_1)
	v_fmac_f64_e32 v[26:27], v[28:29], v[34:35]
	v_add_f64_e32 v[38:39], v[26:27], v[38:39]
	ds_load_b128 v[26:29], v43 offset:80
	ds_load_b128 v[30:33], v7 offset:2560
	s_wait_dscnt 0x0
	v_mul_f64_e32 v[34:35], v[28:29], v[32:33]
	v_mul_f64_e32 v[36:37], v[26:27], v[32:33]
	s_delay_alu instid0(VALU_DEP_2) | instskip(NEXT) | instid1(VALU_DEP_2)
	v_fma_f64 v[34:35], v[26:27], v[30:31], -v[34:35]
	v_fmac_f64_e32 v[36:37], v[28:29], v[30:31]
	s_delay_alu instid0(VALU_DEP_2) | instskip(NEXT) | instid1(VALU_DEP_2)
	v_add_f64_e32 v[2:3], v[2:3], v[34:35]
	v_add_f64_e32 v[52:53], v[36:37], v[52:53]
	ds_load_b128 v[34:37], v7 offset:2816
	s_wait_dscnt 0x0
	v_mul_f64_e32 v[54:55], v[28:29], v[36:37]
	s_delay_alu instid0(VALU_DEP_1) | instskip(SKIP_1) | instid1(VALU_DEP_2)
	v_fma_f64 v[54:55], v[26:27], v[34:35], -v[54:55]
	v_mul_f64_e32 v[26:27], v[26:27], v[36:37]
	v_add_f64_e32 v[46:47], v[46:47], v[54:55]
	s_delay_alu instid0(VALU_DEP_2) | instskip(NEXT) | instid1(VALU_DEP_1)
	v_fmac_f64_e32 v[26:27], v[28:29], v[34:35]
	v_add_f64_e32 v[44:45], v[26:27], v[44:45]
	ds_load_b128 v[26:29], v43 offset:2128
	s_wait_dscnt 0x0
	v_mul_f64_e32 v[54:55], v[28:29], v[32:33]
	v_mul_f64_e32 v[32:33], v[26:27], v[32:33]
	s_delay_alu instid0(VALU_DEP_2) | instskip(NEXT) | instid1(VALU_DEP_2)
	v_fma_f64 v[54:55], v[26:27], v[30:31], -v[54:55]
	v_fmac_f64_e32 v[32:33], v[28:29], v[30:31]
	v_mul_f64_e32 v[30:31], v[28:29], v[36:37]
	s_delay_alu instid0(VALU_DEP_3) | instskip(NEXT) | instid1(VALU_DEP_3)
	v_add_f64_e32 v[48:49], v[48:49], v[54:55]
	v_add_f64_e32 v[50:51], v[32:33], v[50:51]
	s_delay_alu instid0(VALU_DEP_3) | instskip(SKIP_1) | instid1(VALU_DEP_2)
	v_fma_f64 v[30:31], v[26:27], v[34:35], -v[30:31]
	v_mul_f64_e32 v[26:27], v[26:27], v[36:37]
	v_add_f64_e32 v[40:41], v[40:41], v[30:31]
	s_delay_alu instid0(VALU_DEP_2) | instskip(NEXT) | instid1(VALU_DEP_1)
	v_fmac_f64_e32 v[26:27], v[28:29], v[34:35]
	;; [unrolled: 39-line block ×3, first 2 shown]
	v_add_f64_e32 v[56:57], v[26:27], v[38:39]
	ds_load_b128 v[26:29], v43 offset:112
	ds_load_b128 v[30:33], v7 offset:3584
	;; [unrolled: 1-line block ×3, first 2 shown]
	s_wait_dscnt 0x1
	v_mul_f64_e32 v[34:35], v[28:29], v[32:33]
	v_mul_f64_e32 v[36:37], v[26:27], v[32:33]
	s_delay_alu instid0(VALU_DEP_2) | instskip(NEXT) | instid1(VALU_DEP_2)
	v_fma_f64 v[34:35], v[26:27], v[30:31], -v[34:35]
	v_fmac_f64_e32 v[36:37], v[28:29], v[30:31]
	s_delay_alu instid0(VALU_DEP_2) | instskip(NEXT) | instid1(VALU_DEP_2)
	v_add_f64_e32 v[34:35], v[2:3], v[34:35]
	v_add_f64_e32 v[36:37], v[36:37], v[52:53]
	s_wait_dscnt 0x0
	v_mul_f64_e32 v[2:3], v[28:29], v[40:41]
	v_mul_f64_e32 v[52:53], v[26:27], v[40:41]
	s_delay_alu instid0(VALU_DEP_2) | instskip(NEXT) | instid1(VALU_DEP_2)
	v_fma_f64 v[2:3], v[26:27], v[38:39], -v[2:3]
	v_fmac_f64_e32 v[52:53], v[28:29], v[38:39]
	s_delay_alu instid0(VALU_DEP_2) | instskip(NEXT) | instid1(VALU_DEP_2)
	v_add_f64_e32 v[26:27], v[46:47], v[2:3]
	v_add_f64_e32 v[28:29], v[52:53], v[44:45]
	ds_load_b128 v[44:47], v43 offset:2160
	s_wait_dscnt 0x0
	s_barrier_signal -1
	s_barrier_wait -1
	v_mul_f64_e32 v[2:3], v[46:47], v[32:33]
	v_mul_f64_e32 v[32:33], v[44:45], v[32:33]
	s_delay_alu instid0(VALU_DEP_2) | instskip(NEXT) | instid1(VALU_DEP_2)
	v_fma_f64 v[2:3], v[44:45], v[30:31], -v[2:3]
	v_fmac_f64_e32 v[32:33], v[46:47], v[30:31]
	s_delay_alu instid0(VALU_DEP_2) | instskip(SKIP_1) | instid1(VALU_DEP_3)
	v_add_f64_e32 v[30:31], v[48:49], v[2:3]
	v_mul_f64_e32 v[2:3], v[46:47], v[40:41]
	v_add_f64_e32 v[32:33], v[32:33], v[50:51]
	s_delay_alu instid0(VALU_DEP_2) | instskip(SKIP_1) | instid1(VALU_DEP_2)
	v_fma_f64 v[2:3], v[44:45], v[38:39], -v[2:3]
	v_mul_f64_e32 v[44:45], v[44:45], v[40:41]
	v_add_f64_e32 v[40:41], v[54:55], v[2:3]
	s_delay_alu instid0(VALU_DEP_2) | instskip(NEXT) | instid1(VALU_DEP_1)
	v_fmac_f64_e32 v[44:45], v[46:47], v[38:39]
	v_add_f64_e32 v[38:39], v[44:45], v[56:57]
	s_cbranch_vccz .LBB282_21
.LBB282_10:                             ;   Parent Loop BB282_7 Depth=1
                                        ; =>  This Inner Loop Header: Depth=2
	s_mov_b32 s21, 0
	s_mov_b32 s23, s5
	s_and_saveexec_b32 s22, s0
	s_cbranch_execnz .LBB282_18
; %bb.11:                               ;   in Loop: Header=BB282_10 Depth=2
	s_or_b32 exec_lo, exec_lo, s22
	s_and_saveexec_b32 s22, s23
	s_delay_alu instid0(SALU_CYCLE_1)
	s_xor_b32 s22, exec_lo, s22
	s_cbranch_execnz .LBB282_19
.LBB282_12:                             ;   in Loop: Header=BB282_10 Depth=2
	s_or_b32 exec_lo, exec_lo, s22
	s_and_saveexec_b32 s22, s21
	s_cbranch_execz .LBB282_14
.LBB282_13:                             ;   in Loop: Header=BB282_10 Depth=2
	v_lshl_add_u64 v[2:3], v[22:23], 4, v[4:5]
	global_load_b128 v[44:47], v[2:3], off
	s_wait_loadcnt 0x0
	ds_store_2addr_b64 v15, v[44:45], v[46:47] offset1:1
.LBB282_14:                             ;   in Loop: Header=BB282_10 Depth=2
	s_wait_xcnt 0x0
	s_or_b32 exec_lo, exec_lo, s22
	v_add_nc_u32_e32 v0, s2, v6
	s_delay_alu instid0(VALU_DEP_1) | instskip(SKIP_1) | instid1(SALU_CYCLE_1)
	v_cmp_le_u64_e32 vcc_lo, s[8:9], v[0:1]
	s_or_b32 s21, vcc_lo, s1
	s_and_saveexec_b32 s22, s21
	s_delay_alu instid0(SALU_CYCLE_1)
	s_xor_b32 s21, exec_lo, s22
; %bb.15:                               ;   in Loop: Header=BB282_10 Depth=2
	v_dual_mov_b32 v0, v1 :: v_dual_mov_b32 v2, v1
	v_mov_b32_e32 v3, v1
	ds_store_b128 v42, v[0:3]
; %bb.16:                               ;   in Loop: Header=BB282_10 Depth=2
	s_and_not1_saveexec_b32 s21, s21
	s_cbranch_execz .LBB282_9
; %bb.17:                               ;   in Loop: Header=BB282_10 Depth=2
	v_lshl_add_u64 v[2:3], v[0:1], 4, v[24:25]
	global_load_b128 v[44:47], v[2:3], off
	s_wait_loadcnt 0x0
	ds_store_2addr_b64 v42, v[44:45], v[46:47] offset1:1
	s_branch .LBB282_9
.LBB282_18:                             ;   in Loop: Header=BB282_10 Depth=2
	v_add_nc_u32_e32 v0, s2, v14
	s_and_not1_b32 s23, s5, exec_lo
	s_mov_b32 s21, exec_lo
	s_delay_alu instid0(VALU_DEP_1) | instskip(SKIP_2) | instid1(SALU_CYCLE_1)
	v_cmp_le_u64_e32 vcc_lo, s[8:9], v[0:1]
	v_mov_b64_e32 v[22:23], v[0:1]
	s_and_b32 s36, vcc_lo, exec_lo
	s_or_b32 s23, s23, s36
	s_or_b32 exec_lo, exec_lo, s22
	s_and_saveexec_b32 s22, s23
	s_delay_alu instid0(SALU_CYCLE_1)
	s_xor_b32 s22, exec_lo, s22
	s_cbranch_execz .LBB282_12
.LBB282_19:                             ;   in Loop: Header=BB282_10 Depth=2
	v_dual_mov_b32 v0, v1 :: v_dual_mov_b32 v2, v1
	v_mov_b32_e32 v3, v1
	s_and_not1_b32 s21, s21, exec_lo
	ds_store_b128 v15, v[0:3]
	s_or_b32 exec_lo, exec_lo, s22
	s_and_saveexec_b32 s22, s21
	s_cbranch_execnz .LBB282_13
	s_branch .LBB282_14
.LBB282_20:                             ;   in Loop: Header=BB282_7 Depth=1
	v_mov_b64_e32 v[36:37], 0
	v_mov_b64_e32 v[26:27], 0
	;; [unrolled: 1-line block ×7, first 2 shown]
.LBB282_21:                             ;   in Loop: Header=BB282_7 Depth=1
	s_mul_u64 s[2:3], s[6:7], s[34:35]
	s_delay_alu instid0(SALU_CYCLE_1) | instskip(NEXT) | instid1(SALU_CYCLE_1)
	s_lshl_b64 s[2:3], s[2:3], 4
	s_add_nc_u64 s[2:3], s[30:31], s[2:3]
	s_delay_alu instid0(SALU_CYCLE_1)
	v_lshl_add_u64 v[24:25], v[10:11], 4, s[2:3]
	s_and_saveexec_b32 s21, s15
	s_cbranch_execz .LBB282_26
; %bb.22:                               ;   in Loop: Header=BB282_7 Depth=1
	v_mul_f64_e32 v[2:3], s[12:13], v[36:37]
	v_mul_f64_e32 v[4:5], s[10:11], v[36:37]
	s_and_b32 vcc_lo, exec_lo, s14
	s_mov_b32 s22, -1
	s_delay_alu instid0(VALU_DEP_2) | instskip(NEXT) | instid1(VALU_DEP_2)
	v_fma_f64 v[2:3], s[10:11], v[34:35], -v[2:3]
	v_fmac_f64_e32 v[4:5], s[12:13], v[34:35]
	v_lshl_add_u64 v[34:35], v[8:9], 4, v[24:25]
	s_cbranch_vccz .LBB282_24
; %bb.23:                               ;   in Loop: Header=BB282_7 Depth=1
	global_load_b128 v[44:47], v[34:35], off
	s_mov_b32 s22, 0
	s_wait_loadcnt 0x0
	v_mul_f64_e32 v[36:37], s[28:29], v[46:47]
	v_mul_f64_e32 v[46:47], s[26:27], v[46:47]
	s_delay_alu instid0(VALU_DEP_2) | instskip(NEXT) | instid1(VALU_DEP_2)
	v_fma_f64 v[36:37], s[26:27], v[44:45], -v[36:37]
	v_fmac_f64_e32 v[46:47], s[28:29], v[44:45]
	s_delay_alu instid0(VALU_DEP_2) | instskip(NEXT) | instid1(VALU_DEP_2)
	v_add_f64_e32 v[44:45], v[2:3], v[36:37]
	v_add_f64_e32 v[46:47], v[4:5], v[46:47]
	global_store_b128 v[34:35], v[44:47], off
.LBB282_24:                             ;   in Loop: Header=BB282_7 Depth=1
	s_and_not1_b32 vcc_lo, exec_lo, s22
	s_cbranch_vccnz .LBB282_26
; %bb.25:                               ;   in Loop: Header=BB282_7 Depth=1
	global_store_b128 v[34:35], v[2:5], off
.LBB282_26:                             ;   in Loop: Header=BB282_7 Depth=1
	s_wait_xcnt 0x0
	s_or_b32 exec_lo, exec_lo, s21
	s_and_saveexec_b32 s21, s16
	s_cbranch_execz .LBB282_31
; %bb.27:                               ;   in Loop: Header=BB282_7 Depth=1
	v_mul_f64_e32 v[2:3], s[12:13], v[28:29]
	v_mul_f64_e32 v[4:5], s[10:11], v[28:29]
	v_lshl_add_u64 v[24:25], v[16:17], 4, v[24:25]
	s_and_not1_b32 vcc_lo, exec_lo, s14
	s_mov_b32 s22, -1
	s_delay_alu instid0(VALU_DEP_3) | instskip(NEXT) | instid1(VALU_DEP_3)
	v_fma_f64 v[2:3], s[10:11], v[26:27], -v[2:3]
	v_fmac_f64_e32 v[4:5], s[12:13], v[26:27]
	s_cbranch_vccnz .LBB282_29
; %bb.28:                               ;   in Loop: Header=BB282_7 Depth=1
	global_load_b128 v[26:29], v[24:25], off
	s_mov_b32 s22, 0
	s_wait_loadcnt 0x0
	v_mul_f64_e32 v[34:35], s[28:29], v[28:29]
	v_mul_f64_e32 v[28:29], s[26:27], v[28:29]
	s_delay_alu instid0(VALU_DEP_2) | instskip(NEXT) | instid1(VALU_DEP_2)
	v_fma_f64 v[34:35], s[26:27], v[26:27], -v[34:35]
	v_fmac_f64_e32 v[28:29], s[28:29], v[26:27]
	s_delay_alu instid0(VALU_DEP_2) | instskip(NEXT) | instid1(VALU_DEP_2)
	v_add_f64_e32 v[26:27], v[2:3], v[34:35]
	v_add_f64_e32 v[28:29], v[4:5], v[28:29]
	global_store_b128 v[24:25], v[26:29], off
.LBB282_29:                             ;   in Loop: Header=BB282_7 Depth=1
	s_and_not1_b32 vcc_lo, exec_lo, s22
	s_cbranch_vccnz .LBB282_31
; %bb.30:                               ;   in Loop: Header=BB282_7 Depth=1
	global_store_b128 v[24:25], v[2:5], off
.LBB282_31:                             ;   in Loop: Header=BB282_7 Depth=1
	s_wait_xcnt 0x0
	s_or_b32 exec_lo, exec_lo, s21
	v_lshl_add_u64 v[24:25], v[12:13], 4, s[2:3]
	s_and_saveexec_b32 s2, s20
	s_cbranch_execz .LBB282_36
; %bb.32:                               ;   in Loop: Header=BB282_7 Depth=1
	v_mul_f64_e32 v[2:3], s[12:13], v[32:33]
	v_mul_f64_e32 v[4:5], s[10:11], v[32:33]
	v_lshl_add_u64 v[26:27], v[8:9], 4, v[24:25]
	s_and_not1_b32 vcc_lo, exec_lo, s14
	s_mov_b32 s3, -1
	s_delay_alu instid0(VALU_DEP_3) | instskip(NEXT) | instid1(VALU_DEP_3)
	v_fma_f64 v[2:3], s[10:11], v[30:31], -v[2:3]
	v_fmac_f64_e32 v[4:5], s[12:13], v[30:31]
	s_cbranch_vccnz .LBB282_34
; %bb.33:                               ;   in Loop: Header=BB282_7 Depth=1
	global_load_b128 v[28:31], v[26:27], off
	s_mov_b32 s3, 0
	s_wait_loadcnt 0x0
	v_mul_f64_e32 v[32:33], s[28:29], v[30:31]
	v_mul_f64_e32 v[30:31], s[26:27], v[30:31]
	s_delay_alu instid0(VALU_DEP_2) | instskip(NEXT) | instid1(VALU_DEP_2)
	v_fma_f64 v[32:33], s[26:27], v[28:29], -v[32:33]
	v_fmac_f64_e32 v[30:31], s[28:29], v[28:29]
	s_delay_alu instid0(VALU_DEP_2) | instskip(NEXT) | instid1(VALU_DEP_2)
	v_add_f64_e32 v[28:29], v[2:3], v[32:33]
	v_add_f64_e32 v[30:31], v[4:5], v[30:31]
	global_store_b128 v[26:27], v[28:31], off
.LBB282_34:                             ;   in Loop: Header=BB282_7 Depth=1
	s_and_not1_b32 vcc_lo, exec_lo, s3
	s_cbranch_vccnz .LBB282_36
; %bb.35:                               ;   in Loop: Header=BB282_7 Depth=1
	global_store_b128 v[26:27], v[2:5], off
.LBB282_36:                             ;   in Loop: Header=BB282_7 Depth=1
	s_wait_xcnt 0x0
	s_or_b32 exec_lo, exec_lo, s2
	s_and_saveexec_b32 s2, s4
	s_cbranch_execz .LBB282_6
; %bb.37:                               ;   in Loop: Header=BB282_7 Depth=1
	s_delay_alu instid0(VALU_DEP_3) | instskip(SKIP_4) | instid1(VALU_DEP_3)
	v_mul_f64_e32 v[2:3], s[12:13], v[38:39]
	v_mul_f64_e32 v[4:5], s[10:11], v[38:39]
	v_lshl_add_u64 v[24:25], v[16:17], 4, v[24:25]
	s_and_not1_b32 vcc_lo, exec_lo, s14
	s_mov_b32 s3, -1
	v_fma_f64 v[2:3], s[10:11], v[40:41], -v[2:3]
	s_delay_alu instid0(VALU_DEP_3)
	v_fmac_f64_e32 v[4:5], s[12:13], v[40:41]
	s_cbranch_vccnz .LBB282_39
; %bb.38:                               ;   in Loop: Header=BB282_7 Depth=1
	global_load_b128 v[26:29], v[24:25], off
	s_mov_b32 s3, 0
	s_wait_loadcnt 0x0
	v_mul_f64_e32 v[30:31], s[28:29], v[28:29]
	v_mul_f64_e32 v[28:29], s[26:27], v[28:29]
	s_delay_alu instid0(VALU_DEP_2) | instskip(NEXT) | instid1(VALU_DEP_2)
	v_fma_f64 v[30:31], s[26:27], v[26:27], -v[30:31]
	v_fmac_f64_e32 v[28:29], s[28:29], v[26:27]
	s_delay_alu instid0(VALU_DEP_2) | instskip(NEXT) | instid1(VALU_DEP_2)
	v_add_f64_e32 v[26:27], v[2:3], v[30:31]
	v_add_f64_e32 v[28:29], v[4:5], v[28:29]
	global_store_b128 v[24:25], v[26:29], off
.LBB282_39:                             ;   in Loop: Header=BB282_7 Depth=1
	s_and_not1_b32 vcc_lo, exec_lo, s3
	s_cbranch_vccnz .LBB282_6
; %bb.40:                               ;   in Loop: Header=BB282_7 Depth=1
	global_store_b128 v[24:25], v[2:5], off
	s_branch .LBB282_6
.LBB282_41:
.LBB282_42:
	s_sendmsg sendmsg(MSG_DEALLOC_VGPRS)
	s_endpgm
	.section	.rodata,"a",@progbits
	.p2align	6, 0x0
	.amdhsa_kernel _ZL29rocblas_internal_gemmt_kernelIlLi16ELi32ELi8ELc84ELc78ELc76ELb0ELb0E19rocblas_complex_numIdES1_PKS1_PS1_EviT_T9_T10_S5_lS7_S5_lS6_T11_S5_li
		.amdhsa_group_segment_fixed_size 8192
		.amdhsa_private_segment_fixed_size 0
		.amdhsa_kernarg_size 124
		.amdhsa_user_sgpr_count 2
		.amdhsa_user_sgpr_dispatch_ptr 0
		.amdhsa_user_sgpr_queue_ptr 0
		.amdhsa_user_sgpr_kernarg_segment_ptr 1
		.amdhsa_user_sgpr_dispatch_id 0
		.amdhsa_user_sgpr_kernarg_preload_length 0
		.amdhsa_user_sgpr_kernarg_preload_offset 0
		.amdhsa_user_sgpr_private_segment_size 0
		.amdhsa_wavefront_size32 1
		.amdhsa_uses_dynamic_stack 0
		.amdhsa_enable_private_segment 0
		.amdhsa_system_sgpr_workgroup_id_x 1
		.amdhsa_system_sgpr_workgroup_id_y 1
		.amdhsa_system_sgpr_workgroup_id_z 1
		.amdhsa_system_sgpr_workgroup_info 0
		.amdhsa_system_vgpr_workitem_id 1
		.amdhsa_next_free_vgpr 68
		.amdhsa_next_free_sgpr 39
		.amdhsa_named_barrier_count 0
		.amdhsa_reserve_vcc 1
		.amdhsa_float_round_mode_32 0
		.amdhsa_float_round_mode_16_64 0
		.amdhsa_float_denorm_mode_32 3
		.amdhsa_float_denorm_mode_16_64 3
		.amdhsa_fp16_overflow 0
		.amdhsa_memory_ordered 1
		.amdhsa_forward_progress 1
		.amdhsa_inst_pref_size 26
		.amdhsa_round_robin_scheduling 0
		.amdhsa_exception_fp_ieee_invalid_op 0
		.amdhsa_exception_fp_denorm_src 0
		.amdhsa_exception_fp_ieee_div_zero 0
		.amdhsa_exception_fp_ieee_overflow 0
		.amdhsa_exception_fp_ieee_underflow 0
		.amdhsa_exception_fp_ieee_inexact 0
		.amdhsa_exception_int_div_zero 0
	.end_amdhsa_kernel
	.section	.text._ZL29rocblas_internal_gemmt_kernelIlLi16ELi32ELi8ELc84ELc78ELc76ELb0ELb0E19rocblas_complex_numIdES1_PKS1_PS1_EviT_T9_T10_S5_lS7_S5_lS6_T11_S5_li,"axG",@progbits,_ZL29rocblas_internal_gemmt_kernelIlLi16ELi32ELi8ELc84ELc78ELc76ELb0ELb0E19rocblas_complex_numIdES1_PKS1_PS1_EviT_T9_T10_S5_lS7_S5_lS6_T11_S5_li,comdat
.Lfunc_end282:
	.size	_ZL29rocblas_internal_gemmt_kernelIlLi16ELi32ELi8ELc84ELc78ELc76ELb0ELb0E19rocblas_complex_numIdES1_PKS1_PS1_EviT_T9_T10_S5_lS7_S5_lS6_T11_S5_li, .Lfunc_end282-_ZL29rocblas_internal_gemmt_kernelIlLi16ELi32ELi8ELc84ELc78ELc76ELb0ELb0E19rocblas_complex_numIdES1_PKS1_PS1_EviT_T9_T10_S5_lS7_S5_lS6_T11_S5_li
                                        ; -- End function
	.set _ZL29rocblas_internal_gemmt_kernelIlLi16ELi32ELi8ELc84ELc78ELc76ELb0ELb0E19rocblas_complex_numIdES1_PKS1_PS1_EviT_T9_T10_S5_lS7_S5_lS6_T11_S5_li.num_vgpr, 68
	.set _ZL29rocblas_internal_gemmt_kernelIlLi16ELi32ELi8ELc84ELc78ELc76ELb0ELb0E19rocblas_complex_numIdES1_PKS1_PS1_EviT_T9_T10_S5_lS7_S5_lS6_T11_S5_li.num_agpr, 0
	.set _ZL29rocblas_internal_gemmt_kernelIlLi16ELi32ELi8ELc84ELc78ELc76ELb0ELb0E19rocblas_complex_numIdES1_PKS1_PS1_EviT_T9_T10_S5_lS7_S5_lS6_T11_S5_li.numbered_sgpr, 39
	.set _ZL29rocblas_internal_gemmt_kernelIlLi16ELi32ELi8ELc84ELc78ELc76ELb0ELb0E19rocblas_complex_numIdES1_PKS1_PS1_EviT_T9_T10_S5_lS7_S5_lS6_T11_S5_li.num_named_barrier, 0
	.set _ZL29rocblas_internal_gemmt_kernelIlLi16ELi32ELi8ELc84ELc78ELc76ELb0ELb0E19rocblas_complex_numIdES1_PKS1_PS1_EviT_T9_T10_S5_lS7_S5_lS6_T11_S5_li.private_seg_size, 0
	.set _ZL29rocblas_internal_gemmt_kernelIlLi16ELi32ELi8ELc84ELc78ELc76ELb0ELb0E19rocblas_complex_numIdES1_PKS1_PS1_EviT_T9_T10_S5_lS7_S5_lS6_T11_S5_li.uses_vcc, 1
	.set _ZL29rocblas_internal_gemmt_kernelIlLi16ELi32ELi8ELc84ELc78ELc76ELb0ELb0E19rocblas_complex_numIdES1_PKS1_PS1_EviT_T9_T10_S5_lS7_S5_lS6_T11_S5_li.uses_flat_scratch, 0
	.set _ZL29rocblas_internal_gemmt_kernelIlLi16ELi32ELi8ELc84ELc78ELc76ELb0ELb0E19rocblas_complex_numIdES1_PKS1_PS1_EviT_T9_T10_S5_lS7_S5_lS6_T11_S5_li.has_dyn_sized_stack, 0
	.set _ZL29rocblas_internal_gemmt_kernelIlLi16ELi32ELi8ELc84ELc78ELc76ELb0ELb0E19rocblas_complex_numIdES1_PKS1_PS1_EviT_T9_T10_S5_lS7_S5_lS6_T11_S5_li.has_recursion, 0
	.set _ZL29rocblas_internal_gemmt_kernelIlLi16ELi32ELi8ELc84ELc78ELc76ELb0ELb0E19rocblas_complex_numIdES1_PKS1_PS1_EviT_T9_T10_S5_lS7_S5_lS6_T11_S5_li.has_indirect_call, 0
	.section	.AMDGPU.csdata,"",@progbits
; Kernel info:
; codeLenInByte = 3228
; TotalNumSgprs: 41
; NumVgprs: 68
; ScratchSize: 0
; MemoryBound: 0
; FloatMode: 240
; IeeeMode: 1
; LDSByteSize: 8192 bytes/workgroup (compile time only)
; SGPRBlocks: 0
; VGPRBlocks: 4
; NumSGPRsForWavesPerEU: 41
; NumVGPRsForWavesPerEU: 68
; NamedBarCnt: 0
; Occupancy: 12
; WaveLimiterHint : 0
; COMPUTE_PGM_RSRC2:SCRATCH_EN: 0
; COMPUTE_PGM_RSRC2:USER_SGPR: 2
; COMPUTE_PGM_RSRC2:TRAP_HANDLER: 0
; COMPUTE_PGM_RSRC2:TGID_X_EN: 1
; COMPUTE_PGM_RSRC2:TGID_Y_EN: 1
; COMPUTE_PGM_RSRC2:TGID_Z_EN: 1
; COMPUTE_PGM_RSRC2:TIDIG_COMP_CNT: 1
	.section	.text._ZL29rocblas_internal_gemmt_kernelIlLi16ELi32ELi8ELc84ELc84ELc76ELb0ELb0E19rocblas_complex_numIdES1_PKS1_PS1_EviT_T9_T10_S5_lS7_S5_lS6_T11_S5_li,"axG",@progbits,_ZL29rocblas_internal_gemmt_kernelIlLi16ELi32ELi8ELc84ELc84ELc76ELb0ELb0E19rocblas_complex_numIdES1_PKS1_PS1_EviT_T9_T10_S5_lS7_S5_lS6_T11_S5_li,comdat
	.globl	_ZL29rocblas_internal_gemmt_kernelIlLi16ELi32ELi8ELc84ELc84ELc76ELb0ELb0E19rocblas_complex_numIdES1_PKS1_PS1_EviT_T9_T10_S5_lS7_S5_lS6_T11_S5_li ; -- Begin function _ZL29rocblas_internal_gemmt_kernelIlLi16ELi32ELi8ELc84ELc84ELc76ELb0ELb0E19rocblas_complex_numIdES1_PKS1_PS1_EviT_T9_T10_S5_lS7_S5_lS6_T11_S5_li
	.p2align	8
	.type	_ZL29rocblas_internal_gemmt_kernelIlLi16ELi32ELi8ELc84ELc84ELc76ELb0ELb0E19rocblas_complex_numIdES1_PKS1_PS1_EviT_T9_T10_S5_lS7_S5_lS6_T11_S5_li,@function
_ZL29rocblas_internal_gemmt_kernelIlLi16ELi32ELi8ELc84ELc84ELc76ELb0ELb0E19rocblas_complex_numIdES1_PKS1_PS1_EviT_T9_T10_S5_lS7_S5_lS6_T11_S5_li: ; @_ZL29rocblas_internal_gemmt_kernelIlLi16ELi32ELi8ELc84ELc84ELc76ELb0ELb0E19rocblas_complex_numIdES1_PKS1_PS1_EviT_T9_T10_S5_lS7_S5_lS6_T11_S5_li
; %bb.0:
	s_clause 0x1
	s_load_b256 s[24:31], s[0:1], 0x48
	s_load_b512 s[8:23], s[0:1], 0x8
	s_wait_kmcnt 0x0
	v_cmp_eq_f64_e64 s3, s[26:27], 1.0
	v_cmp_eq_f64_e64 s2, s[28:29], 0
	s_and_b32 s3, s3, s2
	s_delay_alu instid0(SALU_CYCLE_1)
	s_and_not1_b32 vcc_lo, exec_lo, s3
	s_mov_b32 s3, -1
	s_cbranch_vccnz .LBB283_3
; %bb.1:
	s_cmp_lg_u64 s[8:9], 0
	s_cbranch_scc0 .LBB283_41
; %bb.2:
	v_cmp_neq_f64_e64 s3, s[10:11], 0
	v_cmp_neq_f64_e64 s4, s[12:13], 0
	s_or_b32 s3, s3, s4
.LBB283_3:
	s_delay_alu instid0(SALU_CYCLE_1)
	s_and_b32 vcc_lo, exec_lo, s3
	s_cbranch_vccz .LBB283_42
; %bb.4:
	s_load_b32 s33, s[0:1], 0x78
	s_bfe_u32 s3, ttmp6, 0x40014
	s_lshr_b32 s4, ttmp7, 16
	s_add_co_i32 s3, s3, 1
	s_bfe_u32 s6, ttmp6, 0x40008
	s_mul_i32 s5, s4, s3
	s_getreg_b32 s3, hwreg(HW_REG_IB_STS2, 6, 4)
	s_add_co_i32 s6, s6, s5
	s_cmp_eq_u32 s3, 0
	s_mov_b32 s35, 0
	s_cselect_b32 s34, s4, s6
	s_wait_kmcnt 0x0
	s_cmp_ge_u32 s34, s33
	s_cbranch_scc1 .LBB283_42
; %bb.5:
	v_and_b32_e32 v9, 0x3ff, v0
	v_bfe_u32 v11, v0, 10, 10
	s_bfe_u32 s4, ttmp6, 0x4000c
	s_bfe_u32 s6, ttmp6, 0x40010
	s_add_co_i32 s4, s4, 1
	s_and_b32 s7, ttmp7, 0xffff
	s_add_co_i32 s6, s6, 1
	v_lshl_add_u32 v8, v11, 4, v9
	s_and_b32 s5, ttmp6, 15
	s_mul_i32 s4, ttmp9, s4
	s_mul_i32 s6, s7, s6
	s_bfe_u32 s36, ttmp6, 0x40004
	s_add_co_i32 s5, s5, s4
	s_add_co_i32 s36, s36, s6
	s_cmp_eq_u32 s3, 0
	v_and_b32_e32 v16, 31, v8
	s_cselect_b32 s3, ttmp9, s5
	s_cselect_b32 s36, s7, s36
	s_lshl_b32 s3, s3, 5
	s_load_b128 s[4:7], s[0:1], 0x68
	s_lshl_b32 s36, s36, 5
	s_delay_alu instid0(SALU_CYCLE_1) | instskip(SKIP_2) | instid1(VALU_DEP_3)
	v_dual_add_nc_u32 v4, s36, v11 :: v_dual_bitop2_b32 v2, s3, v16 bitop3:0x54
	v_dual_lshlrev_b32 v7, 4, v9 :: v_dual_bitop2_b32 v6, 7, v0 bitop3:0x40
	v_cmp_neq_f64_e64 s37, s[10:11], 0
	v_dual_ashrrev_i32 v3, 31, v2 :: v_dual_add_nc_u32 v22, 16, v4
	v_lshrrev_b32_e32 v17, 3, v8
	v_dual_ashrrev_i32 v5, 31, v4 :: v_dual_add_nc_u32 v10, s3, v9
	s_delay_alu instid0(VALU_DEP_3)
	v_mul_u64_e32 v[0:1], s[16:17], v[2:3]
	v_lshlrev_b32_e32 v3, 4, v6
	v_ashrrev_i32_e32 v23, 31, v22
	v_cmp_neq_f64_e64 s38, s[12:13], 0
	v_cmp_neq_f64_e64 s17, s[26:27], 0
	s_load_b32 s16, s[0:1], 0x0
	v_dual_lshrrev_b32 v8, 5, v8 :: v_dual_add_nc_u32 v18, s36, v17
	s_wait_kmcnt 0x0
	v_mul_u64_e32 v[12:13], s[4:5], v[4:5]
	v_mul_u64_e32 v[14:15], s[4:5], v[22:23]
	v_dual_lshlrev_b32 v5, 4, v16 :: v_dual_add_nc_u32 v16, 16, v10
	s_xor_b32 s40, s2, -1
	v_cmp_le_i32_e32 vcc_lo, v4, v10
	v_lshl_or_b32 v3, v17, 7, v3
	s_delay_alu instid0(VALU_DEP_3)
	v_dual_ashrrev_i32 v19, 31, v18 :: v_dual_ashrrev_i32 v17, 31, v16
	v_cmp_le_i32_e64 s3, v4, v16
	v_cmp_gt_i64_e64 s39, s[8:9], 0
	v_lshl_or_b32 v9, v8, 9, v5
	v_add_nc_u32_e32 v42, 0x1000, v3
	v_lshl_add_u32 v43, v11, 7, 0x1000
	v_ashrrev_i32_e32 v11, 31, v10
	v_cmp_gt_i32_e64 s2, s16, v10
	v_cmp_gt_i32_e64 s4, s16, v16
	;; [unrolled: 1-line block ×3, first 2 shown]
	v_cmp_le_i32_e64 s5, s16, v2
	v_cmp_gt_i32_e64 s1, s16, v18
	v_lshl_add_u64 v[18:19], v[18:19], 4, s[20:21]
	s_and_b32 s16, s3, s4
	v_lshl_add_u64 v[20:21], v[0:1], 4, s[14:15]
	s_and_b32 s15, vcc_lo, s2
	v_cmp_le_i32_e32 vcc_lo, v22, v10
	v_cmp_le_i32_e64 s3, v22, v16
	v_mov_b32_e32 v1, 0
	s_or_b32 s20, s37, s38
	s_or_b32 s14, s17, s40
	s_and_b32 s17, s20, s39
	s_and_b32 s20, vcc_lo, s2
	s_and_b32 s4, s3, s4
	s_xor_b32 s1, s1, -1
                                        ; implicit-def: $vgpr22_vgpr23
	s_branch .LBB283_7
.LBB283_6:                              ;   in Loop: Header=BB283_7 Depth=1
	s_wait_xcnt 0x0
	s_or_b32 exec_lo, exec_lo, s2
	s_add_co_i32 s34, s34, 0x10000
	s_delay_alu instid0(SALU_CYCLE_1)
	s_cmp_lt_u32 s34, s33
	s_cbranch_scc0 .LBB283_42
.LBB283_7:                              ; =>This Loop Header: Depth=1
                                        ;     Child Loop BB283_10 Depth 2
	v_mov_b64_e32 v[34:35], 0
	s_and_not1_b32 vcc_lo, exec_lo, s17
	s_cbranch_vccnz .LBB283_20
; %bb.8:                                ;   in Loop: Header=BB283_7 Depth=1
	s_mul_u64 s[2:3], s[24:25], s[34:35]
	s_mul_u64 s[36:37], s[18:19], s[34:35]
	v_mov_b64_e32 v[38:39], 0
	v_mov_b64_e32 v[40:41], 0
	;; [unrolled: 1-line block ×8, first 2 shown]
	v_lshl_add_u64 v[4:5], s[36:37], 4, v[20:21]
	v_lshl_add_u64 v[24:25], s[2:3], 4, v[18:19]
	s_mov_b64 s[2:3], 0
	s_branch .LBB283_10
.LBB283_9:                              ;   in Loop: Header=BB283_10 Depth=2
	s_wait_xcnt 0x0
	s_or_b32 exec_lo, exec_lo, s21
	s_wait_dscnt 0x0
	s_barrier_signal -1
	s_barrier_wait -1
	ds_load_b128 v[44:47], v43
	ds_load_b128 v[48:51], v43 offset:16
	ds_load_b128 v[52:55], v43 offset:32
	;; [unrolled: 1-line block ×3, first 2 shown]
	ds_load_b128 v[60:63], v7
	s_add_nc_u64 s[2:3], s[2:3], 8
	s_delay_alu instid0(SALU_CYCLE_1) | instskip(SKIP_4) | instid1(VALU_DEP_2)
	v_cmp_gt_i64_e64 s21, s[8:9], s[2:3]
	s_and_b32 vcc_lo, exec_lo, s21
	s_wait_dscnt 0x0
	v_mul_f64_e32 v[2:3], v[46:47], v[62:63]
	v_mul_f64_e32 v[64:65], v[44:45], v[62:63]
	v_fma_f64 v[2:3], v[44:45], v[60:61], -v[2:3]
	s_delay_alu instid0(VALU_DEP_2) | instskip(NEXT) | instid1(VALU_DEP_2)
	v_fmac_f64_e32 v[64:65], v[46:47], v[60:61]
	v_add_f64_e32 v[2:3], v[34:35], v[2:3]
	s_delay_alu instid0(VALU_DEP_2) | instskip(SKIP_3) | instid1(VALU_DEP_1)
	v_add_f64_e32 v[64:65], v[64:65], v[36:37]
	ds_load_b128 v[34:37], v7 offset:256
	s_wait_dscnt 0x0
	v_mul_f64_e32 v[66:67], v[46:47], v[36:37]
	v_fma_f64 v[66:67], v[44:45], v[34:35], -v[66:67]
	v_mul_f64_e32 v[44:45], v[44:45], v[36:37]
	s_delay_alu instid0(VALU_DEP_1) | instskip(NEXT) | instid1(VALU_DEP_3)
	v_fmac_f64_e32 v[44:45], v[46:47], v[34:35]
	v_add_f64_e32 v[46:47], v[26:27], v[66:67]
	s_delay_alu instid0(VALU_DEP_2) | instskip(SKIP_4) | instid1(VALU_DEP_2)
	v_add_f64_e32 v[44:45], v[44:45], v[28:29]
	ds_load_b128 v[26:29], v43 offset:2048
	s_wait_dscnt 0x0
	v_mul_f64_e32 v[66:67], v[28:29], v[62:63]
	v_mul_f64_e32 v[62:63], v[26:27], v[62:63]
	v_fma_f64 v[66:67], v[26:27], v[60:61], -v[66:67]
	s_delay_alu instid0(VALU_DEP_2) | instskip(NEXT) | instid1(VALU_DEP_2)
	v_fmac_f64_e32 v[62:63], v[28:29], v[60:61]
	v_add_f64_e32 v[60:61], v[30:31], v[66:67]
	v_mul_f64_e32 v[30:31], v[28:29], v[36:37]
	s_delay_alu instid0(VALU_DEP_3) | instskip(NEXT) | instid1(VALU_DEP_2)
	v_add_f64_e32 v[62:63], v[62:63], v[32:33]
	v_fma_f64 v[30:31], v[26:27], v[34:35], -v[30:31]
	v_mul_f64_e32 v[26:27], v[26:27], v[36:37]
	s_delay_alu instid0(VALU_DEP_2) | instskip(NEXT) | instid1(VALU_DEP_2)
	v_add_f64_e32 v[40:41], v[40:41], v[30:31]
	v_fmac_f64_e32 v[26:27], v[28:29], v[34:35]
	s_delay_alu instid0(VALU_DEP_1) | instskip(SKIP_4) | instid1(VALU_DEP_2)
	v_add_f64_e32 v[38:39], v[26:27], v[38:39]
	ds_load_b128 v[26:29], v7 offset:512
	s_wait_dscnt 0x0
	v_mul_f64_e32 v[30:31], v[50:51], v[28:29]
	v_mul_f64_e32 v[32:33], v[48:49], v[28:29]
	v_fma_f64 v[30:31], v[48:49], v[26:27], -v[30:31]
	s_delay_alu instid0(VALU_DEP_2) | instskip(NEXT) | instid1(VALU_DEP_2)
	v_fmac_f64_e32 v[32:33], v[50:51], v[26:27]
	v_add_f64_e32 v[2:3], v[2:3], v[30:31]
	s_delay_alu instid0(VALU_DEP_2) | instskip(SKIP_4) | instid1(VALU_DEP_2)
	v_add_f64_e32 v[64:65], v[32:33], v[64:65]
	ds_load_b128 v[30:33], v7 offset:768
	s_wait_dscnt 0x0
	v_mul_f64_e32 v[34:35], v[50:51], v[32:33]
	v_mul_f64_e32 v[36:37], v[48:49], v[32:33]
	v_fma_f64 v[34:35], v[48:49], v[30:31], -v[34:35]
	s_delay_alu instid0(VALU_DEP_2) | instskip(NEXT) | instid1(VALU_DEP_2)
	v_fmac_f64_e32 v[36:37], v[50:51], v[30:31]
	v_add_f64_e32 v[46:47], v[46:47], v[34:35]
	s_delay_alu instid0(VALU_DEP_2) | instskip(SKIP_4) | instid1(VALU_DEP_2)
	v_add_f64_e32 v[44:45], v[36:37], v[44:45]
	ds_load_b128 v[34:37], v43 offset:2064
	s_wait_dscnt 0x0
	v_mul_f64_e32 v[48:49], v[36:37], v[28:29]
	v_mul_f64_e32 v[28:29], v[34:35], v[28:29]
	v_fma_f64 v[48:49], v[34:35], v[26:27], -v[48:49]
	s_delay_alu instid0(VALU_DEP_2) | instskip(SKIP_1) | instid1(VALU_DEP_3)
	v_fmac_f64_e32 v[28:29], v[36:37], v[26:27]
	v_mul_f64_e32 v[26:27], v[36:37], v[32:33]
	v_add_f64_e32 v[48:49], v[60:61], v[48:49]
	s_delay_alu instid0(VALU_DEP_3) | instskip(SKIP_1) | instid1(VALU_DEP_4)
	v_add_f64_e32 v[50:51], v[28:29], v[62:63]
	v_mul_f64_e32 v[28:29], v[34:35], v[32:33]
	v_fma_f64 v[26:27], v[34:35], v[30:31], -v[26:27]
	s_delay_alu instid0(VALU_DEP_2) | instskip(NEXT) | instid1(VALU_DEP_2)
	v_fmac_f64_e32 v[28:29], v[36:37], v[30:31]
	v_add_f64_e32 v[40:41], v[40:41], v[26:27]
	s_delay_alu instid0(VALU_DEP_2) | instskip(SKIP_4) | instid1(VALU_DEP_2)
	v_add_f64_e32 v[38:39], v[28:29], v[38:39]
	ds_load_b128 v[26:29], v7 offset:1024
	s_wait_dscnt 0x0
	v_mul_f64_e32 v[30:31], v[54:55], v[28:29]
	v_mul_f64_e32 v[32:33], v[52:53], v[28:29]
	v_fma_f64 v[30:31], v[52:53], v[26:27], -v[30:31]
	s_delay_alu instid0(VALU_DEP_2) | instskip(NEXT) | instid1(VALU_DEP_2)
	v_fmac_f64_e32 v[32:33], v[54:55], v[26:27]
	v_add_f64_e32 v[2:3], v[2:3], v[30:31]
	s_delay_alu instid0(VALU_DEP_2) | instskip(SKIP_4) | instid1(VALU_DEP_2)
	v_add_f64_e32 v[60:61], v[32:33], v[64:65]
	ds_load_b128 v[30:33], v7 offset:1280
	s_wait_dscnt 0x0
	v_mul_f64_e32 v[34:35], v[54:55], v[32:33]
	;; [unrolled: 10-line block ×3, first 2 shown]
	v_mul_f64_e32 v[28:29], v[34:35], v[28:29]
	v_fma_f64 v[52:53], v[34:35], v[26:27], -v[52:53]
	s_delay_alu instid0(VALU_DEP_2) | instskip(SKIP_1) | instid1(VALU_DEP_3)
	v_fmac_f64_e32 v[28:29], v[36:37], v[26:27]
	v_mul_f64_e32 v[26:27], v[36:37], v[32:33]
	v_add_f64_e32 v[48:49], v[48:49], v[52:53]
	s_delay_alu instid0(VALU_DEP_3) | instskip(SKIP_1) | instid1(VALU_DEP_4)
	v_add_f64_e32 v[50:51], v[28:29], v[50:51]
	v_mul_f64_e32 v[28:29], v[34:35], v[32:33]
	v_fma_f64 v[26:27], v[34:35], v[30:31], -v[26:27]
	s_delay_alu instid0(VALU_DEP_2) | instskip(NEXT) | instid1(VALU_DEP_2)
	v_fmac_f64_e32 v[28:29], v[36:37], v[30:31]
	v_add_f64_e32 v[40:41], v[40:41], v[26:27]
	s_delay_alu instid0(VALU_DEP_2) | instskip(SKIP_4) | instid1(VALU_DEP_2)
	v_add_f64_e32 v[38:39], v[28:29], v[38:39]
	ds_load_b128 v[26:29], v7 offset:1536
	s_wait_dscnt 0x0
	v_mul_f64_e32 v[30:31], v[58:59], v[28:29]
	v_mul_f64_e32 v[32:33], v[56:57], v[28:29]
	v_fma_f64 v[30:31], v[56:57], v[26:27], -v[30:31]
	s_delay_alu instid0(VALU_DEP_2) | instskip(NEXT) | instid1(VALU_DEP_2)
	v_fmac_f64_e32 v[32:33], v[58:59], v[26:27]
	v_add_f64_e32 v[2:3], v[2:3], v[30:31]
	s_delay_alu instid0(VALU_DEP_2) | instskip(SKIP_4) | instid1(VALU_DEP_2)
	v_add_f64_e32 v[52:53], v[32:33], v[60:61]
	ds_load_b128 v[30:33], v7 offset:1792
	s_wait_dscnt 0x0
	v_mul_f64_e32 v[34:35], v[58:59], v[32:33]
	;; [unrolled: 10-line block ×3, first 2 shown]
	v_mul_f64_e32 v[28:29], v[34:35], v[28:29]
	v_fma_f64 v[54:55], v[34:35], v[26:27], -v[54:55]
	s_delay_alu instid0(VALU_DEP_2) | instskip(SKIP_1) | instid1(VALU_DEP_3)
	v_fmac_f64_e32 v[28:29], v[36:37], v[26:27]
	v_mul_f64_e32 v[26:27], v[36:37], v[32:33]
	v_add_f64_e32 v[48:49], v[48:49], v[54:55]
	s_delay_alu instid0(VALU_DEP_3) | instskip(SKIP_1) | instid1(VALU_DEP_4)
	v_add_f64_e32 v[50:51], v[28:29], v[50:51]
	v_mul_f64_e32 v[28:29], v[34:35], v[32:33]
	v_fma_f64 v[26:27], v[34:35], v[30:31], -v[26:27]
	s_delay_alu instid0(VALU_DEP_2) | instskip(NEXT) | instid1(VALU_DEP_2)
	v_fmac_f64_e32 v[28:29], v[36:37], v[30:31]
	v_add_f64_e32 v[40:41], v[40:41], v[26:27]
	s_delay_alu instid0(VALU_DEP_2)
	v_add_f64_e32 v[38:39], v[28:29], v[38:39]
	ds_load_b128 v[26:29], v43 offset:64
	ds_load_b128 v[30:33], v7 offset:2048
	s_wait_dscnt 0x0
	v_mul_f64_e32 v[34:35], v[28:29], v[32:33]
	v_mul_f64_e32 v[36:37], v[26:27], v[32:33]
	s_delay_alu instid0(VALU_DEP_2) | instskip(NEXT) | instid1(VALU_DEP_2)
	v_fma_f64 v[34:35], v[26:27], v[30:31], -v[34:35]
	v_fmac_f64_e32 v[36:37], v[28:29], v[30:31]
	s_delay_alu instid0(VALU_DEP_2) | instskip(NEXT) | instid1(VALU_DEP_2)
	v_add_f64_e32 v[2:3], v[2:3], v[34:35]
	v_add_f64_e32 v[52:53], v[36:37], v[52:53]
	ds_load_b128 v[34:37], v7 offset:2304
	s_wait_dscnt 0x0
	v_mul_f64_e32 v[54:55], v[28:29], v[36:37]
	s_delay_alu instid0(VALU_DEP_1) | instskip(SKIP_1) | instid1(VALU_DEP_2)
	v_fma_f64 v[54:55], v[26:27], v[34:35], -v[54:55]
	v_mul_f64_e32 v[26:27], v[26:27], v[36:37]
	v_add_f64_e32 v[46:47], v[46:47], v[54:55]
	s_delay_alu instid0(VALU_DEP_2) | instskip(NEXT) | instid1(VALU_DEP_1)
	v_fmac_f64_e32 v[26:27], v[28:29], v[34:35]
	v_add_f64_e32 v[44:45], v[26:27], v[44:45]
	ds_load_b128 v[26:29], v43 offset:2112
	s_wait_dscnt 0x0
	v_mul_f64_e32 v[54:55], v[28:29], v[32:33]
	v_mul_f64_e32 v[32:33], v[26:27], v[32:33]
	s_delay_alu instid0(VALU_DEP_2) | instskip(NEXT) | instid1(VALU_DEP_2)
	v_fma_f64 v[54:55], v[26:27], v[30:31], -v[54:55]
	v_fmac_f64_e32 v[32:33], v[28:29], v[30:31]
	v_mul_f64_e32 v[30:31], v[28:29], v[36:37]
	s_delay_alu instid0(VALU_DEP_3) | instskip(NEXT) | instid1(VALU_DEP_3)
	v_add_f64_e32 v[48:49], v[48:49], v[54:55]
	v_add_f64_e32 v[50:51], v[32:33], v[50:51]
	s_delay_alu instid0(VALU_DEP_3) | instskip(SKIP_1) | instid1(VALU_DEP_2)
	v_fma_f64 v[30:31], v[26:27], v[34:35], -v[30:31]
	v_mul_f64_e32 v[26:27], v[26:27], v[36:37]
	v_add_f64_e32 v[40:41], v[40:41], v[30:31]
	s_delay_alu instid0(VALU_DEP_2) | instskip(NEXT) | instid1(VALU_DEP_1)
	v_fmac_f64_e32 v[26:27], v[28:29], v[34:35]
	v_add_f64_e32 v[38:39], v[26:27], v[38:39]
	ds_load_b128 v[26:29], v43 offset:80
	ds_load_b128 v[30:33], v7 offset:2560
	s_wait_dscnt 0x0
	v_mul_f64_e32 v[34:35], v[28:29], v[32:33]
	v_mul_f64_e32 v[36:37], v[26:27], v[32:33]
	s_delay_alu instid0(VALU_DEP_2) | instskip(NEXT) | instid1(VALU_DEP_2)
	v_fma_f64 v[34:35], v[26:27], v[30:31], -v[34:35]
	v_fmac_f64_e32 v[36:37], v[28:29], v[30:31]
	s_delay_alu instid0(VALU_DEP_2) | instskip(NEXT) | instid1(VALU_DEP_2)
	v_add_f64_e32 v[2:3], v[2:3], v[34:35]
	v_add_f64_e32 v[52:53], v[36:37], v[52:53]
	ds_load_b128 v[34:37], v7 offset:2816
	s_wait_dscnt 0x0
	v_mul_f64_e32 v[54:55], v[28:29], v[36:37]
	s_delay_alu instid0(VALU_DEP_1) | instskip(SKIP_1) | instid1(VALU_DEP_2)
	v_fma_f64 v[54:55], v[26:27], v[34:35], -v[54:55]
	v_mul_f64_e32 v[26:27], v[26:27], v[36:37]
	v_add_f64_e32 v[46:47], v[46:47], v[54:55]
	s_delay_alu instid0(VALU_DEP_2) | instskip(NEXT) | instid1(VALU_DEP_1)
	v_fmac_f64_e32 v[26:27], v[28:29], v[34:35]
	v_add_f64_e32 v[44:45], v[26:27], v[44:45]
	ds_load_b128 v[26:29], v43 offset:2128
	s_wait_dscnt 0x0
	v_mul_f64_e32 v[54:55], v[28:29], v[32:33]
	v_mul_f64_e32 v[32:33], v[26:27], v[32:33]
	s_delay_alu instid0(VALU_DEP_2) | instskip(NEXT) | instid1(VALU_DEP_2)
	v_fma_f64 v[54:55], v[26:27], v[30:31], -v[54:55]
	v_fmac_f64_e32 v[32:33], v[28:29], v[30:31]
	v_mul_f64_e32 v[30:31], v[28:29], v[36:37]
	s_delay_alu instid0(VALU_DEP_3) | instskip(NEXT) | instid1(VALU_DEP_3)
	v_add_f64_e32 v[48:49], v[48:49], v[54:55]
	v_add_f64_e32 v[50:51], v[32:33], v[50:51]
	s_delay_alu instid0(VALU_DEP_3) | instskip(SKIP_1) | instid1(VALU_DEP_2)
	v_fma_f64 v[30:31], v[26:27], v[34:35], -v[30:31]
	v_mul_f64_e32 v[26:27], v[26:27], v[36:37]
	v_add_f64_e32 v[40:41], v[40:41], v[30:31]
	s_delay_alu instid0(VALU_DEP_2) | instskip(NEXT) | instid1(VALU_DEP_1)
	v_fmac_f64_e32 v[26:27], v[28:29], v[34:35]
	;; [unrolled: 39-line block ×3, first 2 shown]
	v_add_f64_e32 v[56:57], v[26:27], v[38:39]
	ds_load_b128 v[26:29], v43 offset:112
	ds_load_b128 v[30:33], v7 offset:3584
	;; [unrolled: 1-line block ×3, first 2 shown]
	s_wait_dscnt 0x1
	v_mul_f64_e32 v[34:35], v[28:29], v[32:33]
	v_mul_f64_e32 v[36:37], v[26:27], v[32:33]
	s_delay_alu instid0(VALU_DEP_2) | instskip(NEXT) | instid1(VALU_DEP_2)
	v_fma_f64 v[34:35], v[26:27], v[30:31], -v[34:35]
	v_fmac_f64_e32 v[36:37], v[28:29], v[30:31]
	s_delay_alu instid0(VALU_DEP_2) | instskip(NEXT) | instid1(VALU_DEP_2)
	v_add_f64_e32 v[34:35], v[2:3], v[34:35]
	v_add_f64_e32 v[36:37], v[36:37], v[52:53]
	s_wait_dscnt 0x0
	v_mul_f64_e32 v[2:3], v[28:29], v[40:41]
	v_mul_f64_e32 v[52:53], v[26:27], v[40:41]
	s_delay_alu instid0(VALU_DEP_2) | instskip(NEXT) | instid1(VALU_DEP_2)
	v_fma_f64 v[2:3], v[26:27], v[38:39], -v[2:3]
	v_fmac_f64_e32 v[52:53], v[28:29], v[38:39]
	s_delay_alu instid0(VALU_DEP_2) | instskip(NEXT) | instid1(VALU_DEP_2)
	v_add_f64_e32 v[26:27], v[46:47], v[2:3]
	v_add_f64_e32 v[28:29], v[52:53], v[44:45]
	ds_load_b128 v[44:47], v43 offset:2160
	s_wait_dscnt 0x0
	s_barrier_signal -1
	s_barrier_wait -1
	v_mul_f64_e32 v[2:3], v[46:47], v[32:33]
	v_mul_f64_e32 v[32:33], v[44:45], v[32:33]
	s_delay_alu instid0(VALU_DEP_2) | instskip(NEXT) | instid1(VALU_DEP_2)
	v_fma_f64 v[2:3], v[44:45], v[30:31], -v[2:3]
	v_fmac_f64_e32 v[32:33], v[46:47], v[30:31]
	s_delay_alu instid0(VALU_DEP_2) | instskip(SKIP_1) | instid1(VALU_DEP_3)
	v_add_f64_e32 v[30:31], v[48:49], v[2:3]
	v_mul_f64_e32 v[2:3], v[46:47], v[40:41]
	v_add_f64_e32 v[32:33], v[32:33], v[50:51]
	s_delay_alu instid0(VALU_DEP_2) | instskip(SKIP_1) | instid1(VALU_DEP_2)
	v_fma_f64 v[2:3], v[44:45], v[38:39], -v[2:3]
	v_mul_f64_e32 v[44:45], v[44:45], v[40:41]
	v_add_f64_e32 v[40:41], v[54:55], v[2:3]
	s_delay_alu instid0(VALU_DEP_2) | instskip(NEXT) | instid1(VALU_DEP_1)
	v_fmac_f64_e32 v[44:45], v[46:47], v[38:39]
	v_add_f64_e32 v[38:39], v[44:45], v[56:57]
	s_cbranch_vccz .LBB283_21
.LBB283_10:                             ;   Parent Loop BB283_7 Depth=1
                                        ; =>  This Inner Loop Header: Depth=2
	s_mov_b32 s21, 0
	s_mov_b32 s37, s5
	s_and_saveexec_b32 s36, s0
	s_cbranch_execnz .LBB283_18
; %bb.11:                               ;   in Loop: Header=BB283_10 Depth=2
	s_or_b32 exec_lo, exec_lo, s36
	s_and_saveexec_b32 s36, s37
	s_delay_alu instid0(SALU_CYCLE_1)
	s_xor_b32 s36, exec_lo, s36
	s_cbranch_execnz .LBB283_19
.LBB283_12:                             ;   in Loop: Header=BB283_10 Depth=2
	s_or_b32 exec_lo, exec_lo, s36
	s_and_saveexec_b32 s36, s21
	s_cbranch_execz .LBB283_14
.LBB283_13:                             ;   in Loop: Header=BB283_10 Depth=2
	v_lshl_add_u64 v[2:3], v[22:23], 4, v[4:5]
	global_load_b128 v[44:47], v[2:3], off
	s_wait_loadcnt 0x0
	ds_store_2addr_b64 v9, v[44:45], v[46:47] offset1:1
.LBB283_14:                             ;   in Loop: Header=BB283_10 Depth=2
	s_wait_xcnt 0x0
	s_or_b32 exec_lo, exec_lo, s36
	v_add_nc_u32_e32 v0, s2, v6
	s_delay_alu instid0(VALU_DEP_1) | instskip(SKIP_1) | instid1(SALU_CYCLE_1)
	v_cmp_le_u64_e32 vcc_lo, s[8:9], v[0:1]
	s_or_b32 s21, vcc_lo, s1
	s_and_saveexec_b32 s36, s21
	s_delay_alu instid0(SALU_CYCLE_1)
	s_xor_b32 s21, exec_lo, s36
; %bb.15:                               ;   in Loop: Header=BB283_10 Depth=2
	v_dual_mov_b32 v0, v1 :: v_dual_mov_b32 v2, v1
	v_mov_b32_e32 v3, v1
	ds_store_b128 v42, v[0:3]
; %bb.16:                               ;   in Loop: Header=BB283_10 Depth=2
	s_and_not1_saveexec_b32 s21, s21
	s_cbranch_execz .LBB283_9
; %bb.17:                               ;   in Loop: Header=BB283_10 Depth=2
	v_mul_u64_e32 v[2:3], s[22:23], v[0:1]
	s_delay_alu instid0(VALU_DEP_1)
	v_lshl_add_u64 v[2:3], v[2:3], 4, v[24:25]
	global_load_b128 v[44:47], v[2:3], off
	s_wait_loadcnt 0x0
	ds_store_2addr_b64 v42, v[44:45], v[46:47] offset1:1
	s_branch .LBB283_9
.LBB283_18:                             ;   in Loop: Header=BB283_10 Depth=2
	v_add_nc_u32_e32 v0, s2, v8
	s_and_not1_b32 s37, s5, exec_lo
	s_mov_b32 s21, exec_lo
	s_delay_alu instid0(VALU_DEP_1) | instskip(SKIP_2) | instid1(SALU_CYCLE_1)
	v_cmp_le_u64_e32 vcc_lo, s[8:9], v[0:1]
	v_mov_b64_e32 v[22:23], v[0:1]
	s_and_b32 s38, vcc_lo, exec_lo
	s_or_b32 s37, s37, s38
	s_or_b32 exec_lo, exec_lo, s36
	s_and_saveexec_b32 s36, s37
	s_delay_alu instid0(SALU_CYCLE_1)
	s_xor_b32 s36, exec_lo, s36
	s_cbranch_execz .LBB283_12
.LBB283_19:                             ;   in Loop: Header=BB283_10 Depth=2
	v_dual_mov_b32 v0, v1 :: v_dual_mov_b32 v2, v1
	v_mov_b32_e32 v3, v1
	s_and_not1_b32 s21, s21, exec_lo
	ds_store_b128 v9, v[0:3]
	s_or_b32 exec_lo, exec_lo, s36
	s_and_saveexec_b32 s36, s21
	s_cbranch_execnz .LBB283_13
	s_branch .LBB283_14
.LBB283_20:                             ;   in Loop: Header=BB283_7 Depth=1
	v_mov_b64_e32 v[36:37], 0
	v_mov_b64_e32 v[26:27], 0
	;; [unrolled: 1-line block ×7, first 2 shown]
.LBB283_21:                             ;   in Loop: Header=BB283_7 Depth=1
	s_mul_u64 s[2:3], s[6:7], s[34:35]
	s_delay_alu instid0(SALU_CYCLE_1) | instskip(NEXT) | instid1(SALU_CYCLE_1)
	s_lshl_b64 s[2:3], s[2:3], 4
	s_add_nc_u64 s[2:3], s[30:31], s[2:3]
	s_delay_alu instid0(SALU_CYCLE_1)
	v_lshl_add_u64 v[24:25], v[12:13], 4, s[2:3]
	s_and_saveexec_b32 s21, s15
	s_cbranch_execz .LBB283_26
; %bb.22:                               ;   in Loop: Header=BB283_7 Depth=1
	v_mul_f64_e32 v[2:3], s[12:13], v[36:37]
	v_mul_f64_e32 v[4:5], s[10:11], v[36:37]
	s_and_b32 vcc_lo, exec_lo, s14
	s_mov_b32 s36, -1
	s_delay_alu instid0(VALU_DEP_2) | instskip(NEXT) | instid1(VALU_DEP_2)
	v_fma_f64 v[2:3], s[10:11], v[34:35], -v[2:3]
	v_fmac_f64_e32 v[4:5], s[12:13], v[34:35]
	v_lshl_add_u64 v[34:35], v[10:11], 4, v[24:25]
	s_cbranch_vccz .LBB283_24
; %bb.23:                               ;   in Loop: Header=BB283_7 Depth=1
	global_load_b128 v[44:47], v[34:35], off
	s_mov_b32 s36, 0
	s_wait_loadcnt 0x0
	v_mul_f64_e32 v[36:37], s[28:29], v[46:47]
	v_mul_f64_e32 v[46:47], s[26:27], v[46:47]
	s_delay_alu instid0(VALU_DEP_2) | instskip(NEXT) | instid1(VALU_DEP_2)
	v_fma_f64 v[36:37], s[26:27], v[44:45], -v[36:37]
	v_fmac_f64_e32 v[46:47], s[28:29], v[44:45]
	s_delay_alu instid0(VALU_DEP_2) | instskip(NEXT) | instid1(VALU_DEP_2)
	v_add_f64_e32 v[44:45], v[2:3], v[36:37]
	v_add_f64_e32 v[46:47], v[4:5], v[46:47]
	global_store_b128 v[34:35], v[44:47], off
.LBB283_24:                             ;   in Loop: Header=BB283_7 Depth=1
	s_and_not1_b32 vcc_lo, exec_lo, s36
	s_cbranch_vccnz .LBB283_26
; %bb.25:                               ;   in Loop: Header=BB283_7 Depth=1
	global_store_b128 v[34:35], v[2:5], off
.LBB283_26:                             ;   in Loop: Header=BB283_7 Depth=1
	s_wait_xcnt 0x0
	s_or_b32 exec_lo, exec_lo, s21
	s_and_saveexec_b32 s21, s16
	s_cbranch_execz .LBB283_31
; %bb.27:                               ;   in Loop: Header=BB283_7 Depth=1
	v_mul_f64_e32 v[2:3], s[12:13], v[28:29]
	v_mul_f64_e32 v[4:5], s[10:11], v[28:29]
	v_lshl_add_u64 v[24:25], v[16:17], 4, v[24:25]
	s_and_not1_b32 vcc_lo, exec_lo, s14
	s_mov_b32 s36, -1
	s_delay_alu instid0(VALU_DEP_3) | instskip(NEXT) | instid1(VALU_DEP_3)
	v_fma_f64 v[2:3], s[10:11], v[26:27], -v[2:3]
	v_fmac_f64_e32 v[4:5], s[12:13], v[26:27]
	s_cbranch_vccnz .LBB283_29
; %bb.28:                               ;   in Loop: Header=BB283_7 Depth=1
	global_load_b128 v[26:29], v[24:25], off
	s_mov_b32 s36, 0
	s_wait_loadcnt 0x0
	v_mul_f64_e32 v[34:35], s[28:29], v[28:29]
	v_mul_f64_e32 v[28:29], s[26:27], v[28:29]
	s_delay_alu instid0(VALU_DEP_2) | instskip(NEXT) | instid1(VALU_DEP_2)
	v_fma_f64 v[34:35], s[26:27], v[26:27], -v[34:35]
	v_fmac_f64_e32 v[28:29], s[28:29], v[26:27]
	s_delay_alu instid0(VALU_DEP_2) | instskip(NEXT) | instid1(VALU_DEP_2)
	v_add_f64_e32 v[26:27], v[2:3], v[34:35]
	v_add_f64_e32 v[28:29], v[4:5], v[28:29]
	global_store_b128 v[24:25], v[26:29], off
.LBB283_29:                             ;   in Loop: Header=BB283_7 Depth=1
	s_and_not1_b32 vcc_lo, exec_lo, s36
	s_cbranch_vccnz .LBB283_31
; %bb.30:                               ;   in Loop: Header=BB283_7 Depth=1
	global_store_b128 v[24:25], v[2:5], off
.LBB283_31:                             ;   in Loop: Header=BB283_7 Depth=1
	s_wait_xcnt 0x0
	s_or_b32 exec_lo, exec_lo, s21
	v_lshl_add_u64 v[24:25], v[14:15], 4, s[2:3]
	s_and_saveexec_b32 s2, s20
	s_cbranch_execz .LBB283_36
; %bb.32:                               ;   in Loop: Header=BB283_7 Depth=1
	v_mul_f64_e32 v[2:3], s[12:13], v[32:33]
	v_mul_f64_e32 v[4:5], s[10:11], v[32:33]
	v_lshl_add_u64 v[26:27], v[10:11], 4, v[24:25]
	s_and_not1_b32 vcc_lo, exec_lo, s14
	s_mov_b32 s3, -1
	s_delay_alu instid0(VALU_DEP_3) | instskip(NEXT) | instid1(VALU_DEP_3)
	v_fma_f64 v[2:3], s[10:11], v[30:31], -v[2:3]
	v_fmac_f64_e32 v[4:5], s[12:13], v[30:31]
	s_cbranch_vccnz .LBB283_34
; %bb.33:                               ;   in Loop: Header=BB283_7 Depth=1
	global_load_b128 v[28:31], v[26:27], off
	s_mov_b32 s3, 0
	s_wait_loadcnt 0x0
	v_mul_f64_e32 v[32:33], s[28:29], v[30:31]
	v_mul_f64_e32 v[30:31], s[26:27], v[30:31]
	s_delay_alu instid0(VALU_DEP_2) | instskip(NEXT) | instid1(VALU_DEP_2)
	v_fma_f64 v[32:33], s[26:27], v[28:29], -v[32:33]
	v_fmac_f64_e32 v[30:31], s[28:29], v[28:29]
	s_delay_alu instid0(VALU_DEP_2) | instskip(NEXT) | instid1(VALU_DEP_2)
	v_add_f64_e32 v[28:29], v[2:3], v[32:33]
	v_add_f64_e32 v[30:31], v[4:5], v[30:31]
	global_store_b128 v[26:27], v[28:31], off
.LBB283_34:                             ;   in Loop: Header=BB283_7 Depth=1
	s_and_not1_b32 vcc_lo, exec_lo, s3
	s_cbranch_vccnz .LBB283_36
; %bb.35:                               ;   in Loop: Header=BB283_7 Depth=1
	global_store_b128 v[26:27], v[2:5], off
.LBB283_36:                             ;   in Loop: Header=BB283_7 Depth=1
	s_wait_xcnt 0x0
	s_or_b32 exec_lo, exec_lo, s2
	s_and_saveexec_b32 s2, s4
	s_cbranch_execz .LBB283_6
; %bb.37:                               ;   in Loop: Header=BB283_7 Depth=1
	s_delay_alu instid0(VALU_DEP_3) | instskip(SKIP_4) | instid1(VALU_DEP_3)
	v_mul_f64_e32 v[2:3], s[12:13], v[38:39]
	v_mul_f64_e32 v[4:5], s[10:11], v[38:39]
	v_lshl_add_u64 v[24:25], v[16:17], 4, v[24:25]
	s_and_not1_b32 vcc_lo, exec_lo, s14
	s_mov_b32 s3, -1
	v_fma_f64 v[2:3], s[10:11], v[40:41], -v[2:3]
	s_delay_alu instid0(VALU_DEP_3)
	v_fmac_f64_e32 v[4:5], s[12:13], v[40:41]
	s_cbranch_vccnz .LBB283_39
; %bb.38:                               ;   in Loop: Header=BB283_7 Depth=1
	global_load_b128 v[26:29], v[24:25], off
	s_mov_b32 s3, 0
	s_wait_loadcnt 0x0
	v_mul_f64_e32 v[30:31], s[28:29], v[28:29]
	v_mul_f64_e32 v[28:29], s[26:27], v[28:29]
	s_delay_alu instid0(VALU_DEP_2) | instskip(NEXT) | instid1(VALU_DEP_2)
	v_fma_f64 v[30:31], s[26:27], v[26:27], -v[30:31]
	v_fmac_f64_e32 v[28:29], s[28:29], v[26:27]
	s_delay_alu instid0(VALU_DEP_2) | instskip(NEXT) | instid1(VALU_DEP_2)
	v_add_f64_e32 v[26:27], v[2:3], v[30:31]
	v_add_f64_e32 v[28:29], v[4:5], v[28:29]
	global_store_b128 v[24:25], v[26:29], off
.LBB283_39:                             ;   in Loop: Header=BB283_7 Depth=1
	s_and_not1_b32 vcc_lo, exec_lo, s3
	s_cbranch_vccnz .LBB283_6
; %bb.40:                               ;   in Loop: Header=BB283_7 Depth=1
	global_store_b128 v[24:25], v[2:5], off
	s_branch .LBB283_6
.LBB283_41:
.LBB283_42:
	s_sendmsg sendmsg(MSG_DEALLOC_VGPRS)
	s_endpgm
	.section	.rodata,"a",@progbits
	.p2align	6, 0x0
	.amdhsa_kernel _ZL29rocblas_internal_gemmt_kernelIlLi16ELi32ELi8ELc84ELc84ELc76ELb0ELb0E19rocblas_complex_numIdES1_PKS1_PS1_EviT_T9_T10_S5_lS7_S5_lS6_T11_S5_li
		.amdhsa_group_segment_fixed_size 8192
		.amdhsa_private_segment_fixed_size 0
		.amdhsa_kernarg_size 124
		.amdhsa_user_sgpr_count 2
		.amdhsa_user_sgpr_dispatch_ptr 0
		.amdhsa_user_sgpr_queue_ptr 0
		.amdhsa_user_sgpr_kernarg_segment_ptr 1
		.amdhsa_user_sgpr_dispatch_id 0
		.amdhsa_user_sgpr_kernarg_preload_length 0
		.amdhsa_user_sgpr_kernarg_preload_offset 0
		.amdhsa_user_sgpr_private_segment_size 0
		.amdhsa_wavefront_size32 1
		.amdhsa_uses_dynamic_stack 0
		.amdhsa_enable_private_segment 0
		.amdhsa_system_sgpr_workgroup_id_x 1
		.amdhsa_system_sgpr_workgroup_id_y 1
		.amdhsa_system_sgpr_workgroup_id_z 1
		.amdhsa_system_sgpr_workgroup_info 0
		.amdhsa_system_vgpr_workitem_id 1
		.amdhsa_next_free_vgpr 68
		.amdhsa_next_free_sgpr 41
		.amdhsa_named_barrier_count 0
		.amdhsa_reserve_vcc 1
		.amdhsa_float_round_mode_32 0
		.amdhsa_float_round_mode_16_64 0
		.amdhsa_float_denorm_mode_32 3
		.amdhsa_float_denorm_mode_16_64 3
		.amdhsa_fp16_overflow 0
		.amdhsa_memory_ordered 1
		.amdhsa_forward_progress 1
		.amdhsa_inst_pref_size 26
		.amdhsa_round_robin_scheduling 0
		.amdhsa_exception_fp_ieee_invalid_op 0
		.amdhsa_exception_fp_denorm_src 0
		.amdhsa_exception_fp_ieee_div_zero 0
		.amdhsa_exception_fp_ieee_overflow 0
		.amdhsa_exception_fp_ieee_underflow 0
		.amdhsa_exception_fp_ieee_inexact 0
		.amdhsa_exception_int_div_zero 0
	.end_amdhsa_kernel
	.section	.text._ZL29rocblas_internal_gemmt_kernelIlLi16ELi32ELi8ELc84ELc84ELc76ELb0ELb0E19rocblas_complex_numIdES1_PKS1_PS1_EviT_T9_T10_S5_lS7_S5_lS6_T11_S5_li,"axG",@progbits,_ZL29rocblas_internal_gemmt_kernelIlLi16ELi32ELi8ELc84ELc84ELc76ELb0ELb0E19rocblas_complex_numIdES1_PKS1_PS1_EviT_T9_T10_S5_lS7_S5_lS6_T11_S5_li,comdat
.Lfunc_end283:
	.size	_ZL29rocblas_internal_gemmt_kernelIlLi16ELi32ELi8ELc84ELc84ELc76ELb0ELb0E19rocblas_complex_numIdES1_PKS1_PS1_EviT_T9_T10_S5_lS7_S5_lS6_T11_S5_li, .Lfunc_end283-_ZL29rocblas_internal_gemmt_kernelIlLi16ELi32ELi8ELc84ELc84ELc76ELb0ELb0E19rocblas_complex_numIdES1_PKS1_PS1_EviT_T9_T10_S5_lS7_S5_lS6_T11_S5_li
                                        ; -- End function
	.set _ZL29rocblas_internal_gemmt_kernelIlLi16ELi32ELi8ELc84ELc84ELc76ELb0ELb0E19rocblas_complex_numIdES1_PKS1_PS1_EviT_T9_T10_S5_lS7_S5_lS6_T11_S5_li.num_vgpr, 68
	.set _ZL29rocblas_internal_gemmt_kernelIlLi16ELi32ELi8ELc84ELc84ELc76ELb0ELb0E19rocblas_complex_numIdES1_PKS1_PS1_EviT_T9_T10_S5_lS7_S5_lS6_T11_S5_li.num_agpr, 0
	.set _ZL29rocblas_internal_gemmt_kernelIlLi16ELi32ELi8ELc84ELc84ELc76ELb0ELb0E19rocblas_complex_numIdES1_PKS1_PS1_EviT_T9_T10_S5_lS7_S5_lS6_T11_S5_li.numbered_sgpr, 41
	.set _ZL29rocblas_internal_gemmt_kernelIlLi16ELi32ELi8ELc84ELc84ELc76ELb0ELb0E19rocblas_complex_numIdES1_PKS1_PS1_EviT_T9_T10_S5_lS7_S5_lS6_T11_S5_li.num_named_barrier, 0
	.set _ZL29rocblas_internal_gemmt_kernelIlLi16ELi32ELi8ELc84ELc84ELc76ELb0ELb0E19rocblas_complex_numIdES1_PKS1_PS1_EviT_T9_T10_S5_lS7_S5_lS6_T11_S5_li.private_seg_size, 0
	.set _ZL29rocblas_internal_gemmt_kernelIlLi16ELi32ELi8ELc84ELc84ELc76ELb0ELb0E19rocblas_complex_numIdES1_PKS1_PS1_EviT_T9_T10_S5_lS7_S5_lS6_T11_S5_li.uses_vcc, 1
	.set _ZL29rocblas_internal_gemmt_kernelIlLi16ELi32ELi8ELc84ELc84ELc76ELb0ELb0E19rocblas_complex_numIdES1_PKS1_PS1_EviT_T9_T10_S5_lS7_S5_lS6_T11_S5_li.uses_flat_scratch, 0
	.set _ZL29rocblas_internal_gemmt_kernelIlLi16ELi32ELi8ELc84ELc84ELc76ELb0ELb0E19rocblas_complex_numIdES1_PKS1_PS1_EviT_T9_T10_S5_lS7_S5_lS6_T11_S5_li.has_dyn_sized_stack, 0
	.set _ZL29rocblas_internal_gemmt_kernelIlLi16ELi32ELi8ELc84ELc84ELc76ELb0ELb0E19rocblas_complex_numIdES1_PKS1_PS1_EviT_T9_T10_S5_lS7_S5_lS6_T11_S5_li.has_recursion, 0
	.set _ZL29rocblas_internal_gemmt_kernelIlLi16ELi32ELi8ELc84ELc84ELc76ELb0ELb0E19rocblas_complex_numIdES1_PKS1_PS1_EviT_T9_T10_S5_lS7_S5_lS6_T11_S5_li.has_indirect_call, 0
	.section	.AMDGPU.csdata,"",@progbits
; Kernel info:
; codeLenInByte = 3224
; TotalNumSgprs: 43
; NumVgprs: 68
; ScratchSize: 0
; MemoryBound: 0
; FloatMode: 240
; IeeeMode: 1
; LDSByteSize: 8192 bytes/workgroup (compile time only)
; SGPRBlocks: 0
; VGPRBlocks: 4
; NumSGPRsForWavesPerEU: 43
; NumVGPRsForWavesPerEU: 68
; NamedBarCnt: 0
; Occupancy: 12
; WaveLimiterHint : 0
; COMPUTE_PGM_RSRC2:SCRATCH_EN: 0
; COMPUTE_PGM_RSRC2:USER_SGPR: 2
; COMPUTE_PGM_RSRC2:TRAP_HANDLER: 0
; COMPUTE_PGM_RSRC2:TGID_X_EN: 1
; COMPUTE_PGM_RSRC2:TGID_Y_EN: 1
; COMPUTE_PGM_RSRC2:TGID_Z_EN: 1
; COMPUTE_PGM_RSRC2:TIDIG_COMP_CNT: 1
	.section	.text._ZL29rocblas_internal_gemmt_kernelIlLi16ELi32ELi8ELc84ELc67ELc76ELb0ELb1E19rocblas_complex_numIdES1_PKS1_PS1_EviT_T9_T10_S5_lS7_S5_lS6_T11_S5_li,"axG",@progbits,_ZL29rocblas_internal_gemmt_kernelIlLi16ELi32ELi8ELc84ELc67ELc76ELb0ELb1E19rocblas_complex_numIdES1_PKS1_PS1_EviT_T9_T10_S5_lS7_S5_lS6_T11_S5_li,comdat
	.globl	_ZL29rocblas_internal_gemmt_kernelIlLi16ELi32ELi8ELc84ELc67ELc76ELb0ELb1E19rocblas_complex_numIdES1_PKS1_PS1_EviT_T9_T10_S5_lS7_S5_lS6_T11_S5_li ; -- Begin function _ZL29rocblas_internal_gemmt_kernelIlLi16ELi32ELi8ELc84ELc67ELc76ELb0ELb1E19rocblas_complex_numIdES1_PKS1_PS1_EviT_T9_T10_S5_lS7_S5_lS6_T11_S5_li
	.p2align	8
	.type	_ZL29rocblas_internal_gemmt_kernelIlLi16ELi32ELi8ELc84ELc67ELc76ELb0ELb1E19rocblas_complex_numIdES1_PKS1_PS1_EviT_T9_T10_S5_lS7_S5_lS6_T11_S5_li,@function
_ZL29rocblas_internal_gemmt_kernelIlLi16ELi32ELi8ELc84ELc67ELc76ELb0ELb1E19rocblas_complex_numIdES1_PKS1_PS1_EviT_T9_T10_S5_lS7_S5_lS6_T11_S5_li: ; @_ZL29rocblas_internal_gemmt_kernelIlLi16ELi32ELi8ELc84ELc67ELc76ELb0ELb1E19rocblas_complex_numIdES1_PKS1_PS1_EviT_T9_T10_S5_lS7_S5_lS6_T11_S5_li
; %bb.0:
	s_clause 0x1
	s_load_b256 s[24:31], s[0:1], 0x48
	s_load_b512 s[8:23], s[0:1], 0x8
	s_wait_kmcnt 0x0
	v_cmp_eq_f64_e64 s3, s[26:27], 1.0
	v_cmp_eq_f64_e64 s2, s[28:29], 0
	s_and_b32 s3, s3, s2
	s_delay_alu instid0(SALU_CYCLE_1)
	s_and_not1_b32 vcc_lo, exec_lo, s3
	s_mov_b32 s3, -1
	s_cbranch_vccnz .LBB284_3
; %bb.1:
	s_cmp_lg_u64 s[8:9], 0
	s_cbranch_scc0 .LBB284_39
; %bb.2:
	v_cmp_neq_f64_e64 s3, s[10:11], 0
	v_cmp_neq_f64_e64 s4, s[12:13], 0
	s_or_b32 s3, s3, s4
.LBB284_3:
	s_delay_alu instid0(SALU_CYCLE_1)
	s_and_b32 vcc_lo, exec_lo, s3
	s_cbranch_vccz .LBB284_40
; %bb.4:
	s_load_b32 s33, s[0:1], 0x78
	s_bfe_u32 s3, ttmp6, 0x40014
	s_lshr_b32 s4, ttmp7, 16
	s_add_co_i32 s3, s3, 1
	s_bfe_u32 s6, ttmp6, 0x40008
	s_mul_i32 s5, s4, s3
	s_getreg_b32 s3, hwreg(HW_REG_IB_STS2, 6, 4)
	s_add_co_i32 s6, s6, s5
	s_cmp_eq_u32 s3, 0
	s_mov_b32 s35, 0
	s_cselect_b32 s34, s4, s6
	s_wait_kmcnt 0x0
	s_cmp_ge_u32 s34, s33
	s_cbranch_scc1 .LBB284_40
; %bb.5:
	v_and_b32_e32 v8, 0x3ff, v0
	v_bfe_u32 v1, v0, 10, 10
	s_bfe_u32 s4, ttmp6, 0x4000c
	s_bfe_u32 s6, ttmp6, 0x40010
	s_add_co_i32 s4, s4, 1
	s_and_b32 s7, ttmp7, 0xffff
	s_add_co_i32 s6, s6, 1
	v_lshl_add_u32 v9, v1, 4, v8
	s_and_b32 s5, ttmp6, 15
	s_mul_i32 s4, ttmp9, s4
	s_mul_i32 s6, s7, s6
	s_bfe_u32 s36, ttmp6, 0x40004
	s_add_co_i32 s5, s5, s4
	s_add_co_i32 s36, s36, s6
	s_cmp_eq_u32 s3, 0
	v_and_b32_e32 v16, 31, v9
	s_cselect_b32 s3, ttmp9, s5
	s_cselect_b32 s36, s7, s36
	s_clause 0x1
	s_load_b128 s[4:7], s[0:1], 0x68
	s_load_b32 s39, s[0:1], 0x0
	s_lshl_b32 s3, s3, 5
	s_lshl_b32 s36, s36, 5
	s_delay_alu instid0(SALU_CYCLE_1) | instskip(SKIP_3) | instid1(VALU_DEP_4)
	v_dual_add_nc_u32 v22, s36, v1 :: v_dual_bitop2_b32 v2, s3, v16 bitop3:0x54
	v_and_b32_e32 v6, 7, v0
	v_lshl_add_u32 v15, v1, 7, 0x1000
	v_cmp_neq_f64_e64 s37, s[10:11], 0
	v_ashrrev_i32_e32 v3, 31, v2
	v_dual_add_nc_u32 v0, 16, v22 :: v_dual_ashrrev_i32 v23, 31, v22
	v_cmp_neq_f64_e64 s38, s[12:13], 0
	v_lshrrev_b32_e32 v17, 3, v9
	s_delay_alu instid0(VALU_DEP_4) | instskip(NEXT) | instid1(VALU_DEP_4)
	v_mul_u64_e32 v[4:5], s[16:17], v[2:3]
	v_ashrrev_i32_e32 v1, 31, v0
	v_cmp_neq_f64_e64 s17, s[26:27], 0
	v_dual_lshlrev_b32 v3, 4, v6 :: v_dual_lshlrev_b32 v7, 4, v8
	v_add_nc_u32_e32 v8, s3, v8
	s_wait_kmcnt 0x0
	v_mul_u64_e32 v[10:11], s[4:5], v[22:23]
	v_mul_u64_e32 v[12:13], s[4:5], v[0:1]
	v_add_nc_u32_e32 v18, s36, v17
	s_xor_b32 s41, s2, -1
	v_dual_lshrrev_b32 v14, 5, v9 :: v_dual_lshlrev_b32 v1, 4, v16
	v_cmp_le_i32_e32 vcc_lo, v22, v8
	v_add_nc_u32_e32 v16, 16, v8
	v_cmp_gt_i32_e64 s2, s39, v8
	v_lshl_or_b32 v3, v17, 7, v3
	v_dual_ashrrev_i32 v19, 31, v18 :: v_dual_ashrrev_i32 v9, 31, v8
	v_cmp_gt_i64_e64 s40, s[8:9], 0
	v_cmp_gt_i32_e64 s3, s39, v16
	v_cmp_le_i32_e64 s4, v0, v8
	v_cmp_le_i32_e64 s5, v0, v16
	v_cmp_gt_i32_e64 s0, s39, v2
	v_cmp_le_i32_e64 s16, s39, v2
	v_lshl_or_b32 v44, v14, 9, v1
	v_cmp_gt_i32_e64 s1, s39, v18
	v_add_nc_u32_e32 v45, 0x1000, v3
	v_lshl_add_u64 v[18:19], v[18:19], 4, s[20:21]
	v_dual_ashrrev_i32 v17, 31, v16 :: v_dual_mov_b32 v1, 0
	s_or_b32 s20, s37, s38
	s_and_b32 s4, s4, s2
	v_lshl_add_u64 v[20:21], v[4:5], 4, s[14:15]
	s_and_b32 s15, vcc_lo, s2
	v_cmp_le_i32_e32 vcc_lo, v22, v16
	s_or_b32 s14, s17, s41
	s_and_b32 s17, s20, s40
	s_and_b32 s5, s5, s3
                                        ; implicit-def: $vgpr22_vgpr23
	s_and_b32 s20, vcc_lo, s3
	s_branch .LBB284_7
.LBB284_6:                              ;   in Loop: Header=BB284_7 Depth=1
	s_wait_xcnt 0x0
	s_or_b32 exec_lo, exec_lo, s2
	s_add_co_i32 s34, s34, 0x10000
	s_delay_alu instid0(SALU_CYCLE_1)
	s_cmp_lt_u32 s34, s33
	s_cbranch_scc0 .LBB284_40
.LBB284_7:                              ; =>This Loop Header: Depth=1
                                        ;     Child Loop BB284_10 Depth 2
	v_mov_b64_e32 v[40:41], 0
	s_and_not1_b32 vcc_lo, exec_lo, s17
	s_cbranch_vccnz .LBB284_18
; %bb.8:                                ;   in Loop: Header=BB284_7 Depth=1
	s_mul_u64 s[2:3], s[24:25], s[34:35]
	s_mul_u64 s[36:37], s[18:19], s[34:35]
	v_mov_b64_e32 v[24:25], 0
	v_mov_b64_e32 v[26:27], 0
	;; [unrolled: 1-line block ×8, first 2 shown]
	v_lshl_add_u64 v[28:29], s[36:37], 4, v[20:21]
	v_lshl_add_u64 v[30:31], s[2:3], 4, v[18:19]
	s_mov_b64 s[2:3], 0
	s_branch .LBB284_10
.LBB284_9:                              ;   in Loop: Header=BB284_10 Depth=2
	s_wait_xcnt 0x0
	s_or_b32 exec_lo, exec_lo, s21
	ds_store_b128 v45, v[2:5]
	s_wait_dscnt 0x0
	s_barrier_signal -1
	s_barrier_wait -1
	ds_load_b128 v[2:5], v15
	ds_load_b128 v[46:49], v7
	ds_load_b128 v[50:53], v7 offset:256
	ds_load_b128 v[54:57], v15 offset:2048
	;; [unrolled: 1-line block ×10, first 2 shown]
	s_add_nc_u64 s[2:3], s[2:3], 8
	s_delay_alu instid0(SALU_CYCLE_1)
	v_cmp_gt_i64_e64 s21, s[8:9], s[2:3]
	s_and_b32 vcc_lo, exec_lo, s21
	s_wait_dscnt 0xa
	v_mul_f64_e32 v[90:91], v[4:5], v[48:49]
	v_mul_f64_e32 v[92:93], v[2:3], v[48:49]
	s_wait_dscnt 0x9
	v_mul_f64_e32 v[94:95], v[4:5], v[52:53]
	v_mul_f64_e32 v[96:97], v[2:3], v[52:53]
	s_wait_dscnt 0x8
	v_mul_f64_e32 v[98:99], v[56:57], v[48:49]
	v_mul_f64_e32 v[100:101], v[54:55], v[48:49]
	v_mul_f64_e32 v[48:49], v[56:57], v[52:53]
	v_mul_f64_e32 v[102:103], v[54:55], v[52:53]
	s_wait_dscnt 0x6
	v_mul_f64_e32 v[104:105], v[60:61], v[64:65]
	v_mul_f64_e32 v[106:107], v[58:59], v[64:65]
	s_wait_dscnt 0x5
	v_mul_f64_e32 v[108:109], v[60:61], v[68:69]
	v_mul_f64_e32 v[110:111], v[58:59], v[68:69]
	s_wait_dscnt 0x4
	v_mul_f64_e32 v[112:113], v[72:73], v[64:65]
	v_mul_f64_e32 v[64:65], v[70:71], v[64:65]
	v_mul_f64_e32 v[114:115], v[72:73], v[68:69]
	v_mul_f64_e32 v[68:69], v[70:71], v[68:69]
	;; [unrolled: 11-line block ×3, first 2 shown]
	v_fma_f64 v[90:91], v[2:3], v[46:47], -v[90:91]
	v_fmac_f64_e32 v[92:93], v[4:5], v[46:47]
	v_fma_f64 v[94:95], v[2:3], v[50:51], -v[94:95]
	v_fmac_f64_e32 v[96:97], v[4:5], v[50:51]
	;; [unrolled: 2-line block ×8, first 2 shown]
	ds_load_b128 v[2:5], v15 offset:48
	ds_load_b128 v[46:49], v15 offset:2096
	;; [unrolled: 1-line block ×4, first 2 shown]
	v_fma_f64 v[118:119], v[74:75], v[78:79], -v[118:119]
	v_fmac_f64_e32 v[120:121], v[76:77], v[78:79]
	v_fma_f64 v[74:75], v[74:75], v[82:83], -v[122:123]
	v_fmac_f64_e32 v[124:125], v[76:77], v[82:83]
	;; [unrolled: 2-line block ×4, first 2 shown]
	v_add_f64_e32 v[66:67], v[40:41], v[90:91]
	v_add_f64_e32 v[70:71], v[92:93], v[42:43]
	;; [unrolled: 1-line block ×8, first 2 shown]
	s_wait_dscnt 0x1
	v_mul_f64_e32 v[100:101], v[4:5], v[52:53]
	v_mul_f64_e32 v[102:103], v[2:3], v[52:53]
	s_wait_dscnt 0x0
	v_mul_f64_e32 v[108:109], v[4:5], v[56:57]
	v_mul_f64_e32 v[112:113], v[2:3], v[56:57]
	;; [unrolled: 1-line block ×6, first 2 shown]
	ds_load_b128 v[24:27], v15 offset:64
	ds_load_b128 v[32:35], v7 offset:2048
	;; [unrolled: 1-line block ×4, first 2 shown]
	v_add_f64_e32 v[82:83], v[66:67], v[104:105]
	v_add_f64_e32 v[86:87], v[106:107], v[70:71]
	;; [unrolled: 1-line block ×8, first 2 shown]
	s_wait_dscnt 0x2
	v_mul_f64_e32 v[98:99], v[26:27], v[34:35]
	v_mul_f64_e32 v[104:105], v[24:25], v[34:35]
	s_wait_dscnt 0x1
	v_mul_f64_e32 v[106:107], v[26:27], v[38:39]
	v_mul_f64_e32 v[110:111], v[24:25], v[38:39]
	;; [unrolled: 3-line block ×3, first 2 shown]
	v_mul_f64_e32 v[34:35], v[42:43], v[38:39]
	v_mul_f64_e32 v[128:129], v[40:41], v[38:39]
	v_fma_f64 v[38:39], v[2:3], v[50:51], -v[100:101]
	v_fmac_f64_e32 v[102:103], v[4:5], v[50:51]
	v_fma_f64 v[100:101], v[2:3], v[54:55], -v[108:109]
	v_fmac_f64_e32 v[112:113], v[4:5], v[54:55]
	;; [unrolled: 2-line block ×4, first 2 shown]
	ds_load_b128 v[56:59], v15 offset:80
	ds_load_b128 v[60:63], v15 offset:2128
	;; [unrolled: 1-line block ×4, first 2 shown]
	v_add_f64_e32 v[54:55], v[82:83], v[118:119]
	v_add_f64_e32 v[82:83], v[120:121], v[86:87]
	;; [unrolled: 1-line block ×8, first 2 shown]
	v_fma_f64 v[98:99], v[24:25], v[32:33], -v[98:99]
	v_fmac_f64_e32 v[104:105], v[26:27], v[32:33]
	v_fma_f64 v[106:107], v[24:25], v[36:37], -v[106:107]
	s_wait_dscnt 0x1
	v_mul_f64_e32 v[90:91], v[58:59], v[66:67]
	v_mul_f64_e32 v[92:93], v[56:57], v[66:67]
	s_wait_dscnt 0x0
	v_mul_f64_e32 v[94:95], v[58:59], v[70:71]
	v_mul_f64_e32 v[96:97], v[56:57], v[70:71]
	v_mul_f64_e32 v[118:119], v[62:63], v[66:67]
	v_mul_f64_e32 v[66:67], v[60:61], v[66:67]
	v_mul_f64_e32 v[120:121], v[62:63], v[70:71]
	v_mul_f64_e32 v[70:71], v[60:61], v[70:71]
	v_fmac_f64_e32 v[110:111], v[26:27], v[36:37]
	v_fma_f64 v[122:123], v[40:41], v[32:33], -v[122:123]
	v_fmac_f64_e32 v[126:127], v[42:43], v[32:33]
	v_fma_f64 v[124:125], v[40:41], v[36:37], -v[34:35]
	v_fmac_f64_e32 v[128:129], v[42:43], v[36:37]
	ds_load_b128 v[2:5], v15 offset:96
	ds_load_b128 v[46:49], v7 offset:3072
	;; [unrolled: 1-line block ×4, first 2 shown]
	v_add_f64_e32 v[54:55], v[54:55], v[38:39]
	v_add_f64_e32 v[82:83], v[102:103], v[82:83]
	;; [unrolled: 1-line block ×8, first 2 shown]
	ds_load_b128 v[24:27], v15 offset:112
	ds_load_b128 v[32:35], v15 offset:2160
	;; [unrolled: 1-line block ×4, first 2 shown]
	s_wait_dscnt 0x0
	v_mul_f64_e32 v[100:101], v[4:5], v[48:49]
	v_mul_f64_e32 v[102:103], v[2:3], v[48:49]
	;; [unrolled: 1-line block ×8, first 2 shown]
	v_fma_f64 v[90:91], v[56:57], v[64:65], -v[90:91]
	v_fmac_f64_e32 v[92:93], v[58:59], v[64:65]
	v_fma_f64 v[56:57], v[56:57], v[68:69], -v[94:95]
	v_fmac_f64_e32 v[96:97], v[58:59], v[68:69]
	;; [unrolled: 2-line block ×4, first 2 shown]
	s_barrier_signal -1
	s_barrier_wait -1
	v_mul_f64_e32 v[94:95], v[24:25], v[42:43]
	v_add_f64_e32 v[54:55], v[54:55], v[98:99]
	v_add_f64_e32 v[62:63], v[104:105], v[82:83]
	;; [unrolled: 1-line block ×8, first 2 shown]
	v_mul_f64_e32 v[84:85], v[26:27], v[38:39]
	v_mul_f64_e32 v[86:87], v[24:25], v[38:39]
	;; [unrolled: 1-line block ×7, first 2 shown]
	v_fma_f64 v[42:43], v[2:3], v[46:47], -v[100:101]
	v_fmac_f64_e32 v[102:103], v[4:5], v[46:47]
	v_fma_f64 v[2:3], v[2:3], v[50:51], -v[108:109]
	v_fmac_f64_e32 v[112:113], v[4:5], v[50:51]
	;; [unrolled: 2-line block ×4, first 2 shown]
	v_fmac_f64_e32 v[94:95], v[26:27], v[40:41]
	v_add_f64_e32 v[50:51], v[54:55], v[90:91]
	v_add_f64_e32 v[54:55], v[92:93], v[62:63]
	;; [unrolled: 1-line block ×8, first 2 shown]
	v_fma_f64 v[68:69], v[24:25], v[36:37], -v[84:85]
	v_fmac_f64_e32 v[86:87], v[26:27], v[36:37]
	v_fma_f64 v[24:25], v[24:25], v[40:41], -v[88:89]
	v_fma_f64 v[26:27], v[32:33], v[36:37], -v[98:99]
	v_fmac_f64_e32 v[104:105], v[34:35], v[36:37]
	v_fma_f64 v[70:71], v[32:33], v[40:41], -v[38:39]
	v_fmac_f64_e32 v[106:107], v[34:35], v[40:41]
	v_add_f64_e32 v[32:33], v[50:51], v[42:43]
	v_add_f64_e32 v[34:35], v[102:103], v[54:55]
	;; [unrolled: 1-line block ×16, first 2 shown]
	s_cbranch_vccz .LBB284_19
.LBB284_10:                             ;   Parent Loop BB284_7 Depth=1
                                        ; =>  This Inner Loop Header: Depth=2
	s_mov_b32 s21, 0
	s_mov_b32 s37, s16
	s_and_saveexec_b32 s36, s0
	s_cbranch_execnz .LBB284_16
; %bb.11:                               ;   in Loop: Header=BB284_10 Depth=2
	s_or_b32 exec_lo, exec_lo, s36
	s_and_saveexec_b32 s36, s37
	s_delay_alu instid0(SALU_CYCLE_1)
	s_xor_b32 s36, exec_lo, s36
	s_cbranch_execnz .LBB284_17
.LBB284_12:                             ;   in Loop: Header=BB284_10 Depth=2
	s_or_b32 exec_lo, exec_lo, s36
	s_and_saveexec_b32 s36, s21
	s_cbranch_execz .LBB284_14
.LBB284_13:                             ;   in Loop: Header=BB284_10 Depth=2
	v_lshl_add_u64 v[2:3], v[22:23], 4, v[28:29]
	global_load_b128 v[2:5], v[2:3], off
	s_wait_loadcnt 0x0
	ds_store_2addr_b64 v44, v[2:3], v[4:5] offset1:1
.LBB284_14:                             ;   in Loop: Header=BB284_10 Depth=2
	s_wait_xcnt 0x0
	s_or_b32 exec_lo, exec_lo, s36
	v_add_nc_u32_e32 v0, s2, v6
	v_mov_b64_e32 v[2:3], 0
	v_mov_b64_e32 v[4:5], 0
	s_delay_alu instid0(VALU_DEP_3) | instskip(SKIP_1) | instid1(SALU_CYCLE_1)
	v_cmp_gt_u64_e32 vcc_lo, s[8:9], v[0:1]
	s_and_b32 s36, vcc_lo, s1
	s_and_saveexec_b32 s21, s36
	s_cbranch_execz .LBB284_9
; %bb.15:                               ;   in Loop: Header=BB284_10 Depth=2
	v_mul_u64_e32 v[2:3], s[22:23], v[0:1]
	s_delay_alu instid0(VALU_DEP_1)
	v_lshl_add_u64 v[2:3], v[2:3], 4, v[30:31]
	global_load_b128 v[2:5], v[2:3], off
	s_wait_loadcnt 0x0
	v_xor_b32_e32 v5, 0x80000000, v5
	s_branch .LBB284_9
.LBB284_16:                             ;   in Loop: Header=BB284_10 Depth=2
	v_add_nc_u32_e32 v0, s2, v14
	s_and_not1_b32 s37, s16, exec_lo
	s_mov_b32 s21, exec_lo
	s_delay_alu instid0(VALU_DEP_1) | instskip(SKIP_2) | instid1(SALU_CYCLE_1)
	v_cmp_le_u64_e32 vcc_lo, s[8:9], v[0:1]
	v_mov_b64_e32 v[22:23], v[0:1]
	s_and_b32 s38, vcc_lo, exec_lo
	s_or_b32 s37, s37, s38
	s_or_b32 exec_lo, exec_lo, s36
	s_and_saveexec_b32 s36, s37
	s_delay_alu instid0(SALU_CYCLE_1)
	s_xor_b32 s36, exec_lo, s36
	s_cbranch_execz .LBB284_12
.LBB284_17:                             ;   in Loop: Header=BB284_10 Depth=2
	v_dual_mov_b32 v0, v1 :: v_dual_mov_b32 v2, v1
	v_mov_b32_e32 v3, v1
	s_and_not1_b32 s21, s21, exec_lo
	ds_store_b128 v44, v[0:3]
	s_or_b32 exec_lo, exec_lo, s36
	s_and_saveexec_b32 s36, s21
	s_cbranch_execnz .LBB284_13
	s_branch .LBB284_14
.LBB284_18:                             ;   in Loop: Header=BB284_7 Depth=1
	v_mov_b64_e32 v[42:43], 0
	v_mov_b64_e32 v[36:37], 0
	;; [unrolled: 1-line block ×7, first 2 shown]
.LBB284_19:                             ;   in Loop: Header=BB284_7 Depth=1
	s_mul_u64 s[2:3], s[6:7], s[34:35]
	s_delay_alu instid0(SALU_CYCLE_1) | instskip(NEXT) | instid1(SALU_CYCLE_1)
	s_lshl_b64 s[2:3], s[2:3], 4
	s_add_nc_u64 s[2:3], s[30:31], s[2:3]
	s_delay_alu instid0(SALU_CYCLE_1)
	v_lshl_add_u64 v[28:29], v[10:11], 4, s[2:3]
	s_and_saveexec_b32 s21, s15
	s_cbranch_execz .LBB284_24
; %bb.20:                               ;   in Loop: Header=BB284_7 Depth=1
	v_mul_f64_e32 v[2:3], s[12:13], v[42:43]
	v_mul_f64_e32 v[4:5], s[10:11], v[42:43]
	v_lshl_add_u64 v[30:31], v[8:9], 4, v[28:29]
	s_and_b32 vcc_lo, exec_lo, s14
	s_mov_b32 s36, -1
	s_delay_alu instid0(VALU_DEP_3) | instskip(NEXT) | instid1(VALU_DEP_3)
	v_fma_f64 v[2:3], s[10:11], v[40:41], -v[2:3]
	v_fmac_f64_e32 v[4:5], s[12:13], v[40:41]
	s_cbranch_vccz .LBB284_22
; %bb.21:                               ;   in Loop: Header=BB284_7 Depth=1
	global_load_b128 v[40:43], v[30:31], off
	s_mov_b32 s36, 0
	s_wait_loadcnt 0x0
	v_mul_f64_e32 v[46:47], s[28:29], v[42:43]
	v_mul_f64_e32 v[42:43], s[26:27], v[42:43]
	s_delay_alu instid0(VALU_DEP_2) | instskip(NEXT) | instid1(VALU_DEP_2)
	v_fma_f64 v[46:47], s[26:27], v[40:41], -v[46:47]
	v_fmac_f64_e32 v[42:43], s[28:29], v[40:41]
	s_delay_alu instid0(VALU_DEP_2) | instskip(NEXT) | instid1(VALU_DEP_2)
	v_add_f64_e32 v[40:41], v[2:3], v[46:47]
	v_add_f64_e32 v[42:43], v[4:5], v[42:43]
	global_store_b128 v[30:31], v[40:43], off
.LBB284_22:                             ;   in Loop: Header=BB284_7 Depth=1
	s_and_not1_b32 vcc_lo, exec_lo, s36
	s_cbranch_vccnz .LBB284_24
; %bb.23:                               ;   in Loop: Header=BB284_7 Depth=1
	global_store_b128 v[30:31], v[2:5], off
.LBB284_24:                             ;   in Loop: Header=BB284_7 Depth=1
	s_wait_xcnt 0x0
	s_or_b32 exec_lo, exec_lo, s21
	s_and_saveexec_b32 s21, s20
	s_cbranch_execz .LBB284_29
; %bb.25:                               ;   in Loop: Header=BB284_7 Depth=1
	v_mul_f64_e32 v[2:3], s[12:13], v[38:39]
	v_mul_f64_e32 v[4:5], s[10:11], v[38:39]
	v_lshl_add_u64 v[28:29], v[16:17], 4, v[28:29]
	s_and_not1_b32 vcc_lo, exec_lo, s14
	s_mov_b32 s36, -1
	s_delay_alu instid0(VALU_DEP_3) | instskip(NEXT) | instid1(VALU_DEP_3)
	v_fma_f64 v[2:3], s[10:11], v[36:37], -v[2:3]
	v_fmac_f64_e32 v[4:5], s[12:13], v[36:37]
	s_cbranch_vccnz .LBB284_27
; %bb.26:                               ;   in Loop: Header=BB284_7 Depth=1
	global_load_b128 v[36:39], v[28:29], off
	s_mov_b32 s36, 0
	s_wait_loadcnt 0x0
	v_mul_f64_e32 v[30:31], s[28:29], v[38:39]
	v_mul_f64_e32 v[38:39], s[26:27], v[38:39]
	s_delay_alu instid0(VALU_DEP_2) | instskip(NEXT) | instid1(VALU_DEP_2)
	v_fma_f64 v[30:31], s[26:27], v[36:37], -v[30:31]
	v_fmac_f64_e32 v[38:39], s[28:29], v[36:37]
	s_delay_alu instid0(VALU_DEP_2) | instskip(NEXT) | instid1(VALU_DEP_2)
	v_add_f64_e32 v[36:37], v[2:3], v[30:31]
	v_add_f64_e32 v[38:39], v[4:5], v[38:39]
	global_store_b128 v[28:29], v[36:39], off
.LBB284_27:                             ;   in Loop: Header=BB284_7 Depth=1
	s_and_not1_b32 vcc_lo, exec_lo, s36
	s_cbranch_vccnz .LBB284_29
; %bb.28:                               ;   in Loop: Header=BB284_7 Depth=1
	global_store_b128 v[28:29], v[2:5], off
.LBB284_29:                             ;   in Loop: Header=BB284_7 Depth=1
	s_wait_xcnt 0x0
	s_or_b32 exec_lo, exec_lo, s21
	v_lshl_add_u64 v[28:29], v[12:13], 4, s[2:3]
	s_and_saveexec_b32 s2, s4
	s_cbranch_execz .LBB284_34
; %bb.30:                               ;   in Loop: Header=BB284_7 Depth=1
	v_mul_f64_e32 v[2:3], s[12:13], v[34:35]
	v_mul_f64_e32 v[4:5], s[10:11], v[34:35]
	v_lshl_add_u64 v[30:31], v[8:9], 4, v[28:29]
	s_and_not1_b32 vcc_lo, exec_lo, s14
	s_mov_b32 s3, -1
	s_delay_alu instid0(VALU_DEP_3) | instskip(NEXT) | instid1(VALU_DEP_3)
	v_fma_f64 v[2:3], s[10:11], v[32:33], -v[2:3]
	v_fmac_f64_e32 v[4:5], s[12:13], v[32:33]
	s_cbranch_vccnz .LBB284_32
; %bb.31:                               ;   in Loop: Header=BB284_7 Depth=1
	global_load_b128 v[32:35], v[30:31], off
	s_mov_b32 s3, 0
	s_wait_loadcnt 0x0
	v_mul_f64_e32 v[36:37], s[28:29], v[34:35]
	v_mul_f64_e32 v[34:35], s[26:27], v[34:35]
	s_delay_alu instid0(VALU_DEP_2) | instskip(NEXT) | instid1(VALU_DEP_2)
	v_fma_f64 v[36:37], s[26:27], v[32:33], -v[36:37]
	v_fmac_f64_e32 v[34:35], s[28:29], v[32:33]
	s_delay_alu instid0(VALU_DEP_2) | instskip(NEXT) | instid1(VALU_DEP_2)
	v_add_f64_e32 v[32:33], v[2:3], v[36:37]
	v_add_f64_e32 v[34:35], v[4:5], v[34:35]
	global_store_b128 v[30:31], v[32:35], off
.LBB284_32:                             ;   in Loop: Header=BB284_7 Depth=1
	s_and_not1_b32 vcc_lo, exec_lo, s3
	s_cbranch_vccnz .LBB284_34
; %bb.33:                               ;   in Loop: Header=BB284_7 Depth=1
	global_store_b128 v[30:31], v[2:5], off
.LBB284_34:                             ;   in Loop: Header=BB284_7 Depth=1
	s_wait_xcnt 0x0
	s_or_b32 exec_lo, exec_lo, s2
	s_and_saveexec_b32 s2, s5
	s_cbranch_execz .LBB284_6
; %bb.35:                               ;   in Loop: Header=BB284_7 Depth=1
	s_delay_alu instid0(VALU_DEP_3) | instskip(SKIP_4) | instid1(VALU_DEP_3)
	v_mul_f64_e32 v[2:3], s[12:13], v[24:25]
	v_mul_f64_e32 v[4:5], s[10:11], v[24:25]
	v_lshl_add_u64 v[24:25], v[16:17], 4, v[28:29]
	s_and_not1_b32 vcc_lo, exec_lo, s14
	s_mov_b32 s3, -1
	v_fma_f64 v[2:3], s[10:11], v[26:27], -v[2:3]
	s_delay_alu instid0(VALU_DEP_3)
	v_fmac_f64_e32 v[4:5], s[12:13], v[26:27]
	s_cbranch_vccnz .LBB284_37
; %bb.36:                               ;   in Loop: Header=BB284_7 Depth=1
	global_load_b128 v[26:29], v[24:25], off
	s_mov_b32 s3, 0
	s_wait_loadcnt 0x0
	v_mul_f64_e32 v[30:31], s[28:29], v[28:29]
	v_mul_f64_e32 v[28:29], s[26:27], v[28:29]
	s_delay_alu instid0(VALU_DEP_2) | instskip(NEXT) | instid1(VALU_DEP_2)
	v_fma_f64 v[30:31], s[26:27], v[26:27], -v[30:31]
	v_fmac_f64_e32 v[28:29], s[28:29], v[26:27]
	s_delay_alu instid0(VALU_DEP_2) | instskip(NEXT) | instid1(VALU_DEP_2)
	v_add_f64_e32 v[26:27], v[2:3], v[30:31]
	v_add_f64_e32 v[28:29], v[4:5], v[28:29]
	global_store_b128 v[24:25], v[26:29], off
.LBB284_37:                             ;   in Loop: Header=BB284_7 Depth=1
	s_and_not1_b32 vcc_lo, exec_lo, s3
	s_cbranch_vccnz .LBB284_6
; %bb.38:                               ;   in Loop: Header=BB284_7 Depth=1
	global_store_b128 v[24:25], v[2:5], off
	s_branch .LBB284_6
.LBB284_39:
.LBB284_40:
	s_sendmsg sendmsg(MSG_DEALLOC_VGPRS)
	s_endpgm
	.section	.rodata,"a",@progbits
	.p2align	6, 0x0
	.amdhsa_kernel _ZL29rocblas_internal_gemmt_kernelIlLi16ELi32ELi8ELc84ELc67ELc76ELb0ELb1E19rocblas_complex_numIdES1_PKS1_PS1_EviT_T9_T10_S5_lS7_S5_lS6_T11_S5_li
		.amdhsa_group_segment_fixed_size 8192
		.amdhsa_private_segment_fixed_size 0
		.amdhsa_kernarg_size 124
		.amdhsa_user_sgpr_count 2
		.amdhsa_user_sgpr_dispatch_ptr 0
		.amdhsa_user_sgpr_queue_ptr 0
		.amdhsa_user_sgpr_kernarg_segment_ptr 1
		.amdhsa_user_sgpr_dispatch_id 0
		.amdhsa_user_sgpr_kernarg_preload_length 0
		.amdhsa_user_sgpr_kernarg_preload_offset 0
		.amdhsa_user_sgpr_private_segment_size 0
		.amdhsa_wavefront_size32 1
		.amdhsa_uses_dynamic_stack 0
		.amdhsa_enable_private_segment 0
		.amdhsa_system_sgpr_workgroup_id_x 1
		.amdhsa_system_sgpr_workgroup_id_y 1
		.amdhsa_system_sgpr_workgroup_id_z 1
		.amdhsa_system_sgpr_workgroup_info 0
		.amdhsa_system_vgpr_workitem_id 1
		.amdhsa_next_free_vgpr 132
		.amdhsa_next_free_sgpr 42
		.amdhsa_named_barrier_count 0
		.amdhsa_reserve_vcc 1
		.amdhsa_float_round_mode_32 0
		.amdhsa_float_round_mode_16_64 0
		.amdhsa_float_denorm_mode_32 3
		.amdhsa_float_denorm_mode_16_64 3
		.amdhsa_fp16_overflow 0
		.amdhsa_memory_ordered 1
		.amdhsa_forward_progress 1
		.amdhsa_inst_pref_size 23
		.amdhsa_round_robin_scheduling 0
		.amdhsa_exception_fp_ieee_invalid_op 0
		.amdhsa_exception_fp_denorm_src 0
		.amdhsa_exception_fp_ieee_div_zero 0
		.amdhsa_exception_fp_ieee_overflow 0
		.amdhsa_exception_fp_ieee_underflow 0
		.amdhsa_exception_fp_ieee_inexact 0
		.amdhsa_exception_int_div_zero 0
	.end_amdhsa_kernel
	.section	.text._ZL29rocblas_internal_gemmt_kernelIlLi16ELi32ELi8ELc84ELc67ELc76ELb0ELb1E19rocblas_complex_numIdES1_PKS1_PS1_EviT_T9_T10_S5_lS7_S5_lS6_T11_S5_li,"axG",@progbits,_ZL29rocblas_internal_gemmt_kernelIlLi16ELi32ELi8ELc84ELc67ELc76ELb0ELb1E19rocblas_complex_numIdES1_PKS1_PS1_EviT_T9_T10_S5_lS7_S5_lS6_T11_S5_li,comdat
.Lfunc_end284:
	.size	_ZL29rocblas_internal_gemmt_kernelIlLi16ELi32ELi8ELc84ELc67ELc76ELb0ELb1E19rocblas_complex_numIdES1_PKS1_PS1_EviT_T9_T10_S5_lS7_S5_lS6_T11_S5_li, .Lfunc_end284-_ZL29rocblas_internal_gemmt_kernelIlLi16ELi32ELi8ELc84ELc67ELc76ELb0ELb1E19rocblas_complex_numIdES1_PKS1_PS1_EviT_T9_T10_S5_lS7_S5_lS6_T11_S5_li
                                        ; -- End function
	.set _ZL29rocblas_internal_gemmt_kernelIlLi16ELi32ELi8ELc84ELc67ELc76ELb0ELb1E19rocblas_complex_numIdES1_PKS1_PS1_EviT_T9_T10_S5_lS7_S5_lS6_T11_S5_li.num_vgpr, 132
	.set _ZL29rocblas_internal_gemmt_kernelIlLi16ELi32ELi8ELc84ELc67ELc76ELb0ELb1E19rocblas_complex_numIdES1_PKS1_PS1_EviT_T9_T10_S5_lS7_S5_lS6_T11_S5_li.num_agpr, 0
	.set _ZL29rocblas_internal_gemmt_kernelIlLi16ELi32ELi8ELc84ELc67ELc76ELb0ELb1E19rocblas_complex_numIdES1_PKS1_PS1_EviT_T9_T10_S5_lS7_S5_lS6_T11_S5_li.numbered_sgpr, 42
	.set _ZL29rocblas_internal_gemmt_kernelIlLi16ELi32ELi8ELc84ELc67ELc76ELb0ELb1E19rocblas_complex_numIdES1_PKS1_PS1_EviT_T9_T10_S5_lS7_S5_lS6_T11_S5_li.num_named_barrier, 0
	.set _ZL29rocblas_internal_gemmt_kernelIlLi16ELi32ELi8ELc84ELc67ELc76ELb0ELb1E19rocblas_complex_numIdES1_PKS1_PS1_EviT_T9_T10_S5_lS7_S5_lS6_T11_S5_li.private_seg_size, 0
	.set _ZL29rocblas_internal_gemmt_kernelIlLi16ELi32ELi8ELc84ELc67ELc76ELb0ELb1E19rocblas_complex_numIdES1_PKS1_PS1_EviT_T9_T10_S5_lS7_S5_lS6_T11_S5_li.uses_vcc, 1
	.set _ZL29rocblas_internal_gemmt_kernelIlLi16ELi32ELi8ELc84ELc67ELc76ELb0ELb1E19rocblas_complex_numIdES1_PKS1_PS1_EviT_T9_T10_S5_lS7_S5_lS6_T11_S5_li.uses_flat_scratch, 0
	.set _ZL29rocblas_internal_gemmt_kernelIlLi16ELi32ELi8ELc84ELc67ELc76ELb0ELb1E19rocblas_complex_numIdES1_PKS1_PS1_EviT_T9_T10_S5_lS7_S5_lS6_T11_S5_li.has_dyn_sized_stack, 0
	.set _ZL29rocblas_internal_gemmt_kernelIlLi16ELi32ELi8ELc84ELc67ELc76ELb0ELb1E19rocblas_complex_numIdES1_PKS1_PS1_EviT_T9_T10_S5_lS7_S5_lS6_T11_S5_li.has_recursion, 0
	.set _ZL29rocblas_internal_gemmt_kernelIlLi16ELi32ELi8ELc84ELc67ELc76ELb0ELb1E19rocblas_complex_numIdES1_PKS1_PS1_EviT_T9_T10_S5_lS7_S5_lS6_T11_S5_li.has_indirect_call, 0
	.section	.AMDGPU.csdata,"",@progbits
; Kernel info:
; codeLenInByte = 2912
; TotalNumSgprs: 44
; NumVgprs: 132
; ScratchSize: 0
; MemoryBound: 1
; FloatMode: 240
; IeeeMode: 1
; LDSByteSize: 8192 bytes/workgroup (compile time only)
; SGPRBlocks: 0
; VGPRBlocks: 8
; NumSGPRsForWavesPerEU: 44
; NumVGPRsForWavesPerEU: 132
; NamedBarCnt: 0
; Occupancy: 7
; WaveLimiterHint : 0
; COMPUTE_PGM_RSRC2:SCRATCH_EN: 0
; COMPUTE_PGM_RSRC2:USER_SGPR: 2
; COMPUTE_PGM_RSRC2:TRAP_HANDLER: 0
; COMPUTE_PGM_RSRC2:TGID_X_EN: 1
; COMPUTE_PGM_RSRC2:TGID_Y_EN: 1
; COMPUTE_PGM_RSRC2:TGID_Z_EN: 1
; COMPUTE_PGM_RSRC2:TIDIG_COMP_CNT: 1
	.section	.text._ZL29rocblas_internal_gemmt_kernelIlLi16ELi32ELi8ELc67ELc78ELc76ELb1ELb0E19rocblas_complex_numIdES1_PKS1_PS1_EviT_T9_T10_S5_lS7_S5_lS6_T11_S5_li,"axG",@progbits,_ZL29rocblas_internal_gemmt_kernelIlLi16ELi32ELi8ELc67ELc78ELc76ELb1ELb0E19rocblas_complex_numIdES1_PKS1_PS1_EviT_T9_T10_S5_lS7_S5_lS6_T11_S5_li,comdat
	.globl	_ZL29rocblas_internal_gemmt_kernelIlLi16ELi32ELi8ELc67ELc78ELc76ELb1ELb0E19rocblas_complex_numIdES1_PKS1_PS1_EviT_T9_T10_S5_lS7_S5_lS6_T11_S5_li ; -- Begin function _ZL29rocblas_internal_gemmt_kernelIlLi16ELi32ELi8ELc67ELc78ELc76ELb1ELb0E19rocblas_complex_numIdES1_PKS1_PS1_EviT_T9_T10_S5_lS7_S5_lS6_T11_S5_li
	.p2align	8
	.type	_ZL29rocblas_internal_gemmt_kernelIlLi16ELi32ELi8ELc67ELc78ELc76ELb1ELb0E19rocblas_complex_numIdES1_PKS1_PS1_EviT_T9_T10_S5_lS7_S5_lS6_T11_S5_li,@function
_ZL29rocblas_internal_gemmt_kernelIlLi16ELi32ELi8ELc67ELc78ELc76ELb1ELb0E19rocblas_complex_numIdES1_PKS1_PS1_EviT_T9_T10_S5_lS7_S5_lS6_T11_S5_li: ; @_ZL29rocblas_internal_gemmt_kernelIlLi16ELi32ELi8ELc67ELc78ELc76ELb1ELb0E19rocblas_complex_numIdES1_PKS1_PS1_EviT_T9_T10_S5_lS7_S5_lS6_T11_S5_li
; %bb.0:
	s_clause 0x1
	s_load_b256 s[24:31], s[0:1], 0x48
	s_load_b512 s[8:23], s[0:1], 0x8
	s_wait_kmcnt 0x0
	v_cmp_eq_f64_e64 s3, s[26:27], 1.0
	v_cmp_eq_f64_e64 s2, s[28:29], 0
	s_and_b32 s3, s3, s2
	s_delay_alu instid0(SALU_CYCLE_1)
	s_and_not1_b32 vcc_lo, exec_lo, s3
	s_mov_b32 s3, -1
	s_cbranch_vccnz .LBB285_3
; %bb.1:
	s_cmp_lg_u64 s[8:9], 0
	s_cbranch_scc0 .LBB285_38
; %bb.2:
	v_cmp_neq_f64_e64 s3, s[10:11], 0
	v_cmp_neq_f64_e64 s4, s[12:13], 0
	s_or_b32 s3, s3, s4
.LBB285_3:
	s_delay_alu instid0(SALU_CYCLE_1)
	s_and_b32 vcc_lo, exec_lo, s3
	s_cbranch_vccz .LBB285_39
; %bb.4:
	s_load_b32 s33, s[0:1], 0x78
	s_bfe_u32 s3, ttmp6, 0x40014
	s_lshr_b32 s4, ttmp7, 16
	s_add_co_i32 s3, s3, 1
	s_bfe_u32 s6, ttmp6, 0x40008
	s_mul_i32 s5, s4, s3
	s_getreg_b32 s3, hwreg(HW_REG_IB_STS2, 6, 4)
	s_add_co_i32 s6, s6, s5
	s_cmp_eq_u32 s3, 0
	s_mov_b32 s35, 0
	s_cselect_b32 s34, s4, s6
	s_wait_kmcnt 0x0
	s_cmp_ge_u32 s34, s33
	s_cbranch_scc1 .LBB285_39
; %bb.5:
	v_and_b32_e32 v1, 0x3ff, v0
	v_bfe_u32 v9, v0, 10, 10
	s_bfe_u32 s5, ttmp6, 0x4000c
	s_bfe_u32 s7, ttmp6, 0x40010
	s_and_b32 s6, ttmp7, 0xffff
	s_add_co_i32 s5, s5, 1
	s_add_co_i32 s7, s7, 1
	s_and_b32 s4, ttmp6, 15
	v_lshl_add_u32 v14, v9, 4, v1
	s_mul_i32 s5, ttmp9, s5
	s_mul_i32 s7, s6, s7
	s_bfe_u32 s36, ttmp6, 0x40004
	s_add_co_i32 s4, s4, s5
	s_add_co_i32 s36, s36, s7
	s_cmp_eq_u32 s3, 0
	v_dual_lshrrev_b32 v15, 3, v14 :: v_dual_bitop2_b32 v16, 31, v14 bitop3:0x40
	s_cselect_b32 s3, ttmp9, s4
	s_cselect_b32 s4, s6, s36
	s_lshl_b32 s3, s3, 5
	s_lshl_b32 s36, s4, 5
	s_load_b128 s[4:7], s[0:1], 0x68
	v_dual_add_nc_u32 v4, s36, v15 :: v_dual_bitop2_b32 v2, s3, v16 bitop3:0x54
	v_dual_add_nc_u32 v22, s36, v9 :: v_dual_bitop2_b32 v6, 7, v0 bitop3:0x40
	v_cmp_neq_f64_e64 s37, s[10:11], 0
	s_delay_alu instid0(VALU_DEP_3) | instskip(NEXT) | instid1(VALU_DEP_3)
	v_dual_ashrrev_i32 v3, 31, v2 :: v_dual_ashrrev_i32 v5, 31, v4
	v_dual_add_nc_u32 v24, 16, v22 :: v_dual_ashrrev_i32 v23, 31, v22
	v_cmp_neq_f64_e64 s38, s[12:13], 0
	s_delay_alu instid0(VALU_DEP_3) | instskip(NEXT) | instid1(VALU_DEP_4)
	v_mul_u64_e32 v[18:19], s[16:17], v[2:3]
	v_mul_u64_e32 v[20:21], s[22:23], v[4:5]
	s_delay_alu instid0(VALU_DEP_4)
	v_dual_ashrrev_i32 v25, 31, v24 :: v_dual_lshlrev_b32 v0, 4, v6
	v_cmp_neq_f64_e64 s16, s[26:27], 0
	s_load_b32 s17, s[0:1], 0x0
	v_dual_lshlrev_b32 v7, 4, v1 :: v_dual_add_nc_u32 v8, s3, v1
	v_dual_lshrrev_b32 v14, 5, v14 :: v_dual_lshlrev_b32 v1, 4, v16
	s_wait_kmcnt 0x0
	v_mul_u64_e32 v[10:11], s[4:5], v[22:23]
	v_mul_u64_e32 v[12:13], s[4:5], v[24:25]
	v_add_nc_u32_e32 v16, 16, v8
	s_xor_b32 s5, s2, -1
	v_cmp_le_i32_e32 vcc_lo, v22, v8
	v_lshl_add_u32 v43, v9, 7, 0x1000
	v_ashrrev_i32_e32 v9, 31, v8
	v_cmp_le_i32_e64 s3, v22, v16
	v_lshl_or_b32 v0, v15, 7, v0
	v_cmp_gt_i64_e64 s22, s[8:9], 0
	v_lshl_or_b32 v15, v14, 9, v1
	v_dual_ashrrev_i32 v17, 31, v16 :: v_dual_mov_b32 v1, 0
	s_delay_alu instid0(VALU_DEP_4)
	v_add_nc_u32_e32 v42, 0x1000, v0
	v_cmp_gt_i32_e64 s2, s17, v8
	v_cmp_gt_i32_e64 s4, s17, v16
	v_cmp_gt_i32_e64 s1, s17, v4
	v_cmp_gt_i32_e64 s0, s17, v2
	s_or_b32 s23, s37, s38
	v_lshl_add_u64 v[18:19], v[18:19], 4, s[14:15]
	s_and_b32 s14, vcc_lo, s2
	s_and_b32 s15, s3, s4
	v_cmp_le_i32_e32 vcc_lo, v24, v8
	v_cmp_le_i32_e64 s3, v24, v16
	v_lshl_add_u64 v[20:21], v[20:21], 4, s[20:21]
	s_or_b32 s5, s16, s5
	s_and_b32 s16, s23, s22
	s_and_b32 s17, vcc_lo, s2
	s_and_b32 s4, s3, s4
	s_xor_b32 s1, s1, -1
	s_branch .LBB285_7
.LBB285_6:                              ;   in Loop: Header=BB285_7 Depth=1
	s_wait_xcnt 0x0
	s_or_b32 exec_lo, exec_lo, s2
	s_add_co_i32 s34, s34, 0x10000
	s_delay_alu instid0(SALU_CYCLE_1)
	s_cmp_lt_u32 s34, s33
	s_cbranch_scc0 .LBB285_39
.LBB285_7:                              ; =>This Loop Header: Depth=1
                                        ;     Child Loop BB285_10 Depth 2
	v_mov_b64_e32 v[38:39], 0
	v_mov_b64_e32 v[40:41], 0
	;; [unrolled: 1-line block ×8, first 2 shown]
	s_and_not1_b32 vcc_lo, exec_lo, s16
	s_cbranch_vccnz .LBB285_18
; %bb.8:                                ;   in Loop: Header=BB285_7 Depth=1
	s_mul_u64 s[2:3], s[24:25], s[34:35]
	s_mul_u64 s[20:21], s[18:19], s[34:35]
	v_mov_b64_e32 v[24:25], 0
	v_mov_b64_e32 v[22:23], 0
	;; [unrolled: 1-line block ×8, first 2 shown]
	v_lshl_add_u64 v[26:27], s[20:21], 4, v[18:19]
	v_lshl_add_u64 v[28:29], s[2:3], 4, v[20:21]
	s_mov_b64 s[2:3], 0
	s_branch .LBB285_10
.LBB285_9:                              ;   in Loop: Header=BB285_10 Depth=2
	s_wait_xcnt 0x0
	s_or_b32 exec_lo, exec_lo, s20
	s_wait_dscnt 0x0
	s_barrier_signal -1
	s_barrier_wait -1
	ds_load_b128 v[2:5], v43
	ds_load_b128 v[44:47], v7
	ds_load_b128 v[48:51], v7 offset:256
	ds_load_b128 v[52:55], v43 offset:2048
	;; [unrolled: 1-line block ×10, first 2 shown]
	s_add_nc_u64 s[2:3], s[2:3], 8
	s_delay_alu instid0(SALU_CYCLE_1)
	v_cmp_gt_i64_e64 s20, s[8:9], s[2:3]
	s_and_b32 vcc_lo, exec_lo, s20
	s_wait_dscnt 0xa
	v_mul_f64_e32 v[88:89], v[4:5], v[46:47]
	v_mul_f64_e32 v[90:91], v[2:3], v[46:47]
	s_wait_dscnt 0x9
	v_mul_f64_e32 v[92:93], v[4:5], v[50:51]
	v_mul_f64_e32 v[94:95], v[2:3], v[50:51]
	s_wait_dscnt 0x8
	v_mul_f64_e32 v[96:97], v[54:55], v[46:47]
	v_mul_f64_e32 v[98:99], v[52:53], v[46:47]
	v_mul_f64_e32 v[46:47], v[54:55], v[50:51]
	v_mul_f64_e32 v[100:101], v[52:53], v[50:51]
	s_wait_dscnt 0x6
	v_mul_f64_e32 v[102:103], v[58:59], v[62:63]
	v_mul_f64_e32 v[104:105], v[56:57], v[62:63]
	s_wait_dscnt 0x5
	v_mul_f64_e32 v[106:107], v[58:59], v[66:67]
	v_mul_f64_e32 v[108:109], v[56:57], v[66:67]
	s_wait_dscnt 0x4
	v_mul_f64_e32 v[110:111], v[70:71], v[62:63]
	v_mul_f64_e32 v[62:63], v[68:69], v[62:63]
	v_mul_f64_e32 v[112:113], v[70:71], v[66:67]
	v_mul_f64_e32 v[66:67], v[68:69], v[66:67]
	;; [unrolled: 11-line block ×3, first 2 shown]
	v_fma_f64 v[88:89], v[2:3], v[44:45], -v[88:89]
	v_fmac_f64_e32 v[90:91], v[4:5], v[44:45]
	v_fma_f64 v[92:93], v[2:3], v[48:49], -v[92:93]
	v_fmac_f64_e32 v[94:95], v[4:5], v[48:49]
	;; [unrolled: 2-line block ×8, first 2 shown]
	ds_load_b128 v[2:5], v43 offset:48
	ds_load_b128 v[44:47], v43 offset:2096
	;; [unrolled: 1-line block ×4, first 2 shown]
	v_fma_f64 v[116:117], v[72:73], v[76:77], -v[116:117]
	v_fmac_f64_e32 v[118:119], v[74:75], v[76:77]
	v_fma_f64 v[72:73], v[72:73], v[80:81], -v[120:121]
	v_fmac_f64_e32 v[122:123], v[74:75], v[80:81]
	;; [unrolled: 2-line block ×4, first 2 shown]
	v_add_f64_e32 v[64:65], v[38:39], v[88:89]
	v_add_f64_e32 v[68:69], v[90:91], v[40:41]
	;; [unrolled: 1-line block ×8, first 2 shown]
	s_wait_dscnt 0x1
	v_mul_f64_e32 v[98:99], v[4:5], v[50:51]
	v_mul_f64_e32 v[100:101], v[2:3], v[50:51]
	s_wait_dscnt 0x0
	v_mul_f64_e32 v[106:107], v[4:5], v[54:55]
	v_mul_f64_e32 v[110:111], v[2:3], v[54:55]
	;; [unrolled: 1-line block ×6, first 2 shown]
	ds_load_b128 v[22:25], v43 offset:64
	ds_load_b128 v[30:33], v7 offset:2048
	;; [unrolled: 1-line block ×4, first 2 shown]
	v_add_f64_e32 v[80:81], v[64:65], v[102:103]
	v_add_f64_e32 v[84:85], v[104:105], v[68:69]
	;; [unrolled: 1-line block ×8, first 2 shown]
	s_wait_dscnt 0x2
	v_mul_f64_e32 v[96:97], v[24:25], v[32:33]
	v_mul_f64_e32 v[102:103], v[22:23], v[32:33]
	s_wait_dscnt 0x1
	v_mul_f64_e32 v[104:105], v[24:25], v[36:37]
	v_mul_f64_e32 v[108:109], v[22:23], v[36:37]
	s_wait_dscnt 0x0
	v_mul_f64_e32 v[120:121], v[40:41], v[32:33]
	v_mul_f64_e32 v[124:125], v[38:39], v[32:33]
	v_mul_f64_e32 v[32:33], v[40:41], v[36:37]
	v_mul_f64_e32 v[126:127], v[38:39], v[36:37]
	v_fma_f64 v[36:37], v[2:3], v[48:49], -v[98:99]
	v_fmac_f64_e32 v[100:101], v[4:5], v[48:49]
	v_fma_f64 v[98:99], v[2:3], v[52:53], -v[106:107]
	v_fmac_f64_e32 v[110:111], v[4:5], v[52:53]
	;; [unrolled: 2-line block ×4, first 2 shown]
	ds_load_b128 v[54:57], v43 offset:80
	ds_load_b128 v[58:61], v43 offset:2128
	;; [unrolled: 1-line block ×4, first 2 shown]
	v_add_f64_e32 v[52:53], v[80:81], v[116:117]
	v_add_f64_e32 v[80:81], v[118:119], v[84:85]
	;; [unrolled: 1-line block ×8, first 2 shown]
	v_fma_f64 v[96:97], v[22:23], v[30:31], -v[96:97]
	v_fmac_f64_e32 v[102:103], v[24:25], v[30:31]
	v_fma_f64 v[104:105], v[22:23], v[34:35], -v[104:105]
	s_wait_dscnt 0x1
	v_mul_f64_e32 v[88:89], v[56:57], v[64:65]
	v_mul_f64_e32 v[90:91], v[54:55], v[64:65]
	s_wait_dscnt 0x0
	v_mul_f64_e32 v[92:93], v[56:57], v[68:69]
	v_mul_f64_e32 v[94:95], v[54:55], v[68:69]
	;; [unrolled: 1-line block ×6, first 2 shown]
	v_fmac_f64_e32 v[108:109], v[24:25], v[34:35]
	v_fma_f64 v[120:121], v[38:39], v[30:31], -v[120:121]
	v_fmac_f64_e32 v[124:125], v[40:41], v[30:31]
	v_fma_f64 v[122:123], v[38:39], v[34:35], -v[32:33]
	v_fmac_f64_e32 v[126:127], v[40:41], v[34:35]
	ds_load_b128 v[2:5], v43 offset:96
	ds_load_b128 v[44:47], v7 offset:3072
	;; [unrolled: 1-line block ×4, first 2 shown]
	v_add_f64_e32 v[52:53], v[52:53], v[36:37]
	v_add_f64_e32 v[80:81], v[100:101], v[80:81]
	;; [unrolled: 1-line block ×8, first 2 shown]
	ds_load_b128 v[22:25], v43 offset:112
	ds_load_b128 v[30:33], v43 offset:2160
	;; [unrolled: 1-line block ×4, first 2 shown]
	s_wait_dscnt 0x0
	v_mul_f64_e32 v[98:99], v[4:5], v[46:47]
	v_mul_f64_e32 v[100:101], v[2:3], v[46:47]
	;; [unrolled: 1-line block ×8, first 2 shown]
	v_fma_f64 v[88:89], v[54:55], v[62:63], -v[88:89]
	v_fmac_f64_e32 v[90:91], v[56:57], v[62:63]
	v_fma_f64 v[54:55], v[54:55], v[66:67], -v[92:93]
	v_fmac_f64_e32 v[94:95], v[56:57], v[66:67]
	;; [unrolled: 2-line block ×4, first 2 shown]
	s_barrier_signal -1
	s_barrier_wait -1
	v_mul_f64_e32 v[92:93], v[22:23], v[40:41]
	v_add_f64_e32 v[52:53], v[52:53], v[96:97]
	v_add_f64_e32 v[60:61], v[102:103], v[80:81]
	;; [unrolled: 1-line block ×8, first 2 shown]
	v_mul_f64_e32 v[82:83], v[24:25], v[36:37]
	v_mul_f64_e32 v[84:85], v[22:23], v[36:37]
	;; [unrolled: 1-line block ×7, first 2 shown]
	v_fma_f64 v[40:41], v[2:3], v[44:45], -v[98:99]
	v_fmac_f64_e32 v[100:101], v[4:5], v[44:45]
	v_fma_f64 v[2:3], v[2:3], v[48:49], -v[106:107]
	v_fmac_f64_e32 v[110:111], v[4:5], v[48:49]
	;; [unrolled: 2-line block ×4, first 2 shown]
	v_fmac_f64_e32 v[92:93], v[24:25], v[38:39]
	v_add_f64_e32 v[48:49], v[52:53], v[88:89]
	v_add_f64_e32 v[52:53], v[90:91], v[60:61]
	;; [unrolled: 1-line block ×8, first 2 shown]
	v_fma_f64 v[66:67], v[22:23], v[34:35], -v[82:83]
	v_fmac_f64_e32 v[84:85], v[24:25], v[34:35]
	v_fma_f64 v[22:23], v[22:23], v[38:39], -v[86:87]
	v_fma_f64 v[24:25], v[30:31], v[34:35], -v[96:97]
	v_fmac_f64_e32 v[102:103], v[32:33], v[34:35]
	v_fma_f64 v[68:69], v[30:31], v[38:39], -v[36:37]
	v_fmac_f64_e32 v[104:105], v[32:33], v[38:39]
	v_add_f64_e32 v[30:31], v[48:49], v[40:41]
	v_add_f64_e32 v[32:33], v[100:101], v[52:53]
	;; [unrolled: 1-line block ×16, first 2 shown]
	s_cbranch_vccz .LBB285_18
.LBB285_10:                             ;   Parent Loop BB285_7 Depth=1
                                        ; =>  This Inner Loop Header: Depth=2
	v_mov_b64_e32 v[2:3], 0
	v_mov_b64_e32 v[4:5], 0
	s_and_saveexec_b32 s20, s0
	s_cbranch_execz .LBB285_14
; %bb.11:                               ;   in Loop: Header=BB285_10 Depth=2
	v_mov_b64_e32 v[4:5], 0
	v_mov_b64_e32 v[2:3], 0
	v_add_nc_u32_e32 v0, s2, v14
	s_mov_b32 s21, exec_lo
	s_delay_alu instid0(VALU_DEP_1)
	v_cmpx_gt_u64_e64 s[8:9], v[0:1]
	s_cbranch_execz .LBB285_13
; %bb.12:                               ;   in Loop: Header=BB285_10 Depth=2
	v_lshl_add_u64 v[2:3], v[0:1], 4, v[26:27]
	global_load_b128 v[2:5], v[2:3], off
	s_wait_loadcnt 0x0
	v_xor_b32_e32 v5, 0x80000000, v5
.LBB285_13:                             ;   in Loop: Header=BB285_10 Depth=2
	s_wait_xcnt 0x0
	s_or_b32 exec_lo, exec_lo, s21
.LBB285_14:                             ;   in Loop: Header=BB285_10 Depth=2
	s_delay_alu instid0(SALU_CYCLE_1) | instskip(SKIP_4) | instid1(SALU_CYCLE_1)
	s_or_b32 exec_lo, exec_lo, s20
	v_add_nc_u32_e32 v0, s2, v6
	ds_store_b128 v15, v[2:5]
	v_cmp_le_u64_e32 vcc_lo, s[8:9], v[0:1]
	s_or_b32 s20, vcc_lo, s1
	s_and_saveexec_b32 s21, s20
	s_delay_alu instid0(SALU_CYCLE_1)
	s_xor_b32 s20, exec_lo, s21
; %bb.15:                               ;   in Loop: Header=BB285_10 Depth=2
	v_dual_mov_b32 v0, v1 :: v_dual_mov_b32 v2, v1
	v_mov_b32_e32 v3, v1
	ds_store_b128 v42, v[0:3]
; %bb.16:                               ;   in Loop: Header=BB285_10 Depth=2
	s_and_not1_saveexec_b32 s20, s20
	s_cbranch_execz .LBB285_9
; %bb.17:                               ;   in Loop: Header=BB285_10 Depth=2
	v_lshl_add_u64 v[2:3], v[0:1], 4, v[28:29]
	global_load_b128 v[2:5], v[2:3], off
	s_wait_loadcnt 0x0
	ds_store_2addr_b64 v42, v[2:3], v[4:5] offset1:1
	s_branch .LBB285_9
.LBB285_18:                             ;   in Loop: Header=BB285_7 Depth=1
	s_mul_u64 s[2:3], s[6:7], s[34:35]
	s_delay_alu instid0(SALU_CYCLE_1) | instskip(NEXT) | instid1(SALU_CYCLE_1)
	s_lshl_b64 s[2:3], s[2:3], 4
	s_add_nc_u64 s[2:3], s[30:31], s[2:3]
	s_delay_alu instid0(SALU_CYCLE_1)
	v_lshl_add_u64 v[26:27], v[10:11], 4, s[2:3]
	s_and_saveexec_b32 s20, s14
	s_cbranch_execz .LBB285_23
; %bb.19:                               ;   in Loop: Header=BB285_7 Depth=1
	v_mul_f64_e32 v[2:3], s[12:13], v[40:41]
	v_mul_f64_e32 v[4:5], s[10:11], v[40:41]
	v_lshl_add_u64 v[28:29], v[8:9], 4, v[26:27]
	s_and_b32 vcc_lo, exec_lo, s5
	s_mov_b32 s21, -1
	s_delay_alu instid0(VALU_DEP_3) | instskip(NEXT) | instid1(VALU_DEP_3)
	v_fma_f64 v[2:3], s[10:11], v[38:39], -v[2:3]
	v_fmac_f64_e32 v[4:5], s[12:13], v[38:39]
	s_cbranch_vccz .LBB285_21
; %bb.20:                               ;   in Loop: Header=BB285_7 Depth=1
	global_load_b128 v[38:41], v[28:29], off
	s_mov_b32 s21, 0
	s_wait_loadcnt 0x0
	v_mul_f64_e32 v[44:45], s[28:29], v[40:41]
	v_mul_f64_e32 v[40:41], s[26:27], v[40:41]
	s_delay_alu instid0(VALU_DEP_2) | instskip(NEXT) | instid1(VALU_DEP_2)
	v_fma_f64 v[44:45], s[26:27], v[38:39], -v[44:45]
	v_fmac_f64_e32 v[40:41], s[28:29], v[38:39]
	s_delay_alu instid0(VALU_DEP_2) | instskip(NEXT) | instid1(VALU_DEP_2)
	v_add_f64_e32 v[38:39], v[2:3], v[44:45]
	v_add_f64_e32 v[40:41], v[4:5], v[40:41]
	global_store_b128 v[28:29], v[38:41], off
.LBB285_21:                             ;   in Loop: Header=BB285_7 Depth=1
	s_and_not1_b32 vcc_lo, exec_lo, s21
	s_cbranch_vccnz .LBB285_23
; %bb.22:                               ;   in Loop: Header=BB285_7 Depth=1
	global_store_b128 v[28:29], v[2:5], off
.LBB285_23:                             ;   in Loop: Header=BB285_7 Depth=1
	s_wait_xcnt 0x0
	s_or_b32 exec_lo, exec_lo, s20
	s_and_saveexec_b32 s20, s15
	s_cbranch_execz .LBB285_28
; %bb.24:                               ;   in Loop: Header=BB285_7 Depth=1
	v_mul_f64_e32 v[2:3], s[12:13], v[36:37]
	v_mul_f64_e32 v[4:5], s[10:11], v[36:37]
	v_lshl_add_u64 v[26:27], v[16:17], 4, v[26:27]
	s_and_not1_b32 vcc_lo, exec_lo, s5
	s_mov_b32 s21, -1
	s_delay_alu instid0(VALU_DEP_3) | instskip(NEXT) | instid1(VALU_DEP_3)
	v_fma_f64 v[2:3], s[10:11], v[34:35], -v[2:3]
	v_fmac_f64_e32 v[4:5], s[12:13], v[34:35]
	s_cbranch_vccnz .LBB285_26
; %bb.25:                               ;   in Loop: Header=BB285_7 Depth=1
	global_load_b128 v[34:37], v[26:27], off
	s_mov_b32 s21, 0
	s_wait_loadcnt 0x0
	v_mul_f64_e32 v[28:29], s[28:29], v[36:37]
	v_mul_f64_e32 v[36:37], s[26:27], v[36:37]
	s_delay_alu instid0(VALU_DEP_2) | instskip(NEXT) | instid1(VALU_DEP_2)
	v_fma_f64 v[28:29], s[26:27], v[34:35], -v[28:29]
	v_fmac_f64_e32 v[36:37], s[28:29], v[34:35]
	s_delay_alu instid0(VALU_DEP_2) | instskip(NEXT) | instid1(VALU_DEP_2)
	v_add_f64_e32 v[34:35], v[2:3], v[28:29]
	v_add_f64_e32 v[36:37], v[4:5], v[36:37]
	global_store_b128 v[26:27], v[34:37], off
.LBB285_26:                             ;   in Loop: Header=BB285_7 Depth=1
	s_and_not1_b32 vcc_lo, exec_lo, s21
	s_cbranch_vccnz .LBB285_28
; %bb.27:                               ;   in Loop: Header=BB285_7 Depth=1
	global_store_b128 v[26:27], v[2:5], off
.LBB285_28:                             ;   in Loop: Header=BB285_7 Depth=1
	s_wait_xcnt 0x0
	s_or_b32 exec_lo, exec_lo, s20
	v_lshl_add_u64 v[26:27], v[12:13], 4, s[2:3]
	s_and_saveexec_b32 s2, s17
	s_cbranch_execz .LBB285_33
; %bb.29:                               ;   in Loop: Header=BB285_7 Depth=1
	v_mul_f64_e32 v[2:3], s[12:13], v[32:33]
	v_mul_f64_e32 v[4:5], s[10:11], v[32:33]
	v_lshl_add_u64 v[28:29], v[8:9], 4, v[26:27]
	s_and_not1_b32 vcc_lo, exec_lo, s5
	s_mov_b32 s3, -1
	s_delay_alu instid0(VALU_DEP_3) | instskip(NEXT) | instid1(VALU_DEP_3)
	v_fma_f64 v[2:3], s[10:11], v[30:31], -v[2:3]
	v_fmac_f64_e32 v[4:5], s[12:13], v[30:31]
	s_cbranch_vccnz .LBB285_31
; %bb.30:                               ;   in Loop: Header=BB285_7 Depth=1
	global_load_b128 v[30:33], v[28:29], off
	s_mov_b32 s3, 0
	s_wait_loadcnt 0x0
	v_mul_f64_e32 v[34:35], s[28:29], v[32:33]
	v_mul_f64_e32 v[32:33], s[26:27], v[32:33]
	s_delay_alu instid0(VALU_DEP_2) | instskip(NEXT) | instid1(VALU_DEP_2)
	v_fma_f64 v[34:35], s[26:27], v[30:31], -v[34:35]
	v_fmac_f64_e32 v[32:33], s[28:29], v[30:31]
	s_delay_alu instid0(VALU_DEP_2) | instskip(NEXT) | instid1(VALU_DEP_2)
	v_add_f64_e32 v[30:31], v[2:3], v[34:35]
	v_add_f64_e32 v[32:33], v[4:5], v[32:33]
	global_store_b128 v[28:29], v[30:33], off
.LBB285_31:                             ;   in Loop: Header=BB285_7 Depth=1
	s_and_not1_b32 vcc_lo, exec_lo, s3
	s_cbranch_vccnz .LBB285_33
; %bb.32:                               ;   in Loop: Header=BB285_7 Depth=1
	global_store_b128 v[28:29], v[2:5], off
.LBB285_33:                             ;   in Loop: Header=BB285_7 Depth=1
	s_wait_xcnt 0x0
	s_or_b32 exec_lo, exec_lo, s2
	s_and_saveexec_b32 s2, s4
	s_cbranch_execz .LBB285_6
; %bb.34:                               ;   in Loop: Header=BB285_7 Depth=1
	s_delay_alu instid0(VALU_DEP_3) | instskip(SKIP_3) | instid1(VALU_DEP_2)
	v_mul_f64_e32 v[2:3], s[12:13], v[24:25]
	v_mul_f64_e32 v[4:5], s[10:11], v[24:25]
	s_and_not1_b32 vcc_lo, exec_lo, s5
	s_mov_b32 s3, -1
	v_fma_f64 v[2:3], s[10:11], v[22:23], -v[2:3]
	s_delay_alu instid0(VALU_DEP_2)
	v_fmac_f64_e32 v[4:5], s[12:13], v[22:23]
	v_lshl_add_u64 v[22:23], v[16:17], 4, v[26:27]
	s_cbranch_vccnz .LBB285_36
; %bb.35:                               ;   in Loop: Header=BB285_7 Depth=1
	global_load_b128 v[24:27], v[22:23], off
	s_mov_b32 s3, 0
	s_wait_loadcnt 0x0
	v_mul_f64_e32 v[28:29], s[28:29], v[26:27]
	v_mul_f64_e32 v[26:27], s[26:27], v[26:27]
	s_delay_alu instid0(VALU_DEP_2) | instskip(NEXT) | instid1(VALU_DEP_2)
	v_fma_f64 v[28:29], s[26:27], v[24:25], -v[28:29]
	v_fmac_f64_e32 v[26:27], s[28:29], v[24:25]
	s_delay_alu instid0(VALU_DEP_2) | instskip(NEXT) | instid1(VALU_DEP_2)
	v_add_f64_e32 v[24:25], v[2:3], v[28:29]
	v_add_f64_e32 v[26:27], v[4:5], v[26:27]
	global_store_b128 v[22:23], v[24:27], off
.LBB285_36:                             ;   in Loop: Header=BB285_7 Depth=1
	s_and_not1_b32 vcc_lo, exec_lo, s3
	s_cbranch_vccnz .LBB285_6
; %bb.37:                               ;   in Loop: Header=BB285_7 Depth=1
	global_store_b128 v[22:23], v[2:5], off
	s_branch .LBB285_6
.LBB285_38:
.LBB285_39:
	s_sendmsg sendmsg(MSG_DEALLOC_VGPRS)
	s_endpgm
	.section	.rodata,"a",@progbits
	.p2align	6, 0x0
	.amdhsa_kernel _ZL29rocblas_internal_gemmt_kernelIlLi16ELi32ELi8ELc67ELc78ELc76ELb1ELb0E19rocblas_complex_numIdES1_PKS1_PS1_EviT_T9_T10_S5_lS7_S5_lS6_T11_S5_li
		.amdhsa_group_segment_fixed_size 8192
		.amdhsa_private_segment_fixed_size 0
		.amdhsa_kernarg_size 124
		.amdhsa_user_sgpr_count 2
		.amdhsa_user_sgpr_dispatch_ptr 0
		.amdhsa_user_sgpr_queue_ptr 0
		.amdhsa_user_sgpr_kernarg_segment_ptr 1
		.amdhsa_user_sgpr_dispatch_id 0
		.amdhsa_user_sgpr_kernarg_preload_length 0
		.amdhsa_user_sgpr_kernarg_preload_offset 0
		.amdhsa_user_sgpr_private_segment_size 0
		.amdhsa_wavefront_size32 1
		.amdhsa_uses_dynamic_stack 0
		.amdhsa_enable_private_segment 0
		.amdhsa_system_sgpr_workgroup_id_x 1
		.amdhsa_system_sgpr_workgroup_id_y 1
		.amdhsa_system_sgpr_workgroup_id_z 1
		.amdhsa_system_sgpr_workgroup_info 0
		.amdhsa_system_vgpr_workitem_id 1
		.amdhsa_next_free_vgpr 130
		.amdhsa_next_free_sgpr 39
		.amdhsa_named_barrier_count 0
		.amdhsa_reserve_vcc 1
		.amdhsa_float_round_mode_32 0
		.amdhsa_float_round_mode_16_64 0
		.amdhsa_float_denorm_mode_32 3
		.amdhsa_float_denorm_mode_16_64 3
		.amdhsa_fp16_overflow 0
		.amdhsa_memory_ordered 1
		.amdhsa_forward_progress 1
		.amdhsa_inst_pref_size 23
		.amdhsa_round_robin_scheduling 0
		.amdhsa_exception_fp_ieee_invalid_op 0
		.amdhsa_exception_fp_denorm_src 0
		.amdhsa_exception_fp_ieee_div_zero 0
		.amdhsa_exception_fp_ieee_overflow 0
		.amdhsa_exception_fp_ieee_underflow 0
		.amdhsa_exception_fp_ieee_inexact 0
		.amdhsa_exception_int_div_zero 0
	.end_amdhsa_kernel
	.section	.text._ZL29rocblas_internal_gemmt_kernelIlLi16ELi32ELi8ELc67ELc78ELc76ELb1ELb0E19rocblas_complex_numIdES1_PKS1_PS1_EviT_T9_T10_S5_lS7_S5_lS6_T11_S5_li,"axG",@progbits,_ZL29rocblas_internal_gemmt_kernelIlLi16ELi32ELi8ELc67ELc78ELc76ELb1ELb0E19rocblas_complex_numIdES1_PKS1_PS1_EviT_T9_T10_S5_lS7_S5_lS6_T11_S5_li,comdat
.Lfunc_end285:
	.size	_ZL29rocblas_internal_gemmt_kernelIlLi16ELi32ELi8ELc67ELc78ELc76ELb1ELb0E19rocblas_complex_numIdES1_PKS1_PS1_EviT_T9_T10_S5_lS7_S5_lS6_T11_S5_li, .Lfunc_end285-_ZL29rocblas_internal_gemmt_kernelIlLi16ELi32ELi8ELc67ELc78ELc76ELb1ELb0E19rocblas_complex_numIdES1_PKS1_PS1_EviT_T9_T10_S5_lS7_S5_lS6_T11_S5_li
                                        ; -- End function
	.set _ZL29rocblas_internal_gemmt_kernelIlLi16ELi32ELi8ELc67ELc78ELc76ELb1ELb0E19rocblas_complex_numIdES1_PKS1_PS1_EviT_T9_T10_S5_lS7_S5_lS6_T11_S5_li.num_vgpr, 130
	.set _ZL29rocblas_internal_gemmt_kernelIlLi16ELi32ELi8ELc67ELc78ELc76ELb1ELb0E19rocblas_complex_numIdES1_PKS1_PS1_EviT_T9_T10_S5_lS7_S5_lS6_T11_S5_li.num_agpr, 0
	.set _ZL29rocblas_internal_gemmt_kernelIlLi16ELi32ELi8ELc67ELc78ELc76ELb1ELb0E19rocblas_complex_numIdES1_PKS1_PS1_EviT_T9_T10_S5_lS7_S5_lS6_T11_S5_li.numbered_sgpr, 39
	.set _ZL29rocblas_internal_gemmt_kernelIlLi16ELi32ELi8ELc67ELc78ELc76ELb1ELb0E19rocblas_complex_numIdES1_PKS1_PS1_EviT_T9_T10_S5_lS7_S5_lS6_T11_S5_li.num_named_barrier, 0
	.set _ZL29rocblas_internal_gemmt_kernelIlLi16ELi32ELi8ELc67ELc78ELc76ELb1ELb0E19rocblas_complex_numIdES1_PKS1_PS1_EviT_T9_T10_S5_lS7_S5_lS6_T11_S5_li.private_seg_size, 0
	.set _ZL29rocblas_internal_gemmt_kernelIlLi16ELi32ELi8ELc67ELc78ELc76ELb1ELb0E19rocblas_complex_numIdES1_PKS1_PS1_EviT_T9_T10_S5_lS7_S5_lS6_T11_S5_li.uses_vcc, 1
	.set _ZL29rocblas_internal_gemmt_kernelIlLi16ELi32ELi8ELc67ELc78ELc76ELb1ELb0E19rocblas_complex_numIdES1_PKS1_PS1_EviT_T9_T10_S5_lS7_S5_lS6_T11_S5_li.uses_flat_scratch, 0
	.set _ZL29rocblas_internal_gemmt_kernelIlLi16ELi32ELi8ELc67ELc78ELc76ELb1ELb0E19rocblas_complex_numIdES1_PKS1_PS1_EviT_T9_T10_S5_lS7_S5_lS6_T11_S5_li.has_dyn_sized_stack, 0
	.set _ZL29rocblas_internal_gemmt_kernelIlLi16ELi32ELi8ELc67ELc78ELc76ELb1ELb0E19rocblas_complex_numIdES1_PKS1_PS1_EviT_T9_T10_S5_lS7_S5_lS6_T11_S5_li.has_recursion, 0
	.set _ZL29rocblas_internal_gemmt_kernelIlLi16ELi32ELi8ELc67ELc78ELc76ELb1ELb0E19rocblas_complex_numIdES1_PKS1_PS1_EviT_T9_T10_S5_lS7_S5_lS6_T11_S5_li.has_indirect_call, 0
	.section	.AMDGPU.csdata,"",@progbits
; Kernel info:
; codeLenInByte = 2856
; TotalNumSgprs: 41
; NumVgprs: 130
; ScratchSize: 0
; MemoryBound: 1
; FloatMode: 240
; IeeeMode: 1
; LDSByteSize: 8192 bytes/workgroup (compile time only)
; SGPRBlocks: 0
; VGPRBlocks: 8
; NumSGPRsForWavesPerEU: 41
; NumVGPRsForWavesPerEU: 130
; NamedBarCnt: 0
; Occupancy: 7
; WaveLimiterHint : 0
; COMPUTE_PGM_RSRC2:SCRATCH_EN: 0
; COMPUTE_PGM_RSRC2:USER_SGPR: 2
; COMPUTE_PGM_RSRC2:TRAP_HANDLER: 0
; COMPUTE_PGM_RSRC2:TGID_X_EN: 1
; COMPUTE_PGM_RSRC2:TGID_Y_EN: 1
; COMPUTE_PGM_RSRC2:TGID_Z_EN: 1
; COMPUTE_PGM_RSRC2:TIDIG_COMP_CNT: 1
	.section	.text._ZL29rocblas_internal_gemmt_kernelIlLi16ELi32ELi8ELc67ELc84ELc76ELb1ELb0E19rocblas_complex_numIdES1_PKS1_PS1_EviT_T9_T10_S5_lS7_S5_lS6_T11_S5_li,"axG",@progbits,_ZL29rocblas_internal_gemmt_kernelIlLi16ELi32ELi8ELc67ELc84ELc76ELb1ELb0E19rocblas_complex_numIdES1_PKS1_PS1_EviT_T9_T10_S5_lS7_S5_lS6_T11_S5_li,comdat
	.globl	_ZL29rocblas_internal_gemmt_kernelIlLi16ELi32ELi8ELc67ELc84ELc76ELb1ELb0E19rocblas_complex_numIdES1_PKS1_PS1_EviT_T9_T10_S5_lS7_S5_lS6_T11_S5_li ; -- Begin function _ZL29rocblas_internal_gemmt_kernelIlLi16ELi32ELi8ELc67ELc84ELc76ELb1ELb0E19rocblas_complex_numIdES1_PKS1_PS1_EviT_T9_T10_S5_lS7_S5_lS6_T11_S5_li
	.p2align	8
	.type	_ZL29rocblas_internal_gemmt_kernelIlLi16ELi32ELi8ELc67ELc84ELc76ELb1ELb0E19rocblas_complex_numIdES1_PKS1_PS1_EviT_T9_T10_S5_lS7_S5_lS6_T11_S5_li,@function
_ZL29rocblas_internal_gemmt_kernelIlLi16ELi32ELi8ELc67ELc84ELc76ELb1ELb0E19rocblas_complex_numIdES1_PKS1_PS1_EviT_T9_T10_S5_lS7_S5_lS6_T11_S5_li: ; @_ZL29rocblas_internal_gemmt_kernelIlLi16ELi32ELi8ELc67ELc84ELc76ELb1ELb0E19rocblas_complex_numIdES1_PKS1_PS1_EviT_T9_T10_S5_lS7_S5_lS6_T11_S5_li
; %bb.0:
	s_clause 0x1
	s_load_b256 s[24:31], s[0:1], 0x48
	s_load_b512 s[8:23], s[0:1], 0x8
	s_wait_kmcnt 0x0
	v_cmp_eq_f64_e64 s3, s[26:27], 1.0
	v_cmp_eq_f64_e64 s2, s[28:29], 0
	s_and_b32 s3, s3, s2
	s_delay_alu instid0(SALU_CYCLE_1)
	s_and_not1_b32 vcc_lo, exec_lo, s3
	s_mov_b32 s3, -1
	s_cbranch_vccnz .LBB286_3
; %bb.1:
	s_cmp_lg_u64 s[8:9], 0
	s_cbranch_scc0 .LBB286_38
; %bb.2:
	v_cmp_neq_f64_e64 s3, s[10:11], 0
	v_cmp_neq_f64_e64 s4, s[12:13], 0
	s_or_b32 s3, s3, s4
.LBB286_3:
	s_delay_alu instid0(SALU_CYCLE_1)
	s_and_b32 vcc_lo, exec_lo, s3
	s_cbranch_vccz .LBB286_39
; %bb.4:
	s_load_b32 s33, s[0:1], 0x78
	s_bfe_u32 s3, ttmp6, 0x40014
	s_lshr_b32 s4, ttmp7, 16
	s_add_co_i32 s3, s3, 1
	s_bfe_u32 s6, ttmp6, 0x40008
	s_mul_i32 s5, s4, s3
	s_getreg_b32 s3, hwreg(HW_REG_IB_STS2, 6, 4)
	s_add_co_i32 s6, s6, s5
	s_cmp_eq_u32 s3, 0
	s_mov_b32 s35, 0
	s_cselect_b32 s34, s4, s6
	s_wait_kmcnt 0x0
	s_cmp_ge_u32 s34, s33
	s_cbranch_scc1 .LBB286_39
; %bb.5:
	v_and_b32_e32 v9, 0x3ff, v0
	v_bfe_u32 v11, v0, 10, 10
	s_bfe_u32 s4, ttmp6, 0x4000c
	s_bfe_u32 s6, ttmp6, 0x40010
	s_add_co_i32 s4, s4, 1
	s_and_b32 s7, ttmp7, 0xffff
	s_add_co_i32 s6, s6, 1
	v_lshl_add_u32 v8, v11, 4, v9
	s_and_b32 s5, ttmp6, 15
	s_mul_i32 s4, ttmp9, s4
	s_mul_i32 s6, s7, s6
	s_bfe_u32 s36, ttmp6, 0x40004
	s_add_co_i32 s5, s5, s4
	s_add_co_i32 s36, s36, s6
	s_cmp_eq_u32 s3, 0
	v_and_b32_e32 v16, 31, v8
	s_cselect_b32 s3, ttmp9, s5
	s_cselect_b32 s36, s7, s36
	s_lshl_b32 s3, s3, 5
	s_clause 0x1
	s_load_b128 s[4:7], s[0:1], 0x68
	s_load_b32 s37, s[0:1], 0x0
	s_wait_xcnt 0x0
	s_lshl_b32 s0, s36, 5
	s_delay_alu instid0(SALU_CYCLE_1) | instskip(SKIP_2) | instid1(VALU_DEP_3)
	v_dual_add_nc_u32 v4, s0, v11 :: v_dual_bitop2_b32 v2, s3, v16 bitop3:0x54
	v_dual_lshlrev_b32 v7, 4, v9 :: v_dual_bitop2_b32 v6, 7, v0 bitop3:0x40
	v_cmp_neq_f64_e64 s36, s[10:11], 0
	v_dual_ashrrev_i32 v3, 31, v2 :: v_dual_add_nc_u32 v22, 16, v4
	v_cmp_neq_f64_e64 s38, s[12:13], 0
	v_dual_lshrrev_b32 v17, 3, v8 :: v_dual_lshrrev_b32 v8, 5, v8
	s_delay_alu instid0(VALU_DEP_3)
	v_mul_u64_e32 v[0:1], s[16:17], v[2:3]
	v_dual_lshlrev_b32 v3, 4, v6 :: v_dual_ashrrev_i32 v5, 31, v4
	v_ashrrev_i32_e32 v23, 31, v22
	v_cmp_neq_f64_e64 s16, s[26:27], 0
	v_add_nc_u32_e32 v10, s3, v9
	v_add_nc_u32_e32 v18, s0, v17
	s_wait_kmcnt 0x0
	v_mul_u64_e32 v[12:13], s[4:5], v[4:5]
	v_mul_u64_e32 v[14:15], s[4:5], v[22:23]
	v_dual_lshlrev_b32 v5, 4, v16 :: v_dual_add_nc_u32 v16, 16, v10
	s_xor_b32 s39, s2, -1
	v_cmp_le_i32_e32 vcc_lo, v4, v10
	v_cmp_gt_i32_e64 s2, s37, v10
	v_lshl_or_b32 v3, v17, 7, v3
	v_cmp_le_i32_e64 s3, v4, v16
	v_cmp_gt_i32_e64 s4, s37, v16
	v_dual_ashrrev_i32 v19, 31, v18 :: v_dual_ashrrev_i32 v17, 31, v16
	v_cmp_gt_i64_e64 s17, s[8:9], 0
	v_cmp_gt_i32_e64 s1, s37, v18
	v_cmp_gt_i32_e64 s0, s37, v2
	v_lshl_or_b32 v9, v8, 9, v5
	v_add_nc_u32_e32 v42, 0x1000, v3
	v_lshl_add_u64 v[18:19], v[18:19], 4, s[20:21]
	v_lshl_add_u32 v43, v11, 7, 0x1000
	v_ashrrev_i32_e32 v11, 31, v10
	s_xor_b32 s1, s1, -1
	s_or_b32 s20, s36, s38
	v_lshl_add_u64 v[20:21], v[0:1], 4, s[14:15]
	s_and_b32 s14, vcc_lo, s2
	s_and_b32 s15, s3, s4
	v_cmp_le_i32_e32 vcc_lo, v22, v10
	v_cmp_le_i32_e64 s3, v22, v16
	v_mov_b32_e32 v1, 0
	s_or_b32 s5, s16, s39
	s_and_b32 s16, s20, s17
	s_and_b32 s17, vcc_lo, s2
	s_and_b32 s4, s3, s4
	s_branch .LBB286_7
.LBB286_6:                              ;   in Loop: Header=BB286_7 Depth=1
	s_wait_xcnt 0x0
	s_or_b32 exec_lo, exec_lo, s2
	s_add_co_i32 s34, s34, 0x10000
	s_delay_alu instid0(SALU_CYCLE_1)
	s_cmp_lt_u32 s34, s33
	s_cbranch_scc0 .LBB286_39
.LBB286_7:                              ; =>This Loop Header: Depth=1
                                        ;     Child Loop BB286_10 Depth 2
	v_mov_b64_e32 v[38:39], 0
	v_mov_b64_e32 v[40:41], 0
	;; [unrolled: 1-line block ×8, first 2 shown]
	s_and_not1_b32 vcc_lo, exec_lo, s16
	s_cbranch_vccnz .LBB286_18
; %bb.8:                                ;   in Loop: Header=BB286_7 Depth=1
	s_mul_u64 s[2:3], s[24:25], s[34:35]
	s_mul_u64 s[20:21], s[18:19], s[34:35]
	v_mov_b64_e32 v[24:25], 0
	v_mov_b64_e32 v[22:23], 0
	;; [unrolled: 1-line block ×8, first 2 shown]
	v_lshl_add_u64 v[26:27], s[20:21], 4, v[20:21]
	v_lshl_add_u64 v[28:29], s[2:3], 4, v[18:19]
	s_mov_b64 s[2:3], 0
	s_branch .LBB286_10
.LBB286_9:                              ;   in Loop: Header=BB286_10 Depth=2
	s_wait_xcnt 0x0
	s_or_b32 exec_lo, exec_lo, s20
	s_wait_dscnt 0x0
	s_barrier_signal -1
	s_barrier_wait -1
	ds_load_b128 v[2:5], v43
	ds_load_b128 v[44:47], v7
	ds_load_b128 v[48:51], v7 offset:256
	ds_load_b128 v[52:55], v43 offset:2048
	;; [unrolled: 1-line block ×10, first 2 shown]
	s_add_nc_u64 s[2:3], s[2:3], 8
	s_delay_alu instid0(SALU_CYCLE_1)
	v_cmp_gt_i64_e64 s20, s[8:9], s[2:3]
	s_and_b32 vcc_lo, exec_lo, s20
	s_wait_dscnt 0xa
	v_mul_f64_e32 v[88:89], v[4:5], v[46:47]
	v_mul_f64_e32 v[90:91], v[2:3], v[46:47]
	s_wait_dscnt 0x9
	v_mul_f64_e32 v[92:93], v[4:5], v[50:51]
	v_mul_f64_e32 v[94:95], v[2:3], v[50:51]
	s_wait_dscnt 0x8
	v_mul_f64_e32 v[96:97], v[54:55], v[46:47]
	v_mul_f64_e32 v[98:99], v[52:53], v[46:47]
	v_mul_f64_e32 v[46:47], v[54:55], v[50:51]
	v_mul_f64_e32 v[100:101], v[52:53], v[50:51]
	s_wait_dscnt 0x6
	v_mul_f64_e32 v[102:103], v[58:59], v[62:63]
	v_mul_f64_e32 v[104:105], v[56:57], v[62:63]
	s_wait_dscnt 0x5
	v_mul_f64_e32 v[106:107], v[58:59], v[66:67]
	v_mul_f64_e32 v[108:109], v[56:57], v[66:67]
	s_wait_dscnt 0x4
	v_mul_f64_e32 v[110:111], v[70:71], v[62:63]
	v_mul_f64_e32 v[62:63], v[68:69], v[62:63]
	v_mul_f64_e32 v[112:113], v[70:71], v[66:67]
	v_mul_f64_e32 v[66:67], v[68:69], v[66:67]
	;; [unrolled: 11-line block ×3, first 2 shown]
	v_fma_f64 v[88:89], v[2:3], v[44:45], -v[88:89]
	v_fmac_f64_e32 v[90:91], v[4:5], v[44:45]
	v_fma_f64 v[92:93], v[2:3], v[48:49], -v[92:93]
	v_fmac_f64_e32 v[94:95], v[4:5], v[48:49]
	;; [unrolled: 2-line block ×8, first 2 shown]
	ds_load_b128 v[2:5], v43 offset:48
	ds_load_b128 v[44:47], v43 offset:2096
	;; [unrolled: 1-line block ×4, first 2 shown]
	v_fma_f64 v[116:117], v[72:73], v[76:77], -v[116:117]
	v_fmac_f64_e32 v[118:119], v[74:75], v[76:77]
	v_fma_f64 v[72:73], v[72:73], v[80:81], -v[120:121]
	v_fmac_f64_e32 v[122:123], v[74:75], v[80:81]
	;; [unrolled: 2-line block ×4, first 2 shown]
	v_add_f64_e32 v[64:65], v[38:39], v[88:89]
	v_add_f64_e32 v[68:69], v[90:91], v[40:41]
	;; [unrolled: 1-line block ×8, first 2 shown]
	s_wait_dscnt 0x1
	v_mul_f64_e32 v[98:99], v[4:5], v[50:51]
	v_mul_f64_e32 v[100:101], v[2:3], v[50:51]
	s_wait_dscnt 0x0
	v_mul_f64_e32 v[106:107], v[4:5], v[54:55]
	v_mul_f64_e32 v[110:111], v[2:3], v[54:55]
	;; [unrolled: 1-line block ×6, first 2 shown]
	ds_load_b128 v[22:25], v43 offset:64
	ds_load_b128 v[30:33], v7 offset:2048
	;; [unrolled: 1-line block ×4, first 2 shown]
	v_add_f64_e32 v[80:81], v[64:65], v[102:103]
	v_add_f64_e32 v[84:85], v[104:105], v[68:69]
	;; [unrolled: 1-line block ×8, first 2 shown]
	s_wait_dscnt 0x2
	v_mul_f64_e32 v[96:97], v[24:25], v[32:33]
	v_mul_f64_e32 v[102:103], v[22:23], v[32:33]
	s_wait_dscnt 0x1
	v_mul_f64_e32 v[104:105], v[24:25], v[36:37]
	v_mul_f64_e32 v[108:109], v[22:23], v[36:37]
	;; [unrolled: 3-line block ×3, first 2 shown]
	v_mul_f64_e32 v[32:33], v[40:41], v[36:37]
	v_mul_f64_e32 v[126:127], v[38:39], v[36:37]
	v_fma_f64 v[36:37], v[2:3], v[48:49], -v[98:99]
	v_fmac_f64_e32 v[100:101], v[4:5], v[48:49]
	v_fma_f64 v[98:99], v[2:3], v[52:53], -v[106:107]
	v_fmac_f64_e32 v[110:111], v[4:5], v[52:53]
	;; [unrolled: 2-line block ×4, first 2 shown]
	ds_load_b128 v[54:57], v43 offset:80
	ds_load_b128 v[58:61], v43 offset:2128
	;; [unrolled: 1-line block ×4, first 2 shown]
	v_add_f64_e32 v[52:53], v[80:81], v[116:117]
	v_add_f64_e32 v[80:81], v[118:119], v[84:85]
	;; [unrolled: 1-line block ×8, first 2 shown]
	v_fma_f64 v[96:97], v[22:23], v[30:31], -v[96:97]
	v_fmac_f64_e32 v[102:103], v[24:25], v[30:31]
	v_fma_f64 v[104:105], v[22:23], v[34:35], -v[104:105]
	s_wait_dscnt 0x1
	v_mul_f64_e32 v[88:89], v[56:57], v[64:65]
	v_mul_f64_e32 v[90:91], v[54:55], v[64:65]
	s_wait_dscnt 0x0
	v_mul_f64_e32 v[92:93], v[56:57], v[68:69]
	v_mul_f64_e32 v[94:95], v[54:55], v[68:69]
	;; [unrolled: 1-line block ×6, first 2 shown]
	v_fmac_f64_e32 v[108:109], v[24:25], v[34:35]
	v_fma_f64 v[120:121], v[38:39], v[30:31], -v[120:121]
	v_fmac_f64_e32 v[124:125], v[40:41], v[30:31]
	v_fma_f64 v[122:123], v[38:39], v[34:35], -v[32:33]
	v_fmac_f64_e32 v[126:127], v[40:41], v[34:35]
	ds_load_b128 v[2:5], v43 offset:96
	ds_load_b128 v[44:47], v7 offset:3072
	;; [unrolled: 1-line block ×4, first 2 shown]
	v_add_f64_e32 v[52:53], v[52:53], v[36:37]
	v_add_f64_e32 v[80:81], v[100:101], v[80:81]
	;; [unrolled: 1-line block ×8, first 2 shown]
	ds_load_b128 v[22:25], v43 offset:112
	ds_load_b128 v[30:33], v43 offset:2160
	;; [unrolled: 1-line block ×4, first 2 shown]
	s_wait_dscnt 0x0
	v_mul_f64_e32 v[98:99], v[4:5], v[46:47]
	v_mul_f64_e32 v[100:101], v[2:3], v[46:47]
	;; [unrolled: 1-line block ×8, first 2 shown]
	v_fma_f64 v[88:89], v[54:55], v[62:63], -v[88:89]
	v_fmac_f64_e32 v[90:91], v[56:57], v[62:63]
	v_fma_f64 v[54:55], v[54:55], v[66:67], -v[92:93]
	v_fmac_f64_e32 v[94:95], v[56:57], v[66:67]
	;; [unrolled: 2-line block ×4, first 2 shown]
	s_barrier_signal -1
	s_barrier_wait -1
	v_mul_f64_e32 v[92:93], v[22:23], v[40:41]
	v_add_f64_e32 v[52:53], v[52:53], v[96:97]
	v_add_f64_e32 v[60:61], v[102:103], v[80:81]
	;; [unrolled: 1-line block ×8, first 2 shown]
	v_mul_f64_e32 v[82:83], v[24:25], v[36:37]
	v_mul_f64_e32 v[84:85], v[22:23], v[36:37]
	;; [unrolled: 1-line block ×7, first 2 shown]
	v_fma_f64 v[40:41], v[2:3], v[44:45], -v[98:99]
	v_fmac_f64_e32 v[100:101], v[4:5], v[44:45]
	v_fma_f64 v[2:3], v[2:3], v[48:49], -v[106:107]
	v_fmac_f64_e32 v[110:111], v[4:5], v[48:49]
	;; [unrolled: 2-line block ×4, first 2 shown]
	v_fmac_f64_e32 v[92:93], v[24:25], v[38:39]
	v_add_f64_e32 v[48:49], v[52:53], v[88:89]
	v_add_f64_e32 v[52:53], v[90:91], v[60:61]
	;; [unrolled: 1-line block ×8, first 2 shown]
	v_fma_f64 v[66:67], v[22:23], v[34:35], -v[82:83]
	v_fmac_f64_e32 v[84:85], v[24:25], v[34:35]
	v_fma_f64 v[22:23], v[22:23], v[38:39], -v[86:87]
	v_fma_f64 v[24:25], v[30:31], v[34:35], -v[96:97]
	v_fmac_f64_e32 v[102:103], v[32:33], v[34:35]
	v_fma_f64 v[68:69], v[30:31], v[38:39], -v[36:37]
	v_fmac_f64_e32 v[104:105], v[32:33], v[38:39]
	v_add_f64_e32 v[30:31], v[48:49], v[40:41]
	v_add_f64_e32 v[32:33], v[100:101], v[52:53]
	;; [unrolled: 1-line block ×16, first 2 shown]
	s_cbranch_vccz .LBB286_18
.LBB286_10:                             ;   Parent Loop BB286_7 Depth=1
                                        ; =>  This Inner Loop Header: Depth=2
	v_mov_b64_e32 v[2:3], 0
	v_mov_b64_e32 v[4:5], 0
	s_and_saveexec_b32 s20, s0
	s_cbranch_execz .LBB286_14
; %bb.11:                               ;   in Loop: Header=BB286_10 Depth=2
	v_mov_b64_e32 v[4:5], 0
	v_mov_b64_e32 v[2:3], 0
	v_add_nc_u32_e32 v0, s2, v8
	s_mov_b32 s21, exec_lo
	s_delay_alu instid0(VALU_DEP_1)
	v_cmpx_gt_u64_e64 s[8:9], v[0:1]
	s_cbranch_execz .LBB286_13
; %bb.12:                               ;   in Loop: Header=BB286_10 Depth=2
	v_lshl_add_u64 v[2:3], v[0:1], 4, v[26:27]
	global_load_b128 v[2:5], v[2:3], off
	s_wait_loadcnt 0x0
	v_xor_b32_e32 v5, 0x80000000, v5
.LBB286_13:                             ;   in Loop: Header=BB286_10 Depth=2
	s_wait_xcnt 0x0
	s_or_b32 exec_lo, exec_lo, s21
.LBB286_14:                             ;   in Loop: Header=BB286_10 Depth=2
	s_delay_alu instid0(SALU_CYCLE_1) | instskip(SKIP_4) | instid1(SALU_CYCLE_1)
	s_or_b32 exec_lo, exec_lo, s20
	v_add_nc_u32_e32 v0, s2, v6
	ds_store_b128 v9, v[2:5]
	v_cmp_le_u64_e32 vcc_lo, s[8:9], v[0:1]
	s_or_b32 s20, vcc_lo, s1
	s_and_saveexec_b32 s21, s20
	s_delay_alu instid0(SALU_CYCLE_1)
	s_xor_b32 s20, exec_lo, s21
; %bb.15:                               ;   in Loop: Header=BB286_10 Depth=2
	v_dual_mov_b32 v0, v1 :: v_dual_mov_b32 v2, v1
	v_mov_b32_e32 v3, v1
	ds_store_b128 v42, v[0:3]
; %bb.16:                               ;   in Loop: Header=BB286_10 Depth=2
	s_and_not1_saveexec_b32 s20, s20
	s_cbranch_execz .LBB286_9
; %bb.17:                               ;   in Loop: Header=BB286_10 Depth=2
	v_mul_u64_e32 v[2:3], s[22:23], v[0:1]
	s_delay_alu instid0(VALU_DEP_1)
	v_lshl_add_u64 v[2:3], v[2:3], 4, v[28:29]
	global_load_b128 v[2:5], v[2:3], off
	s_wait_loadcnt 0x0
	ds_store_2addr_b64 v42, v[2:3], v[4:5] offset1:1
	s_branch .LBB286_9
.LBB286_18:                             ;   in Loop: Header=BB286_7 Depth=1
	s_mul_u64 s[2:3], s[6:7], s[34:35]
	s_delay_alu instid0(SALU_CYCLE_1) | instskip(NEXT) | instid1(SALU_CYCLE_1)
	s_lshl_b64 s[2:3], s[2:3], 4
	s_add_nc_u64 s[2:3], s[30:31], s[2:3]
	s_delay_alu instid0(SALU_CYCLE_1)
	v_lshl_add_u64 v[26:27], v[12:13], 4, s[2:3]
	s_and_saveexec_b32 s20, s14
	s_cbranch_execz .LBB286_23
; %bb.19:                               ;   in Loop: Header=BB286_7 Depth=1
	v_mul_f64_e32 v[2:3], s[12:13], v[40:41]
	v_mul_f64_e32 v[4:5], s[10:11], v[40:41]
	v_lshl_add_u64 v[28:29], v[10:11], 4, v[26:27]
	s_and_b32 vcc_lo, exec_lo, s5
	s_mov_b32 s21, -1
	s_delay_alu instid0(VALU_DEP_3) | instskip(NEXT) | instid1(VALU_DEP_3)
	v_fma_f64 v[2:3], s[10:11], v[38:39], -v[2:3]
	v_fmac_f64_e32 v[4:5], s[12:13], v[38:39]
	s_cbranch_vccz .LBB286_21
; %bb.20:                               ;   in Loop: Header=BB286_7 Depth=1
	global_load_b128 v[38:41], v[28:29], off
	s_mov_b32 s21, 0
	s_wait_loadcnt 0x0
	v_mul_f64_e32 v[44:45], s[28:29], v[40:41]
	v_mul_f64_e32 v[40:41], s[26:27], v[40:41]
	s_delay_alu instid0(VALU_DEP_2) | instskip(NEXT) | instid1(VALU_DEP_2)
	v_fma_f64 v[44:45], s[26:27], v[38:39], -v[44:45]
	v_fmac_f64_e32 v[40:41], s[28:29], v[38:39]
	s_delay_alu instid0(VALU_DEP_2) | instskip(NEXT) | instid1(VALU_DEP_2)
	v_add_f64_e32 v[38:39], v[2:3], v[44:45]
	v_add_f64_e32 v[40:41], v[4:5], v[40:41]
	global_store_b128 v[28:29], v[38:41], off
.LBB286_21:                             ;   in Loop: Header=BB286_7 Depth=1
	s_and_not1_b32 vcc_lo, exec_lo, s21
	s_cbranch_vccnz .LBB286_23
; %bb.22:                               ;   in Loop: Header=BB286_7 Depth=1
	global_store_b128 v[28:29], v[2:5], off
.LBB286_23:                             ;   in Loop: Header=BB286_7 Depth=1
	s_wait_xcnt 0x0
	s_or_b32 exec_lo, exec_lo, s20
	s_and_saveexec_b32 s20, s15
	s_cbranch_execz .LBB286_28
; %bb.24:                               ;   in Loop: Header=BB286_7 Depth=1
	v_mul_f64_e32 v[2:3], s[12:13], v[36:37]
	v_mul_f64_e32 v[4:5], s[10:11], v[36:37]
	v_lshl_add_u64 v[26:27], v[16:17], 4, v[26:27]
	s_and_not1_b32 vcc_lo, exec_lo, s5
	s_mov_b32 s21, -1
	s_delay_alu instid0(VALU_DEP_3) | instskip(NEXT) | instid1(VALU_DEP_3)
	v_fma_f64 v[2:3], s[10:11], v[34:35], -v[2:3]
	v_fmac_f64_e32 v[4:5], s[12:13], v[34:35]
	s_cbranch_vccnz .LBB286_26
; %bb.25:                               ;   in Loop: Header=BB286_7 Depth=1
	global_load_b128 v[34:37], v[26:27], off
	s_mov_b32 s21, 0
	s_wait_loadcnt 0x0
	v_mul_f64_e32 v[28:29], s[28:29], v[36:37]
	v_mul_f64_e32 v[36:37], s[26:27], v[36:37]
	s_delay_alu instid0(VALU_DEP_2) | instskip(NEXT) | instid1(VALU_DEP_2)
	v_fma_f64 v[28:29], s[26:27], v[34:35], -v[28:29]
	v_fmac_f64_e32 v[36:37], s[28:29], v[34:35]
	s_delay_alu instid0(VALU_DEP_2) | instskip(NEXT) | instid1(VALU_DEP_2)
	v_add_f64_e32 v[34:35], v[2:3], v[28:29]
	v_add_f64_e32 v[36:37], v[4:5], v[36:37]
	global_store_b128 v[26:27], v[34:37], off
.LBB286_26:                             ;   in Loop: Header=BB286_7 Depth=1
	s_and_not1_b32 vcc_lo, exec_lo, s21
	s_cbranch_vccnz .LBB286_28
; %bb.27:                               ;   in Loop: Header=BB286_7 Depth=1
	global_store_b128 v[26:27], v[2:5], off
.LBB286_28:                             ;   in Loop: Header=BB286_7 Depth=1
	s_wait_xcnt 0x0
	s_or_b32 exec_lo, exec_lo, s20
	v_lshl_add_u64 v[26:27], v[14:15], 4, s[2:3]
	s_and_saveexec_b32 s2, s17
	s_cbranch_execz .LBB286_33
; %bb.29:                               ;   in Loop: Header=BB286_7 Depth=1
	v_mul_f64_e32 v[2:3], s[12:13], v[32:33]
	v_mul_f64_e32 v[4:5], s[10:11], v[32:33]
	v_lshl_add_u64 v[28:29], v[10:11], 4, v[26:27]
	s_and_not1_b32 vcc_lo, exec_lo, s5
	s_mov_b32 s3, -1
	s_delay_alu instid0(VALU_DEP_3) | instskip(NEXT) | instid1(VALU_DEP_3)
	v_fma_f64 v[2:3], s[10:11], v[30:31], -v[2:3]
	v_fmac_f64_e32 v[4:5], s[12:13], v[30:31]
	s_cbranch_vccnz .LBB286_31
; %bb.30:                               ;   in Loop: Header=BB286_7 Depth=1
	global_load_b128 v[30:33], v[28:29], off
	s_mov_b32 s3, 0
	s_wait_loadcnt 0x0
	v_mul_f64_e32 v[34:35], s[28:29], v[32:33]
	v_mul_f64_e32 v[32:33], s[26:27], v[32:33]
	s_delay_alu instid0(VALU_DEP_2) | instskip(NEXT) | instid1(VALU_DEP_2)
	v_fma_f64 v[34:35], s[26:27], v[30:31], -v[34:35]
	v_fmac_f64_e32 v[32:33], s[28:29], v[30:31]
	s_delay_alu instid0(VALU_DEP_2) | instskip(NEXT) | instid1(VALU_DEP_2)
	v_add_f64_e32 v[30:31], v[2:3], v[34:35]
	v_add_f64_e32 v[32:33], v[4:5], v[32:33]
	global_store_b128 v[28:29], v[30:33], off
.LBB286_31:                             ;   in Loop: Header=BB286_7 Depth=1
	s_and_not1_b32 vcc_lo, exec_lo, s3
	s_cbranch_vccnz .LBB286_33
; %bb.32:                               ;   in Loop: Header=BB286_7 Depth=1
	global_store_b128 v[28:29], v[2:5], off
.LBB286_33:                             ;   in Loop: Header=BB286_7 Depth=1
	s_wait_xcnt 0x0
	s_or_b32 exec_lo, exec_lo, s2
	s_and_saveexec_b32 s2, s4
	s_cbranch_execz .LBB286_6
; %bb.34:                               ;   in Loop: Header=BB286_7 Depth=1
	s_delay_alu instid0(VALU_DEP_3) | instskip(SKIP_3) | instid1(VALU_DEP_2)
	v_mul_f64_e32 v[2:3], s[12:13], v[24:25]
	v_mul_f64_e32 v[4:5], s[10:11], v[24:25]
	s_and_not1_b32 vcc_lo, exec_lo, s5
	s_mov_b32 s3, -1
	v_fma_f64 v[2:3], s[10:11], v[22:23], -v[2:3]
	s_delay_alu instid0(VALU_DEP_2)
	v_fmac_f64_e32 v[4:5], s[12:13], v[22:23]
	v_lshl_add_u64 v[22:23], v[16:17], 4, v[26:27]
	s_cbranch_vccnz .LBB286_36
; %bb.35:                               ;   in Loop: Header=BB286_7 Depth=1
	global_load_b128 v[24:27], v[22:23], off
	s_mov_b32 s3, 0
	s_wait_loadcnt 0x0
	v_mul_f64_e32 v[28:29], s[28:29], v[26:27]
	v_mul_f64_e32 v[26:27], s[26:27], v[26:27]
	s_delay_alu instid0(VALU_DEP_2) | instskip(NEXT) | instid1(VALU_DEP_2)
	v_fma_f64 v[28:29], s[26:27], v[24:25], -v[28:29]
	v_fmac_f64_e32 v[26:27], s[28:29], v[24:25]
	s_delay_alu instid0(VALU_DEP_2) | instskip(NEXT) | instid1(VALU_DEP_2)
	v_add_f64_e32 v[24:25], v[2:3], v[28:29]
	v_add_f64_e32 v[26:27], v[4:5], v[26:27]
	global_store_b128 v[22:23], v[24:27], off
.LBB286_36:                             ;   in Loop: Header=BB286_7 Depth=1
	s_and_not1_b32 vcc_lo, exec_lo, s3
	s_cbranch_vccnz .LBB286_6
; %bb.37:                               ;   in Loop: Header=BB286_7 Depth=1
	global_store_b128 v[22:23], v[2:5], off
	s_branch .LBB286_6
.LBB286_38:
.LBB286_39:
	s_sendmsg sendmsg(MSG_DEALLOC_VGPRS)
	s_endpgm
	.section	.rodata,"a",@progbits
	.p2align	6, 0x0
	.amdhsa_kernel _ZL29rocblas_internal_gemmt_kernelIlLi16ELi32ELi8ELc67ELc84ELc76ELb1ELb0E19rocblas_complex_numIdES1_PKS1_PS1_EviT_T9_T10_S5_lS7_S5_lS6_T11_S5_li
		.amdhsa_group_segment_fixed_size 8192
		.amdhsa_private_segment_fixed_size 0
		.amdhsa_kernarg_size 124
		.amdhsa_user_sgpr_count 2
		.amdhsa_user_sgpr_dispatch_ptr 0
		.amdhsa_user_sgpr_queue_ptr 0
		.amdhsa_user_sgpr_kernarg_segment_ptr 1
		.amdhsa_user_sgpr_dispatch_id 0
		.amdhsa_user_sgpr_kernarg_preload_length 0
		.amdhsa_user_sgpr_kernarg_preload_offset 0
		.amdhsa_user_sgpr_private_segment_size 0
		.amdhsa_wavefront_size32 1
		.amdhsa_uses_dynamic_stack 0
		.amdhsa_enable_private_segment 0
		.amdhsa_system_sgpr_workgroup_id_x 1
		.amdhsa_system_sgpr_workgroup_id_y 1
		.amdhsa_system_sgpr_workgroup_id_z 1
		.amdhsa_system_sgpr_workgroup_info 0
		.amdhsa_system_vgpr_workitem_id 1
		.amdhsa_next_free_vgpr 130
		.amdhsa_next_free_sgpr 40
		.amdhsa_named_barrier_count 0
		.amdhsa_reserve_vcc 1
		.amdhsa_float_round_mode_32 0
		.amdhsa_float_round_mode_16_64 0
		.amdhsa_float_denorm_mode_32 3
		.amdhsa_float_denorm_mode_16_64 3
		.amdhsa_fp16_overflow 0
		.amdhsa_memory_ordered 1
		.amdhsa_forward_progress 1
		.amdhsa_inst_pref_size 23
		.amdhsa_round_robin_scheduling 0
		.amdhsa_exception_fp_ieee_invalid_op 0
		.amdhsa_exception_fp_denorm_src 0
		.amdhsa_exception_fp_ieee_div_zero 0
		.amdhsa_exception_fp_ieee_overflow 0
		.amdhsa_exception_fp_ieee_underflow 0
		.amdhsa_exception_fp_ieee_inexact 0
		.amdhsa_exception_int_div_zero 0
	.end_amdhsa_kernel
	.section	.text._ZL29rocblas_internal_gemmt_kernelIlLi16ELi32ELi8ELc67ELc84ELc76ELb1ELb0E19rocblas_complex_numIdES1_PKS1_PS1_EviT_T9_T10_S5_lS7_S5_lS6_T11_S5_li,"axG",@progbits,_ZL29rocblas_internal_gemmt_kernelIlLi16ELi32ELi8ELc67ELc84ELc76ELb1ELb0E19rocblas_complex_numIdES1_PKS1_PS1_EviT_T9_T10_S5_lS7_S5_lS6_T11_S5_li,comdat
.Lfunc_end286:
	.size	_ZL29rocblas_internal_gemmt_kernelIlLi16ELi32ELi8ELc67ELc84ELc76ELb1ELb0E19rocblas_complex_numIdES1_PKS1_PS1_EviT_T9_T10_S5_lS7_S5_lS6_T11_S5_li, .Lfunc_end286-_ZL29rocblas_internal_gemmt_kernelIlLi16ELi32ELi8ELc67ELc84ELc76ELb1ELb0E19rocblas_complex_numIdES1_PKS1_PS1_EviT_T9_T10_S5_lS7_S5_lS6_T11_S5_li
                                        ; -- End function
	.set _ZL29rocblas_internal_gemmt_kernelIlLi16ELi32ELi8ELc67ELc84ELc76ELb1ELb0E19rocblas_complex_numIdES1_PKS1_PS1_EviT_T9_T10_S5_lS7_S5_lS6_T11_S5_li.num_vgpr, 130
	.set _ZL29rocblas_internal_gemmt_kernelIlLi16ELi32ELi8ELc67ELc84ELc76ELb1ELb0E19rocblas_complex_numIdES1_PKS1_PS1_EviT_T9_T10_S5_lS7_S5_lS6_T11_S5_li.num_agpr, 0
	.set _ZL29rocblas_internal_gemmt_kernelIlLi16ELi32ELi8ELc67ELc84ELc76ELb1ELb0E19rocblas_complex_numIdES1_PKS1_PS1_EviT_T9_T10_S5_lS7_S5_lS6_T11_S5_li.numbered_sgpr, 40
	.set _ZL29rocblas_internal_gemmt_kernelIlLi16ELi32ELi8ELc67ELc84ELc76ELb1ELb0E19rocblas_complex_numIdES1_PKS1_PS1_EviT_T9_T10_S5_lS7_S5_lS6_T11_S5_li.num_named_barrier, 0
	.set _ZL29rocblas_internal_gemmt_kernelIlLi16ELi32ELi8ELc67ELc84ELc76ELb1ELb0E19rocblas_complex_numIdES1_PKS1_PS1_EviT_T9_T10_S5_lS7_S5_lS6_T11_S5_li.private_seg_size, 0
	.set _ZL29rocblas_internal_gemmt_kernelIlLi16ELi32ELi8ELc67ELc84ELc76ELb1ELb0E19rocblas_complex_numIdES1_PKS1_PS1_EviT_T9_T10_S5_lS7_S5_lS6_T11_S5_li.uses_vcc, 1
	.set _ZL29rocblas_internal_gemmt_kernelIlLi16ELi32ELi8ELc67ELc84ELc76ELb1ELb0E19rocblas_complex_numIdES1_PKS1_PS1_EviT_T9_T10_S5_lS7_S5_lS6_T11_S5_li.uses_flat_scratch, 0
	.set _ZL29rocblas_internal_gemmt_kernelIlLi16ELi32ELi8ELc67ELc84ELc76ELb1ELb0E19rocblas_complex_numIdES1_PKS1_PS1_EviT_T9_T10_S5_lS7_S5_lS6_T11_S5_li.has_dyn_sized_stack, 0
	.set _ZL29rocblas_internal_gemmt_kernelIlLi16ELi32ELi8ELc67ELc84ELc76ELb1ELb0E19rocblas_complex_numIdES1_PKS1_PS1_EviT_T9_T10_S5_lS7_S5_lS6_T11_S5_li.has_recursion, 0
	.set _ZL29rocblas_internal_gemmt_kernelIlLi16ELi32ELi8ELc67ELc84ELc76ELb1ELb0E19rocblas_complex_numIdES1_PKS1_PS1_EviT_T9_T10_S5_lS7_S5_lS6_T11_S5_li.has_indirect_call, 0
	.section	.AMDGPU.csdata,"",@progbits
; Kernel info:
; codeLenInByte = 2852
; TotalNumSgprs: 42
; NumVgprs: 130
; ScratchSize: 0
; MemoryBound: 1
; FloatMode: 240
; IeeeMode: 1
; LDSByteSize: 8192 bytes/workgroup (compile time only)
; SGPRBlocks: 0
; VGPRBlocks: 8
; NumSGPRsForWavesPerEU: 42
; NumVGPRsForWavesPerEU: 130
; NamedBarCnt: 0
; Occupancy: 7
; WaveLimiterHint : 0
; COMPUTE_PGM_RSRC2:SCRATCH_EN: 0
; COMPUTE_PGM_RSRC2:USER_SGPR: 2
; COMPUTE_PGM_RSRC2:TRAP_HANDLER: 0
; COMPUTE_PGM_RSRC2:TGID_X_EN: 1
; COMPUTE_PGM_RSRC2:TGID_Y_EN: 1
; COMPUTE_PGM_RSRC2:TGID_Z_EN: 1
; COMPUTE_PGM_RSRC2:TIDIG_COMP_CNT: 1
	.section	.text._ZL29rocblas_internal_gemmt_kernelIlLi16ELi32ELi8ELc67ELc67ELc76ELb1ELb1E19rocblas_complex_numIdES1_PKS1_PS1_EviT_T9_T10_S5_lS7_S5_lS6_T11_S5_li,"axG",@progbits,_ZL29rocblas_internal_gemmt_kernelIlLi16ELi32ELi8ELc67ELc67ELc76ELb1ELb1E19rocblas_complex_numIdES1_PKS1_PS1_EviT_T9_T10_S5_lS7_S5_lS6_T11_S5_li,comdat
	.globl	_ZL29rocblas_internal_gemmt_kernelIlLi16ELi32ELi8ELc67ELc67ELc76ELb1ELb1E19rocblas_complex_numIdES1_PKS1_PS1_EviT_T9_T10_S5_lS7_S5_lS6_T11_S5_li ; -- Begin function _ZL29rocblas_internal_gemmt_kernelIlLi16ELi32ELi8ELc67ELc67ELc76ELb1ELb1E19rocblas_complex_numIdES1_PKS1_PS1_EviT_T9_T10_S5_lS7_S5_lS6_T11_S5_li
	.p2align	8
	.type	_ZL29rocblas_internal_gemmt_kernelIlLi16ELi32ELi8ELc67ELc67ELc76ELb1ELb1E19rocblas_complex_numIdES1_PKS1_PS1_EviT_T9_T10_S5_lS7_S5_lS6_T11_S5_li,@function
_ZL29rocblas_internal_gemmt_kernelIlLi16ELi32ELi8ELc67ELc67ELc76ELb1ELb1E19rocblas_complex_numIdES1_PKS1_PS1_EviT_T9_T10_S5_lS7_S5_lS6_T11_S5_li: ; @_ZL29rocblas_internal_gemmt_kernelIlLi16ELi32ELi8ELc67ELc67ELc76ELb1ELb1E19rocblas_complex_numIdES1_PKS1_PS1_EviT_T9_T10_S5_lS7_S5_lS6_T11_S5_li
; %bb.0:
	s_clause 0x1
	s_load_b256 s[24:31], s[0:1], 0x48
	s_load_b512 s[8:23], s[0:1], 0x8
	s_wait_kmcnt 0x0
	v_cmp_eq_f64_e64 s3, s[26:27], 1.0
	v_cmp_eq_f64_e64 s2, s[28:29], 0
	s_and_b32 s3, s3, s2
	s_delay_alu instid0(SALU_CYCLE_1)
	s_and_not1_b32 vcc_lo, exec_lo, s3
	s_mov_b32 s3, -1
	s_cbranch_vccnz .LBB287_3
; %bb.1:
	s_cmp_lg_u64 s[8:9], 0
	s_cbranch_scc0 .LBB287_36
; %bb.2:
	v_cmp_neq_f64_e64 s3, s[10:11], 0
	v_cmp_neq_f64_e64 s4, s[12:13], 0
	s_or_b32 s3, s3, s4
.LBB287_3:
	s_delay_alu instid0(SALU_CYCLE_1)
	s_and_b32 vcc_lo, exec_lo, s3
	s_cbranch_vccz .LBB287_37
; %bb.4:
	s_load_b32 s33, s[0:1], 0x78
	s_bfe_u32 s3, ttmp6, 0x40014
	s_lshr_b32 s4, ttmp7, 16
	s_add_co_i32 s3, s3, 1
	s_bfe_u32 s6, ttmp6, 0x40008
	s_mul_i32 s5, s4, s3
	s_getreg_b32 s3, hwreg(HW_REG_IB_STS2, 6, 4)
	s_add_co_i32 s6, s6, s5
	s_cmp_eq_u32 s3, 0
	s_mov_b32 s35, 0
	s_cselect_b32 s34, s4, s6
	s_wait_kmcnt 0x0
	s_cmp_ge_u32 s34, s33
	s_cbranch_scc1 .LBB287_37
; %bb.5:
	v_and_b32_e32 v14, 0x3ff, v0
	v_bfe_u32 v10, v0, 10, 10
	s_bfe_u32 s4, ttmp6, 0x4000c
	s_bfe_u32 s6, ttmp6, 0x40010
	s_add_co_i32 s4, s4, 1
	s_and_b32 s7, ttmp7, 0xffff
	s_add_co_i32 s6, s6, 1
	v_lshl_add_u32 v15, v10, 4, v14
	s_and_b32 s5, ttmp6, 15
	s_mul_i32 s4, ttmp9, s4
	s_mul_i32 s6, s7, s6
	s_bfe_u32 s36, ttmp6, 0x40004
	s_add_co_i32 s5, s5, s4
	s_add_co_i32 s36, s36, s6
	s_cmp_eq_u32 s3, 0
	v_and_b32_e32 v18, 31, v15
	s_cselect_b32 s3, ttmp9, s5
	s_cselect_b32 s36, s7, s36
	s_load_b128 s[4:7], s[0:1], 0x68
	s_lshl_b32 s3, s3, 5
	s_lshl_b32 s36, s36, 5
	s_delay_alu instid0(SALU_CYCLE_1)
	v_dual_add_nc_u32 v6, s36, v10 :: v_dual_bitop2_b32 v8, 7, v0 bitop3:0x40
	v_or_b32_e32 v2, s3, v18
	v_cmp_neq_f64_e64 s37, s[10:11], 0
	v_cmp_neq_f64_e64 s38, s[12:13], 0
	v_lshl_add_u32 v17, v10, 7, 0x1000
	v_dual_add_nc_u32 v0, 16, v6 :: v_dual_ashrrev_i32 v7, 31, v6
	v_ashrrev_i32_e32 v3, 31, v2
	v_dual_lshlrev_b32 v9, 4, v14 :: v_dual_lshrrev_b32 v19, 3, v15
	s_delay_alu instid0(VALU_DEP_3) | instskip(NEXT) | instid1(VALU_DEP_3)
	v_dual_add_nc_u32 v14, s3, v14 :: v_dual_ashrrev_i32 v1, 31, v0
	v_mul_u64_e32 v[4:5], s[16:17], v[2:3]
	v_cmp_neq_f64_e64 s16, s[26:27], 0
	s_load_b32 s17, s[0:1], 0x0
	v_lshlrev_b32_e32 v3, 4, v8
	s_wait_kmcnt 0x0
	v_mul_u64_e32 v[10:11], s[4:5], v[6:7]
	v_mul_u64_e32 v[12:13], s[4:5], v[0:1]
	v_add_nc_u32_e32 v20, s36, v19
	s_xor_b32 s40, s2, -1
	v_dual_lshrrev_b32 v16, 5, v15 :: v_dual_lshlrev_b32 v1, 4, v18
	v_cmp_le_i32_e32 vcc_lo, v6, v14
	v_add_nc_u32_e32 v18, 16, v14
	v_lshl_or_b32 v3, v19, 7, v3
	v_dual_ashrrev_i32 v21, 31, v20 :: v_dual_ashrrev_i32 v15, 31, v14
	v_cmp_gt_i64_e64 s39, s[8:9], 0
	v_cmp_le_i32_e64 s4, v0, v14
	v_cmp_le_i32_e64 s5, v0, v18
	v_lshl_or_b32 v46, v16, 9, v1
	v_add_nc_u32_e32 v47, 0x1000, v3
	v_dual_ashrrev_i32 v19, 31, v18 :: v_dual_mov_b32 v25, 0
	v_cmp_gt_i32_e64 s2, s17, v14
	v_cmp_gt_i32_e64 s3, s17, v18
	;; [unrolled: 1-line block ×4, first 2 shown]
	v_lshl_add_u64 v[20:21], v[20:21], 4, s[20:21]
	s_or_b32 s20, s37, s38
	s_and_b32 s4, s4, s2
	s_and_b32 s5, s5, s3
	v_lshl_add_u64 v[22:23], v[4:5], 4, s[14:15]
	s_and_b32 s14, vcc_lo, s2
	v_cmp_le_i32_e32 vcc_lo, v6, v18
	s_or_b32 s16, s16, s40
	s_and_b32 s15, s20, s39
	s_and_b32 s17, vcc_lo, s3
	s_branch .LBB287_7
.LBB287_6:                              ;   in Loop: Header=BB287_7 Depth=1
	s_wait_xcnt 0x0
	s_or_b32 exec_lo, exec_lo, s2
	s_add_co_i32 s34, s34, 0x10000
	s_delay_alu instid0(SALU_CYCLE_1)
	s_cmp_lt_u32 s34, s33
	s_cbranch_scc0 .LBB287_37
.LBB287_7:                              ; =>This Loop Header: Depth=1
                                        ;     Child Loop BB287_10 Depth 2
	v_mov_b64_e32 v[42:43], 0
	v_mov_b64_e32 v[44:45], 0
	;; [unrolled: 1-line block ×8, first 2 shown]
	s_and_not1_b32 vcc_lo, exec_lo, s15
	s_cbranch_vccnz .LBB287_16
; %bb.8:                                ;   in Loop: Header=BB287_7 Depth=1
	s_mul_u64 s[2:3], s[24:25], s[34:35]
	s_mul_u64 s[20:21], s[18:19], s[34:35]
	v_mov_b64_e32 v[28:29], 0
	v_mov_b64_e32 v[26:27], 0
	;; [unrolled: 1-line block ×8, first 2 shown]
	v_lshl_add_u64 v[30:31], s[20:21], 4, v[22:23]
	v_lshl_add_u64 v[32:33], s[2:3], 4, v[20:21]
	s_mov_b64 s[2:3], 0
	s_branch .LBB287_10
.LBB287_9:                              ;   in Loop: Header=BB287_10 Depth=2
	s_wait_xcnt 0x0
	s_or_b32 exec_lo, exec_lo, s20
	ds_store_b128 v47, v[4:7]
	s_wait_dscnt 0x0
	s_barrier_signal -1
	s_barrier_wait -1
	ds_load_b128 v[0:3], v17
	ds_load_b128 v[4:7], v9
	ds_load_b128 v[48:51], v9 offset:256
	ds_load_b128 v[52:55], v17 offset:2048
	;; [unrolled: 1-line block ×10, first 2 shown]
	s_add_nc_u64 s[2:3], s[2:3], 8
	s_delay_alu instid0(SALU_CYCLE_1)
	v_cmp_gt_i64_e64 s20, s[8:9], s[2:3]
	s_and_b32 vcc_lo, exec_lo, s20
	s_wait_dscnt 0xa
	v_mul_f64_e32 v[88:89], v[2:3], v[6:7]
	v_mul_f64_e32 v[90:91], v[0:1], v[6:7]
	s_wait_dscnt 0x9
	v_mul_f64_e32 v[92:93], v[2:3], v[50:51]
	v_mul_f64_e32 v[94:95], v[0:1], v[50:51]
	s_wait_dscnt 0x8
	v_mul_f64_e32 v[96:97], v[54:55], v[6:7]
	v_mul_f64_e32 v[98:99], v[52:53], v[6:7]
	v_mul_f64_e32 v[6:7], v[54:55], v[50:51]
	v_mul_f64_e32 v[100:101], v[52:53], v[50:51]
	s_wait_dscnt 0x6
	v_mul_f64_e32 v[102:103], v[58:59], v[62:63]
	v_mul_f64_e32 v[104:105], v[56:57], v[62:63]
	s_wait_dscnt 0x5
	v_mul_f64_e32 v[106:107], v[58:59], v[66:67]
	v_mul_f64_e32 v[108:109], v[56:57], v[66:67]
	s_wait_dscnt 0x4
	v_mul_f64_e32 v[110:111], v[70:71], v[62:63]
	v_mul_f64_e32 v[62:63], v[68:69], v[62:63]
	v_mul_f64_e32 v[112:113], v[70:71], v[66:67]
	v_mul_f64_e32 v[66:67], v[68:69], v[66:67]
	;; [unrolled: 11-line block ×3, first 2 shown]
	v_fma_f64 v[88:89], v[0:1], v[4:5], -v[88:89]
	v_fmac_f64_e32 v[90:91], v[2:3], v[4:5]
	v_fma_f64 v[92:93], v[0:1], v[48:49], -v[92:93]
	v_fmac_f64_e32 v[94:95], v[2:3], v[48:49]
	;; [unrolled: 2-line block ×8, first 2 shown]
	ds_load_b128 v[0:3], v17 offset:48
	ds_load_b128 v[4:7], v17 offset:2096
	;; [unrolled: 1-line block ×4, first 2 shown]
	v_fma_f64 v[116:117], v[72:73], v[76:77], -v[116:117]
	v_fmac_f64_e32 v[118:119], v[74:75], v[76:77]
	v_fma_f64 v[72:73], v[72:73], v[80:81], -v[120:121]
	v_fmac_f64_e32 v[122:123], v[74:75], v[80:81]
	;; [unrolled: 2-line block ×4, first 2 shown]
	v_add_f64_e32 v[64:65], v[42:43], v[88:89]
	v_add_f64_e32 v[68:69], v[90:91], v[44:45]
	;; [unrolled: 1-line block ×8, first 2 shown]
	s_wait_dscnt 0x1
	v_mul_f64_e32 v[98:99], v[2:3], v[50:51]
	v_mul_f64_e32 v[100:101], v[0:1], v[50:51]
	s_wait_dscnt 0x0
	v_mul_f64_e32 v[106:107], v[2:3], v[54:55]
	v_mul_f64_e32 v[110:111], v[0:1], v[54:55]
	;; [unrolled: 1-line block ×6, first 2 shown]
	ds_load_b128 v[26:29], v17 offset:64
	ds_load_b128 v[34:37], v9 offset:2048
	;; [unrolled: 1-line block ×4, first 2 shown]
	v_add_f64_e32 v[80:81], v[64:65], v[102:103]
	v_add_f64_e32 v[84:85], v[104:105], v[68:69]
	;; [unrolled: 1-line block ×8, first 2 shown]
	s_wait_dscnt 0x2
	v_mul_f64_e32 v[96:97], v[28:29], v[36:37]
	v_mul_f64_e32 v[102:103], v[26:27], v[36:37]
	s_wait_dscnt 0x1
	v_mul_f64_e32 v[104:105], v[28:29], v[40:41]
	v_mul_f64_e32 v[108:109], v[26:27], v[40:41]
	;; [unrolled: 3-line block ×3, first 2 shown]
	v_mul_f64_e32 v[36:37], v[44:45], v[40:41]
	v_mul_f64_e32 v[126:127], v[42:43], v[40:41]
	v_fma_f64 v[40:41], v[0:1], v[48:49], -v[98:99]
	v_fmac_f64_e32 v[100:101], v[2:3], v[48:49]
	v_fma_f64 v[98:99], v[0:1], v[52:53], -v[106:107]
	v_fmac_f64_e32 v[110:111], v[2:3], v[52:53]
	;; [unrolled: 2-line block ×4, first 2 shown]
	ds_load_b128 v[54:57], v17 offset:80
	ds_load_b128 v[58:61], v17 offset:2128
	;; [unrolled: 1-line block ×4, first 2 shown]
	v_add_f64_e32 v[52:53], v[80:81], v[116:117]
	v_add_f64_e32 v[80:81], v[118:119], v[84:85]
	;; [unrolled: 1-line block ×8, first 2 shown]
	v_fma_f64 v[96:97], v[26:27], v[34:35], -v[96:97]
	v_fmac_f64_e32 v[102:103], v[28:29], v[34:35]
	v_fma_f64 v[104:105], v[26:27], v[38:39], -v[104:105]
	s_wait_dscnt 0x1
	v_mul_f64_e32 v[88:89], v[56:57], v[64:65]
	v_mul_f64_e32 v[90:91], v[54:55], v[64:65]
	s_wait_dscnt 0x0
	v_mul_f64_e32 v[92:93], v[56:57], v[68:69]
	v_mul_f64_e32 v[94:95], v[54:55], v[68:69]
	v_mul_f64_e32 v[116:117], v[60:61], v[64:65]
	v_mul_f64_e32 v[64:65], v[58:59], v[64:65]
	v_mul_f64_e32 v[118:119], v[60:61], v[68:69]
	v_mul_f64_e32 v[68:69], v[58:59], v[68:69]
	v_fmac_f64_e32 v[108:109], v[28:29], v[38:39]
	v_fma_f64 v[120:121], v[42:43], v[34:35], -v[120:121]
	v_fmac_f64_e32 v[124:125], v[44:45], v[34:35]
	v_fma_f64 v[122:123], v[42:43], v[38:39], -v[36:37]
	v_fmac_f64_e32 v[126:127], v[44:45], v[38:39]
	ds_load_b128 v[0:3], v17 offset:96
	ds_load_b128 v[4:7], v9 offset:3072
	;; [unrolled: 1-line block ×4, first 2 shown]
	v_add_f64_e32 v[52:53], v[52:53], v[40:41]
	v_add_f64_e32 v[80:81], v[100:101], v[80:81]
	;; [unrolled: 1-line block ×8, first 2 shown]
	ds_load_b128 v[26:29], v17 offset:112
	ds_load_b128 v[34:37], v17 offset:2160
	;; [unrolled: 1-line block ×4, first 2 shown]
	s_wait_dscnt 0x0
	v_mul_f64_e32 v[98:99], v[2:3], v[6:7]
	v_mul_f64_e32 v[100:101], v[0:1], v[6:7]
	;; [unrolled: 1-line block ×8, first 2 shown]
	v_fma_f64 v[88:89], v[54:55], v[62:63], -v[88:89]
	v_fmac_f64_e32 v[90:91], v[56:57], v[62:63]
	v_fma_f64 v[54:55], v[54:55], v[66:67], -v[92:93]
	v_fmac_f64_e32 v[94:95], v[56:57], v[66:67]
	;; [unrolled: 2-line block ×4, first 2 shown]
	s_barrier_signal -1
	s_barrier_wait -1
	v_mul_f64_e32 v[92:93], v[26:27], v[44:45]
	v_add_f64_e32 v[52:53], v[52:53], v[96:97]
	v_add_f64_e32 v[60:61], v[102:103], v[80:81]
	;; [unrolled: 1-line block ×8, first 2 shown]
	v_mul_f64_e32 v[82:83], v[28:29], v[40:41]
	v_mul_f64_e32 v[84:85], v[26:27], v[40:41]
	;; [unrolled: 1-line block ×7, first 2 shown]
	v_fma_f64 v[44:45], v[0:1], v[4:5], -v[98:99]
	v_fmac_f64_e32 v[100:101], v[2:3], v[4:5]
	v_fma_f64 v[0:1], v[0:1], v[48:49], -v[106:107]
	v_fmac_f64_e32 v[110:111], v[2:3], v[48:49]
	;; [unrolled: 2-line block ×4, first 2 shown]
	v_fmac_f64_e32 v[92:93], v[28:29], v[42:43]
	v_add_f64_e32 v[48:49], v[52:53], v[88:89]
	v_add_f64_e32 v[52:53], v[90:91], v[60:61]
	;; [unrolled: 1-line block ×8, first 2 shown]
	v_fma_f64 v[66:67], v[26:27], v[38:39], -v[82:83]
	v_fmac_f64_e32 v[84:85], v[28:29], v[38:39]
	v_fma_f64 v[26:27], v[26:27], v[42:43], -v[86:87]
	v_fma_f64 v[28:29], v[34:35], v[38:39], -v[96:97]
	v_fmac_f64_e32 v[102:103], v[36:37], v[38:39]
	v_fma_f64 v[68:69], v[34:35], v[42:43], -v[40:41]
	v_fmac_f64_e32 v[104:105], v[36:37], v[42:43]
	v_add_f64_e32 v[34:35], v[48:49], v[44:45]
	v_add_f64_e32 v[36:37], v[100:101], v[52:53]
	;; [unrolled: 1-line block ×16, first 2 shown]
	s_cbranch_vccz .LBB287_16
.LBB287_10:                             ;   Parent Loop BB287_7 Depth=1
                                        ; =>  This Inner Loop Header: Depth=2
	v_mov_b64_e32 v[0:1], 0
	v_mov_b64_e32 v[2:3], 0
	s_and_saveexec_b32 s20, s0
	s_cbranch_execz .LBB287_14
; %bb.11:                               ;   in Loop: Header=BB287_10 Depth=2
	v_mov_b64_e32 v[2:3], 0
	v_mov_b64_e32 v[0:1], 0
	v_add_nc_u32_e32 v24, s2, v16
	s_mov_b32 s21, exec_lo
	s_delay_alu instid0(VALU_DEP_1)
	v_cmpx_gt_u64_e64 s[8:9], v[24:25]
	s_cbranch_execz .LBB287_13
; %bb.12:                               ;   in Loop: Header=BB287_10 Depth=2
	v_lshl_add_u64 v[0:1], v[24:25], 4, v[30:31]
	global_load_b128 v[0:3], v[0:1], off
	s_wait_loadcnt 0x0
	v_xor_b32_e32 v3, 0x80000000, v3
.LBB287_13:                             ;   in Loop: Header=BB287_10 Depth=2
	s_wait_xcnt 0x0
	s_or_b32 exec_lo, exec_lo, s21
.LBB287_14:                             ;   in Loop: Header=BB287_10 Depth=2
	s_delay_alu instid0(SALU_CYCLE_1)
	s_or_b32 exec_lo, exec_lo, s20
	v_add_nc_u32_e32 v24, s2, v8
	v_mov_b64_e32 v[4:5], 0
	v_mov_b64_e32 v[6:7], 0
	ds_store_b128 v46, v[0:3]
	v_cmp_gt_u64_e32 vcc_lo, s[8:9], v[24:25]
	s_and_b32 s21, vcc_lo, s1
	s_delay_alu instid0(SALU_CYCLE_1)
	s_and_saveexec_b32 s20, s21
	s_cbranch_execz .LBB287_9
; %bb.15:                               ;   in Loop: Header=BB287_10 Depth=2
	v_mul_u64_e32 v[0:1], s[22:23], v[24:25]
	s_delay_alu instid0(VALU_DEP_1)
	v_lshl_add_u64 v[0:1], v[0:1], 4, v[32:33]
	global_load_b128 v[4:7], v[0:1], off
	s_wait_loadcnt 0x0
	v_xor_b32_e32 v7, 0x80000000, v7
	s_branch .LBB287_9
.LBB287_16:                             ;   in Loop: Header=BB287_7 Depth=1
	s_mul_u64 s[2:3], s[6:7], s[34:35]
	s_delay_alu instid0(SALU_CYCLE_1) | instskip(NEXT) | instid1(SALU_CYCLE_1)
	s_lshl_b64 s[2:3], s[2:3], 4
	s_add_nc_u64 s[2:3], s[30:31], s[2:3]
	s_delay_alu instid0(SALU_CYCLE_1)
	v_lshl_add_u64 v[4:5], v[10:11], 4, s[2:3]
	s_and_saveexec_b32 s20, s14
	s_cbranch_execz .LBB287_21
; %bb.17:                               ;   in Loop: Header=BB287_7 Depth=1
	v_mul_f64_e32 v[0:1], s[12:13], v[44:45]
	v_mul_f64_e32 v[2:3], s[10:11], v[44:45]
	v_lshl_add_u64 v[6:7], v[14:15], 4, v[4:5]
	s_and_b32 vcc_lo, exec_lo, s16
	s_mov_b32 s21, -1
	s_delay_alu instid0(VALU_DEP_3) | instskip(NEXT) | instid1(VALU_DEP_3)
	v_fma_f64 v[0:1], s[10:11], v[42:43], -v[0:1]
	v_fmac_f64_e32 v[2:3], s[12:13], v[42:43]
	s_cbranch_vccz .LBB287_19
; %bb.18:                               ;   in Loop: Header=BB287_7 Depth=1
	global_load_b128 v[30:33], v[6:7], off
	s_mov_b32 s21, 0
	s_wait_loadcnt 0x0
	v_mul_f64_e32 v[42:43], s[28:29], v[32:33]
	v_mul_f64_e32 v[32:33], s[26:27], v[32:33]
	s_delay_alu instid0(VALU_DEP_2) | instskip(NEXT) | instid1(VALU_DEP_2)
	v_fma_f64 v[42:43], s[26:27], v[30:31], -v[42:43]
	v_fmac_f64_e32 v[32:33], s[28:29], v[30:31]
	s_delay_alu instid0(VALU_DEP_2) | instskip(NEXT) | instid1(VALU_DEP_2)
	v_add_f64_e32 v[30:31], v[0:1], v[42:43]
	v_add_f64_e32 v[32:33], v[2:3], v[32:33]
	global_store_b128 v[6:7], v[30:33], off
.LBB287_19:                             ;   in Loop: Header=BB287_7 Depth=1
	s_and_not1_b32 vcc_lo, exec_lo, s21
	s_cbranch_vccnz .LBB287_21
; %bb.20:                               ;   in Loop: Header=BB287_7 Depth=1
	global_store_b128 v[6:7], v[0:3], off
.LBB287_21:                             ;   in Loop: Header=BB287_7 Depth=1
	s_wait_xcnt 0x0
	s_or_b32 exec_lo, exec_lo, s20
	s_and_saveexec_b32 s20, s17
	s_cbranch_execz .LBB287_26
; %bb.22:                               ;   in Loop: Header=BB287_7 Depth=1
	v_mul_f64_e32 v[0:1], s[12:13], v[40:41]
	v_mul_f64_e32 v[2:3], s[10:11], v[40:41]
	v_lshl_add_u64 v[4:5], v[18:19], 4, v[4:5]
	s_and_not1_b32 vcc_lo, exec_lo, s16
	s_mov_b32 s21, -1
	s_delay_alu instid0(VALU_DEP_3) | instskip(NEXT) | instid1(VALU_DEP_3)
	v_fma_f64 v[0:1], s[10:11], v[38:39], -v[0:1]
	v_fmac_f64_e32 v[2:3], s[12:13], v[38:39]
	s_cbranch_vccnz .LBB287_24
; %bb.23:                               ;   in Loop: Header=BB287_7 Depth=1
	global_load_b128 v[30:33], v[4:5], off
	s_mov_b32 s21, 0
	s_wait_loadcnt 0x0
	v_mul_f64_e32 v[6:7], s[28:29], v[32:33]
	v_mul_f64_e32 v[32:33], s[26:27], v[32:33]
	s_delay_alu instid0(VALU_DEP_2) | instskip(NEXT) | instid1(VALU_DEP_2)
	v_fma_f64 v[6:7], s[26:27], v[30:31], -v[6:7]
	v_fmac_f64_e32 v[32:33], s[28:29], v[30:31]
	s_delay_alu instid0(VALU_DEP_2) | instskip(NEXT) | instid1(VALU_DEP_2)
	v_add_f64_e32 v[30:31], v[0:1], v[6:7]
	v_add_f64_e32 v[32:33], v[2:3], v[32:33]
	global_store_b128 v[4:5], v[30:33], off
.LBB287_24:                             ;   in Loop: Header=BB287_7 Depth=1
	s_and_not1_b32 vcc_lo, exec_lo, s21
	s_cbranch_vccnz .LBB287_26
; %bb.25:                               ;   in Loop: Header=BB287_7 Depth=1
	global_store_b128 v[4:5], v[0:3], off
.LBB287_26:                             ;   in Loop: Header=BB287_7 Depth=1
	s_wait_xcnt 0x0
	s_or_b32 exec_lo, exec_lo, s20
	v_lshl_add_u64 v[4:5], v[12:13], 4, s[2:3]
	s_and_saveexec_b32 s2, s4
	s_cbranch_execz .LBB287_31
; %bb.27:                               ;   in Loop: Header=BB287_7 Depth=1
	v_mul_f64_e32 v[0:1], s[12:13], v[36:37]
	v_mul_f64_e32 v[2:3], s[10:11], v[36:37]
	v_lshl_add_u64 v[6:7], v[14:15], 4, v[4:5]
	s_and_not1_b32 vcc_lo, exec_lo, s16
	s_mov_b32 s3, -1
	s_delay_alu instid0(VALU_DEP_3) | instskip(NEXT) | instid1(VALU_DEP_3)
	v_fma_f64 v[0:1], s[10:11], v[34:35], -v[0:1]
	v_fmac_f64_e32 v[2:3], s[12:13], v[34:35]
	s_cbranch_vccnz .LBB287_29
; %bb.28:                               ;   in Loop: Header=BB287_7 Depth=1
	global_load_b128 v[30:33], v[6:7], off
	s_mov_b32 s3, 0
	s_wait_loadcnt 0x0
	v_mul_f64_e32 v[34:35], s[28:29], v[32:33]
	v_mul_f64_e32 v[32:33], s[26:27], v[32:33]
	s_delay_alu instid0(VALU_DEP_2) | instskip(NEXT) | instid1(VALU_DEP_2)
	v_fma_f64 v[34:35], s[26:27], v[30:31], -v[34:35]
	v_fmac_f64_e32 v[32:33], s[28:29], v[30:31]
	s_delay_alu instid0(VALU_DEP_2) | instskip(NEXT) | instid1(VALU_DEP_2)
	v_add_f64_e32 v[30:31], v[0:1], v[34:35]
	v_add_f64_e32 v[32:33], v[2:3], v[32:33]
	global_store_b128 v[6:7], v[30:33], off
.LBB287_29:                             ;   in Loop: Header=BB287_7 Depth=1
	s_and_not1_b32 vcc_lo, exec_lo, s3
	s_cbranch_vccnz .LBB287_31
; %bb.30:                               ;   in Loop: Header=BB287_7 Depth=1
	global_store_b128 v[6:7], v[0:3], off
.LBB287_31:                             ;   in Loop: Header=BB287_7 Depth=1
	s_wait_xcnt 0x0
	s_or_b32 exec_lo, exec_lo, s2
	s_and_saveexec_b32 s2, s5
	s_cbranch_execz .LBB287_6
; %bb.32:                               ;   in Loop: Header=BB287_7 Depth=1
	s_delay_alu instid0(VALU_DEP_3) | instskip(SKIP_4) | instid1(VALU_DEP_3)
	v_mul_f64_e32 v[0:1], s[12:13], v[28:29]
	v_mul_f64_e32 v[2:3], s[10:11], v[28:29]
	v_lshl_add_u64 v[4:5], v[18:19], 4, v[4:5]
	s_and_not1_b32 vcc_lo, exec_lo, s16
	s_mov_b32 s3, -1
	v_fma_f64 v[0:1], s[10:11], v[26:27], -v[0:1]
	s_delay_alu instid0(VALU_DEP_3)
	v_fmac_f64_e32 v[2:3], s[12:13], v[26:27]
	s_cbranch_vccnz .LBB287_34
; %bb.33:                               ;   in Loop: Header=BB287_7 Depth=1
	global_load_b128 v[26:29], v[4:5], off
	s_mov_b32 s3, 0
	s_wait_loadcnt 0x0
	v_mul_f64_e32 v[6:7], s[28:29], v[28:29]
	v_mul_f64_e32 v[28:29], s[26:27], v[28:29]
	s_delay_alu instid0(VALU_DEP_2) | instskip(NEXT) | instid1(VALU_DEP_2)
	v_fma_f64 v[6:7], s[26:27], v[26:27], -v[6:7]
	v_fmac_f64_e32 v[28:29], s[28:29], v[26:27]
	s_delay_alu instid0(VALU_DEP_2) | instskip(NEXT) | instid1(VALU_DEP_2)
	v_add_f64_e32 v[26:27], v[0:1], v[6:7]
	v_add_f64_e32 v[28:29], v[2:3], v[28:29]
	global_store_b128 v[4:5], v[26:29], off
.LBB287_34:                             ;   in Loop: Header=BB287_7 Depth=1
	s_and_not1_b32 vcc_lo, exec_lo, s3
	s_cbranch_vccnz .LBB287_6
; %bb.35:                               ;   in Loop: Header=BB287_7 Depth=1
	global_store_b128 v[4:5], v[0:3], off
	s_branch .LBB287_6
.LBB287_36:
.LBB287_37:
	s_sendmsg sendmsg(MSG_DEALLOC_VGPRS)
	s_endpgm
	.section	.rodata,"a",@progbits
	.p2align	6, 0x0
	.amdhsa_kernel _ZL29rocblas_internal_gemmt_kernelIlLi16ELi32ELi8ELc67ELc67ELc76ELb1ELb1E19rocblas_complex_numIdES1_PKS1_PS1_EviT_T9_T10_S5_lS7_S5_lS6_T11_S5_li
		.amdhsa_group_segment_fixed_size 8192
		.amdhsa_private_segment_fixed_size 0
		.amdhsa_kernarg_size 124
		.amdhsa_user_sgpr_count 2
		.amdhsa_user_sgpr_dispatch_ptr 0
		.amdhsa_user_sgpr_queue_ptr 0
		.amdhsa_user_sgpr_kernarg_segment_ptr 1
		.amdhsa_user_sgpr_dispatch_id 0
		.amdhsa_user_sgpr_kernarg_preload_length 0
		.amdhsa_user_sgpr_kernarg_preload_offset 0
		.amdhsa_user_sgpr_private_segment_size 0
		.amdhsa_wavefront_size32 1
		.amdhsa_uses_dynamic_stack 0
		.amdhsa_enable_private_segment 0
		.amdhsa_system_sgpr_workgroup_id_x 1
		.amdhsa_system_sgpr_workgroup_id_y 1
		.amdhsa_system_sgpr_workgroup_id_z 1
		.amdhsa_system_sgpr_workgroup_info 0
		.amdhsa_system_vgpr_workitem_id 1
		.amdhsa_next_free_vgpr 130
		.amdhsa_next_free_sgpr 41
		.amdhsa_named_barrier_count 0
		.amdhsa_reserve_vcc 1
		.amdhsa_float_round_mode_32 0
		.amdhsa_float_round_mode_16_64 0
		.amdhsa_float_denorm_mode_32 3
		.amdhsa_float_denorm_mode_16_64 3
		.amdhsa_fp16_overflow 0
		.amdhsa_memory_ordered 1
		.amdhsa_forward_progress 1
		.amdhsa_inst_pref_size 23
		.amdhsa_round_robin_scheduling 0
		.amdhsa_exception_fp_ieee_invalid_op 0
		.amdhsa_exception_fp_denorm_src 0
		.amdhsa_exception_fp_ieee_div_zero 0
		.amdhsa_exception_fp_ieee_overflow 0
		.amdhsa_exception_fp_ieee_underflow 0
		.amdhsa_exception_fp_ieee_inexact 0
		.amdhsa_exception_int_div_zero 0
	.end_amdhsa_kernel
	.section	.text._ZL29rocblas_internal_gemmt_kernelIlLi16ELi32ELi8ELc67ELc67ELc76ELb1ELb1E19rocblas_complex_numIdES1_PKS1_PS1_EviT_T9_T10_S5_lS7_S5_lS6_T11_S5_li,"axG",@progbits,_ZL29rocblas_internal_gemmt_kernelIlLi16ELi32ELi8ELc67ELc67ELc76ELb1ELb1E19rocblas_complex_numIdES1_PKS1_PS1_EviT_T9_T10_S5_lS7_S5_lS6_T11_S5_li,comdat
.Lfunc_end287:
	.size	_ZL29rocblas_internal_gemmt_kernelIlLi16ELi32ELi8ELc67ELc67ELc76ELb1ELb1E19rocblas_complex_numIdES1_PKS1_PS1_EviT_T9_T10_S5_lS7_S5_lS6_T11_S5_li, .Lfunc_end287-_ZL29rocblas_internal_gemmt_kernelIlLi16ELi32ELi8ELc67ELc67ELc76ELb1ELb1E19rocblas_complex_numIdES1_PKS1_PS1_EviT_T9_T10_S5_lS7_S5_lS6_T11_S5_li
                                        ; -- End function
	.set _ZL29rocblas_internal_gemmt_kernelIlLi16ELi32ELi8ELc67ELc67ELc76ELb1ELb1E19rocblas_complex_numIdES1_PKS1_PS1_EviT_T9_T10_S5_lS7_S5_lS6_T11_S5_li.num_vgpr, 130
	.set _ZL29rocblas_internal_gemmt_kernelIlLi16ELi32ELi8ELc67ELc67ELc76ELb1ELb1E19rocblas_complex_numIdES1_PKS1_PS1_EviT_T9_T10_S5_lS7_S5_lS6_T11_S5_li.num_agpr, 0
	.set _ZL29rocblas_internal_gemmt_kernelIlLi16ELi32ELi8ELc67ELc67ELc76ELb1ELb1E19rocblas_complex_numIdES1_PKS1_PS1_EviT_T9_T10_S5_lS7_S5_lS6_T11_S5_li.numbered_sgpr, 41
	.set _ZL29rocblas_internal_gemmt_kernelIlLi16ELi32ELi8ELc67ELc67ELc76ELb1ELb1E19rocblas_complex_numIdES1_PKS1_PS1_EviT_T9_T10_S5_lS7_S5_lS6_T11_S5_li.num_named_barrier, 0
	.set _ZL29rocblas_internal_gemmt_kernelIlLi16ELi32ELi8ELc67ELc67ELc76ELb1ELb1E19rocblas_complex_numIdES1_PKS1_PS1_EviT_T9_T10_S5_lS7_S5_lS6_T11_S5_li.private_seg_size, 0
	.set _ZL29rocblas_internal_gemmt_kernelIlLi16ELi32ELi8ELc67ELc67ELc76ELb1ELb1E19rocblas_complex_numIdES1_PKS1_PS1_EviT_T9_T10_S5_lS7_S5_lS6_T11_S5_li.uses_vcc, 1
	.set _ZL29rocblas_internal_gemmt_kernelIlLi16ELi32ELi8ELc67ELc67ELc76ELb1ELb1E19rocblas_complex_numIdES1_PKS1_PS1_EviT_T9_T10_S5_lS7_S5_lS6_T11_S5_li.uses_flat_scratch, 0
	.set _ZL29rocblas_internal_gemmt_kernelIlLi16ELi32ELi8ELc67ELc67ELc76ELb1ELb1E19rocblas_complex_numIdES1_PKS1_PS1_EviT_T9_T10_S5_lS7_S5_lS6_T11_S5_li.has_dyn_sized_stack, 0
	.set _ZL29rocblas_internal_gemmt_kernelIlLi16ELi32ELi8ELc67ELc67ELc76ELb1ELb1E19rocblas_complex_numIdES1_PKS1_PS1_EviT_T9_T10_S5_lS7_S5_lS6_T11_S5_li.has_recursion, 0
	.set _ZL29rocblas_internal_gemmt_kernelIlLi16ELi32ELi8ELc67ELc67ELc76ELb1ELb1E19rocblas_complex_numIdES1_PKS1_PS1_EviT_T9_T10_S5_lS7_S5_lS6_T11_S5_li.has_indirect_call, 0
	.section	.AMDGPU.csdata,"",@progbits
; Kernel info:
; codeLenInByte = 2824
; TotalNumSgprs: 43
; NumVgprs: 130
; ScratchSize: 0
; MemoryBound: 1
; FloatMode: 240
; IeeeMode: 1
; LDSByteSize: 8192 bytes/workgroup (compile time only)
; SGPRBlocks: 0
; VGPRBlocks: 8
; NumSGPRsForWavesPerEU: 43
; NumVGPRsForWavesPerEU: 130
; NamedBarCnt: 0
; Occupancy: 7
; WaveLimiterHint : 0
; COMPUTE_PGM_RSRC2:SCRATCH_EN: 0
; COMPUTE_PGM_RSRC2:USER_SGPR: 2
; COMPUTE_PGM_RSRC2:TRAP_HANDLER: 0
; COMPUTE_PGM_RSRC2:TGID_X_EN: 1
; COMPUTE_PGM_RSRC2:TGID_Y_EN: 1
; COMPUTE_PGM_RSRC2:TGID_Z_EN: 1
; COMPUTE_PGM_RSRC2:TIDIG_COMP_CNT: 1
	.section	.text._ZL29rocblas_internal_gemmt_kernelIiLi16ELi32ELi8ELc78ELc78ELc85ELb0ELb0EfPKfPKS1_PKPfEviT_T9_T10_S7_lS9_S7_lS8_T11_S7_li,"axG",@progbits,_ZL29rocblas_internal_gemmt_kernelIiLi16ELi32ELi8ELc78ELc78ELc85ELb0ELb0EfPKfPKS1_PKPfEviT_T9_T10_S7_lS9_S7_lS8_T11_S7_li,comdat
	.globl	_ZL29rocblas_internal_gemmt_kernelIiLi16ELi32ELi8ELc78ELc78ELc85ELb0ELb0EfPKfPKS1_PKPfEviT_T9_T10_S7_lS9_S7_lS8_T11_S7_li ; -- Begin function _ZL29rocblas_internal_gemmt_kernelIiLi16ELi32ELi8ELc78ELc78ELc85ELb0ELb0EfPKfPKS1_PKPfEviT_T9_T10_S7_lS9_S7_lS8_T11_S7_li
	.p2align	8
	.type	_ZL29rocblas_internal_gemmt_kernelIiLi16ELi32ELi8ELc78ELc78ELc85ELb0ELb0EfPKfPKS1_PKPfEviT_T9_T10_S7_lS9_S7_lS8_T11_S7_li,@function
_ZL29rocblas_internal_gemmt_kernelIiLi16ELi32ELi8ELc78ELc78ELc85ELb0ELb0EfPKfPKS1_PKPfEviT_T9_T10_S7_lS9_S7_lS8_T11_S7_li: ; @_ZL29rocblas_internal_gemmt_kernelIiLi16ELi32ELi8ELc78ELc78ELc85ELb0ELb0EfPKfPKS1_PKPfEviT_T9_T10_S7_lS9_S7_lS8_T11_S7_li
; %bb.0:
	s_clause 0x1
	s_load_b128 s[12:15], s[0:1], 0x38
	s_load_b128 s[4:7], s[0:1], 0x8
	s_wait_kmcnt 0x0
	s_load_b32 s19, s[14:15], 0x0
	s_load_b64 s[20:21], s[0:1], 0x0
	s_load_b32 s24, s[4:5], 0x0
	s_wait_kmcnt 0x0
	s_cmp_neq_f32 s19, 1.0
	s_cselect_b32 s2, -1, 0
	s_delay_alu instid0(SALU_CYCLE_1)
	s_and_b32 vcc_lo, exec_lo, s2
	s_cbranch_vccnz .LBB288_2
; %bb.1:
	s_cmp_lg_u32 s21, 0
	s_cselect_b32 s2, -1, 0
	s_cmp_neq_f32 s24, 0
	s_cselect_b32 s3, -1, 0
	s_delay_alu instid0(SALU_CYCLE_1)
	s_and_b32 s2, s2, s3
.LBB288_2:
	s_delay_alu instid0(SALU_CYCLE_1)
	s_and_not1_b32 vcc_lo, exec_lo, s2
	s_cbranch_vccnz .LBB288_33
; %bb.3:
	s_load_b32 s25, s[0:1], 0x60
	s_bfe_u32 s2, ttmp6, 0x40014
	s_lshr_b32 s3, ttmp7, 16
	s_add_co_i32 s2, s2, 1
	s_bfe_u32 s4, ttmp6, 0x40008
	s_mul_i32 s2, s3, s2
	s_getreg_b32 s26, hwreg(HW_REG_IB_STS2, 6, 4)
	s_add_co_i32 s4, s4, s2
	s_cmp_eq_u32 s26, 0
	s_mov_b32 s5, 0
	s_cselect_b32 s4, s3, s4
	s_wait_kmcnt 0x0
	s_cmp_ge_u32 s4, s25
	s_cbranch_scc1 .LBB288_33
; %bb.4:
	s_clause 0x3
	s_load_b32 s14, s[0:1], 0x18
	s_load_b32 s2, s[0:1], 0x30
	s_load_b96 s[16:18], s[0:1], 0x48
	s_load_b128 s[8:11], s[0:1], 0x20
	v_and_b32_e32 v3, 0x3ff, v0
	v_bfe_u32 v9, v0, 10, 10
	s_load_b64 s[22:23], s[0:1], 0x58
	s_wait_xcnt 0x0
	s_bfe_u32 s1, ttmp6, 0x4000c
	s_bfe_u32 s3, ttmp6, 0x40010
	s_and_b32 s28, ttmp7, 0xffff
	s_add_co_i32 s1, s1, 1
	s_add_co_i32 s29, s3, 1
	v_lshl_add_u32 v1, v9, 4, v3
	s_and_b32 s0, ttmp6, 15
	s_mul_i32 s1, ttmp9, s1
	s_mul_i32 s29, s28, s29
	s_bfe_u32 s30, ttmp6, 0x40004
	s_add_co_i32 s0, s0, s1
	s_add_co_i32 s30, s30, s29
	v_dual_lshrrev_b32 v2, 3, v1 :: v_dual_bitop2_b32 v6, 31, v1 bitop3:0x40
	s_wait_kmcnt 0x0
	s_ashr_i32 s15, s14, 31
	s_ashr_i32 s3, s2, 31
	;; [unrolled: 1-line block ×3, first 2 shown]
	s_cmp_eq_u32 s26, 0
	v_dual_lshrrev_b32 v0, 5, v1 :: v_dual_bitop2_b32 v24, 7, v0 bitop3:0x40
	s_cselect_b32 s1, s28, s30
	s_cselect_b32 s0, ttmp9, s0
	s_lshl_b32 s1, s1, 5
	s_lshl_b32 s28, s0, 5
	v_dual_mov_b32 v1, 0 :: v_dual_add_nc_u32 v4, s1, v2
	v_dual_add_nc_u32 v14, s1, v9 :: v_dual_bitop2_b32 v10, s28, v6 bitop3:0x54
	s_mov_b32 s26, s18
	s_delay_alu instid0(VALU_DEP_2) | instskip(NEXT) | instid1(VALU_DEP_3)
	v_ashrrev_i32_e32 v5, 31, v4
	v_mul_u64_e32 v[12:13], s[14:15], v[0:1]
	v_cmp_gt_i32_e64 s1, s20, v4
	v_lshlrev_b32_e32 v20, 2, v24
	s_cmp_neq_f32 s24, 0
	v_mul_u64_e32 v[16:17], s[2:3], v[4:5]
	v_lshlrev_b32_e32 v5, 2, v6
	v_dual_add_nc_u32 v18, 16, v14 :: v_dual_ashrrev_i32 v15, 31, v14
	v_lshl_or_b32 v8, v2, 5, v20
	v_add_nc_u32_e32 v2, s28, v3
	s_delay_alu instid0(VALU_DEP_4) | instskip(NEXT) | instid1(VALU_DEP_4)
	v_lshl_or_b32 v25, v0, 7, v5
	v_dual_ashrrev_i32 v19, 31, v18 :: v_dual_lshlrev_b32 v27, 2, v3
	v_mul_u64_e32 v[4:5], s[26:27], v[14:15]
	s_cselect_b32 s29, -1, 0
	s_cmp_gt_i32 s21, 0
	s_delay_alu instid0(VALU_DEP_2)
	v_mul_u64_e32 v[6:7], s[26:27], v[18:19]
	v_dual_mov_b32 v21, v1 :: v_dual_add_nc_u32 v26, 0x400, v8
	v_dual_add_nc_u32 v8, 16, v2 :: v_dual_ashrrev_i32 v3, 31, v2
	s_cselect_b32 s30, -1, 0
	s_cmp_neq_f32 s19, 0
	v_cmp_gt_i32_e32 vcc_lo, s20, v14
	v_cmp_le_i32_e64 s2, v2, v14
	v_cmp_le_i32_e64 s3, v8, v14
	s_cselect_b32 s18, -1, 0
	s_lshl_b64 s[8:9], s[8:9], 2
	v_ashrrev_i32_e32 v11, 31, v10
	s_and_b32 s26, vcc_lo, s2
	s_and_b32 s27, vcc_lo, s3
	v_cmp_gt_i32_e32 vcc_lo, s20, v18
	v_lshl_add_u64 v[12:13], v[12:13], 2, s[8:9]
	s_lshl_b64 s[8:9], s[12:13], 2
	v_cmp_le_i32_e64 s2, v2, v18
	v_cmp_gt_i32_e64 s0, s20, v10
	v_lshl_add_u64 v[14:15], v[16:17], 2, s[8:9]
	v_lshl_add_u32 v28, v9, 5, 0x400
	v_ashrrev_i32_e32 v9, 31, v8
	s_and_b32 s12, vcc_lo, s2
	v_cmp_le_i32_e64 s2, v8, v18
	v_lshl_add_u64 v[10:11], v[10:11], 2, v[12:13]
	v_add_nc_u64_e32 v[12:13], v[14:15], v[20:21]
	s_and_b32 s13, s29, s30
	s_lshl_b64 s[8:9], s[22:23], 2
	s_and_b32 s20, vcc_lo, s2
	s_lshl_b64 s[2:3], s[14:15], 5
	s_branch .LBB288_6
.LBB288_5:                              ;   in Loop: Header=BB288_6 Depth=1
	s_wait_xcnt 0x0
	s_or_b32 exec_lo, exec_lo, s14
	s_add_co_i32 s4, s4, 0x10000
	s_delay_alu instid0(SALU_CYCLE_1)
	s_cmp_lt_u32 s4, s25
	s_cbranch_scc0 .LBB288_33
.LBB288_6:                              ; =>This Loop Header: Depth=1
                                        ;     Child Loop BB288_9 Depth 2
	v_dual_mov_b32 v14, s4 :: v_dual_mov_b32 v23, 0
	v_dual_mov_b32 v22, 0 :: v_dual_mov_b32 v15, 0
	s_and_not1_b32 vcc_lo, exec_lo, s13
	global_load_b64 v[16:17], v14, s[16:17] scale_offset
	s_wait_xcnt 0x0
	v_mov_b32_e32 v14, 0
	s_cbranch_vccnz .LBB288_13
; %bb.7:                                ;   in Loop: Header=BB288_6 Depth=1
	s_lshl_b64 s[14:15], s[4:5], 3
	v_mov_b32_e32 v14, 0
	s_add_nc_u64 s[22:23], s[6:7], s[14:15]
	s_add_nc_u64 s[14:15], s[10:11], s[14:15]
	s_clause 0x1
	global_load_b64 v[18:19], v1, s[22:23]
	global_load_b64 v[20:21], v1, s[14:15]
	s_wait_xcnt 0x0
	s_mov_b32 s14, 0
	v_dual_mov_b32 v15, v14 :: v_dual_mov_b32 v22, v14
	v_mov_b32_e32 v23, v14
	s_wait_loadcnt 0x1
	v_add_nc_u64_e32 v[18:19], v[18:19], v[10:11]
	s_wait_loadcnt 0x0
	v_add_nc_u64_e32 v[20:21], v[20:21], v[12:13]
	s_branch .LBB288_9
.LBB288_8:                              ;   in Loop: Header=BB288_9 Depth=2
	s_wait_xcnt 0x0
	s_or_b32 exec_lo, exec_lo, s15
	s_wait_loadcnt_dscnt 0x0
	ds_store_b32 v26, v30
	s_wait_dscnt 0x0
	s_barrier_signal -1
	s_barrier_wait -1
	ds_load_b128 v[30:33], v28
	ds_load_2addr_b32 v[46:47], v27 offset1:16
	ds_load_b128 v[34:37], v28 offset:512
	ds_load_2addr_b32 v[48:49], v27 offset0:32 offset1:48
	ds_load_2addr_b32 v[50:51], v27 offset0:64 offset1:80
	;; [unrolled: 1-line block ×3, first 2 shown]
	ds_load_b128 v[38:41], v28 offset:16
	ds_load_2addr_b32 v[54:55], v27 offset0:128 offset1:144
	ds_load_b128 v[42:45], v28 offset:528
	v_add_nc_u64_e32 v[18:19], s[2:3], v[18:19]
	v_add_nc_u64_e32 v[20:21], 32, v[20:21]
	s_add_co_i32 s14, s14, 8
	s_delay_alu instid0(SALU_CYCLE_1)
	s_cmp_lt_i32 s14, s21
	s_wait_dscnt 0x7
	v_pk_fma_f32 v[22:23], v[46:47], v[30:31], v[22:23] op_sel_hi:[1,0,1]
	s_wait_dscnt 0x6
	v_pk_fma_f32 v[14:15], v[46:47], v[34:35], v[14:15] op_sel_hi:[1,0,1]
	ds_load_2addr_b32 v[46:47], v27 offset0:160 offset1:176
	s_wait_dscnt 0x6
	v_pk_fma_f32 v[22:23], v[48:49], v[30:31], v[22:23] op_sel:[0,1,0]
	v_pk_fma_f32 v[14:15], v[48:49], v[34:35], v[14:15] op_sel:[0,1,0]
	ds_load_2addr_b32 v[30:31], v27 offset0:192 offset1:208
	v_dual_mov_b32 v34, v33 :: v_dual_mov_b32 v48, v37
	s_wait_dscnt 0x6
	v_pk_fma_f32 v[22:23], v[50:51], v[32:33], v[22:23] op_sel_hi:[1,0,1]
	v_pk_fma_f32 v[14:15], v[50:51], v[36:37], v[14:15] op_sel_hi:[1,0,1]
	ds_load_2addr_b32 v[32:33], v27 offset0:224 offset1:240
	s_wait_dscnt 0x3
	v_mov_b32_e32 v36, v45
	s_wait_dscnt 0x0
	v_pk_fma_f32 v[22:23], v[52:53], v[34:35], v[22:23] op_sel_hi:[1,0,1]
	v_pk_fma_f32 v[14:15], v[52:53], v[48:49], v[14:15] op_sel_hi:[1,0,1]
	v_mov_b32_e32 v34, v41
	s_barrier_signal -1
	s_barrier_wait -1
	v_pk_fma_f32 v[22:23], v[54:55], v[38:39], v[22:23] op_sel_hi:[1,0,1]
	v_pk_fma_f32 v[14:15], v[54:55], v[42:43], v[14:15] op_sel_hi:[1,0,1]
	s_delay_alu instid0(VALU_DEP_2) | instskip(NEXT) | instid1(VALU_DEP_2)
	v_pk_fma_f32 v[22:23], v[46:47], v[38:39], v[22:23] op_sel:[0,1,0]
	v_pk_fma_f32 v[14:15], v[46:47], v[42:43], v[14:15] op_sel:[0,1,0]
	s_delay_alu instid0(VALU_DEP_2) | instskip(NEXT) | instid1(VALU_DEP_2)
	v_pk_fma_f32 v[22:23], v[30:31], v[40:41], v[22:23] op_sel_hi:[1,0,1]
	v_pk_fma_f32 v[14:15], v[30:31], v[44:45], v[14:15] op_sel_hi:[1,0,1]
	s_delay_alu instid0(VALU_DEP_2) | instskip(NEXT) | instid1(VALU_DEP_2)
	v_pk_fma_f32 v[22:23], v[32:33], v[34:35], v[22:23] op_sel_hi:[1,0,1]
	v_pk_fma_f32 v[14:15], v[32:33], v[36:37], v[14:15] op_sel_hi:[1,0,1]
	s_cbranch_scc0 .LBB288_13
.LBB288_9:                              ;   Parent Loop BB288_6 Depth=1
                                        ; =>  This Inner Loop Header: Depth=2
	v_add_nc_u32_e32 v29, s14, v0
	s_delay_alu instid0(VALU_DEP_1) | instskip(SKIP_2) | instid1(SALU_CYCLE_1)
	v_cmp_gt_i32_e32 vcc_lo, s21, v29
	v_mov_b32_e32 v29, 0
	s_and_b32 s22, s0, vcc_lo
	s_and_saveexec_b32 s15, s22
	s_cbranch_execz .LBB288_11
; %bb.10:                               ;   in Loop: Header=BB288_9 Depth=2
	flat_load_b32 v29, v[18:19]
.LBB288_11:                             ;   in Loop: Header=BB288_9 Depth=2
	s_wait_xcnt 0x0
	s_or_b32 exec_lo, exec_lo, s15
	v_add_nc_u32_e32 v30, s14, v24
	s_wait_loadcnt_dscnt 0x0
	ds_store_b32 v25, v29
	v_cmp_gt_i32_e32 vcc_lo, s21, v30
	v_mov_b32_e32 v30, 0
	s_and_b32 s22, vcc_lo, s1
	s_delay_alu instid0(SALU_CYCLE_1)
	s_and_saveexec_b32 s15, s22
	s_cbranch_execz .LBB288_8
; %bb.12:                               ;   in Loop: Header=BB288_9 Depth=2
	flat_load_b32 v30, v[20:21]
	s_branch .LBB288_8
.LBB288_13:                             ;   in Loop: Header=BB288_6 Depth=1
	s_wait_loadcnt 0x0
	v_add_nc_u64_e32 v[16:17], s[8:9], v[16:17]
	s_delay_alu instid0(VALU_DEP_1)
	v_lshl_add_u64 v[18:19], v[4:5], 2, v[16:17]
	s_and_saveexec_b32 s14, s26
	s_cbranch_execz .LBB288_17
; %bb.14:                               ;   in Loop: Header=BB288_6 Depth=1
	v_mul_f32_e32 v22, s24, v22
	s_delay_alu instid0(VALU_DEP_2)
	v_lshl_add_u64 v[20:21], v[2:3], 2, v[18:19]
	s_and_b32 vcc_lo, exec_lo, s18
	s_cbranch_vccz .LBB288_28
; %bb.15:                               ;   in Loop: Header=BB288_6 Depth=1
	flat_load_b32 v29, v[20:21]
	s_wait_loadcnt_dscnt 0x0
	v_fma_f32 v29, s19, v29, v22
	flat_store_b32 v[20:21], v29
	s_cbranch_execnz .LBB288_17
.LBB288_16:                             ;   in Loop: Header=BB288_6 Depth=1
	flat_store_b32 v[20:21], v22
.LBB288_17:                             ;   in Loop: Header=BB288_6 Depth=1
	s_wait_xcnt 0x0
	s_or_b32 exec_lo, exec_lo, s14
	s_and_saveexec_b32 s14, s27
	s_cbranch_execz .LBB288_21
; %bb.18:                               ;   in Loop: Header=BB288_6 Depth=1
	v_mul_f32_e32 v20, s24, v23
	v_lshl_add_u64 v[18:19], v[8:9], 2, v[18:19]
	s_and_not1_b32 vcc_lo, exec_lo, s18
	s_cbranch_vccnz .LBB288_29
; %bb.19:                               ;   in Loop: Header=BB288_6 Depth=1
	flat_load_b32 v21, v[18:19]
	s_wait_loadcnt_dscnt 0x0
	v_fma_f32 v21, s19, v21, v20
	flat_store_b32 v[18:19], v21
	s_cbranch_execnz .LBB288_21
.LBB288_20:                             ;   in Loop: Header=BB288_6 Depth=1
	flat_store_b32 v[18:19], v20
.LBB288_21:                             ;   in Loop: Header=BB288_6 Depth=1
	s_wait_xcnt 0x0
	s_or_b32 exec_lo, exec_lo, s14
	v_lshl_add_u64 v[16:17], v[6:7], 2, v[16:17]
	s_and_saveexec_b32 s14, s12
	s_cbranch_execz .LBB288_25
; %bb.22:                               ;   in Loop: Header=BB288_6 Depth=1
	v_mul_f32_e32 v14, s24, v14
	s_delay_alu instid0(VALU_DEP_2)
	v_lshl_add_u64 v[18:19], v[2:3], 2, v[16:17]
	s_and_not1_b32 vcc_lo, exec_lo, s18
	s_cbranch_vccnz .LBB288_30
; %bb.23:                               ;   in Loop: Header=BB288_6 Depth=1
	flat_load_b32 v20, v[18:19]
	s_wait_loadcnt_dscnt 0x0
	v_fma_f32 v20, s19, v20, v14
	flat_store_b32 v[18:19], v20
	s_cbranch_execnz .LBB288_25
.LBB288_24:                             ;   in Loop: Header=BB288_6 Depth=1
	flat_store_b32 v[18:19], v14
.LBB288_25:                             ;   in Loop: Header=BB288_6 Depth=1
	s_wait_xcnt 0x0
	s_or_b32 exec_lo, exec_lo, s14
	s_and_saveexec_b32 s14, s20
	s_cbranch_execz .LBB288_5
; %bb.26:                               ;   in Loop: Header=BB288_6 Depth=1
	v_mul_f32_e32 v18, s24, v15
	v_lshl_add_u64 v[14:15], v[8:9], 2, v[16:17]
	s_and_not1_b32 vcc_lo, exec_lo, s18
	s_cbranch_vccnz .LBB288_31
; %bb.27:                               ;   in Loop: Header=BB288_6 Depth=1
	flat_load_b32 v16, v[14:15]
	s_wait_loadcnt_dscnt 0x0
	v_fma_f32 v16, s19, v16, v18
	flat_store_b32 v[14:15], v16
	s_cbranch_execnz .LBB288_5
	s_branch .LBB288_32
.LBB288_28:                             ;   in Loop: Header=BB288_6 Depth=1
	s_branch .LBB288_16
.LBB288_29:                             ;   in Loop: Header=BB288_6 Depth=1
	s_branch .LBB288_20
.LBB288_30:                             ;   in Loop: Header=BB288_6 Depth=1
	s_branch .LBB288_24
.LBB288_31:                             ;   in Loop: Header=BB288_6 Depth=1
.LBB288_32:                             ;   in Loop: Header=BB288_6 Depth=1
	flat_store_b32 v[14:15], v18
	s_branch .LBB288_5
.LBB288_33:
	s_endpgm
	.section	.rodata,"a",@progbits
	.p2align	6, 0x0
	.amdhsa_kernel _ZL29rocblas_internal_gemmt_kernelIiLi16ELi32ELi8ELc78ELc78ELc85ELb0ELb0EfPKfPKS1_PKPfEviT_T9_T10_S7_lS9_S7_lS8_T11_S7_li
		.amdhsa_group_segment_fixed_size 2048
		.amdhsa_private_segment_fixed_size 0
		.amdhsa_kernarg_size 100
		.amdhsa_user_sgpr_count 2
		.amdhsa_user_sgpr_dispatch_ptr 0
		.amdhsa_user_sgpr_queue_ptr 0
		.amdhsa_user_sgpr_kernarg_segment_ptr 1
		.amdhsa_user_sgpr_dispatch_id 0
		.amdhsa_user_sgpr_kernarg_preload_length 0
		.amdhsa_user_sgpr_kernarg_preload_offset 0
		.amdhsa_user_sgpr_private_segment_size 0
		.amdhsa_wavefront_size32 1
		.amdhsa_uses_dynamic_stack 0
		.amdhsa_enable_private_segment 0
		.amdhsa_system_sgpr_workgroup_id_x 1
		.amdhsa_system_sgpr_workgroup_id_y 1
		.amdhsa_system_sgpr_workgroup_id_z 1
		.amdhsa_system_sgpr_workgroup_info 0
		.amdhsa_system_vgpr_workitem_id 1
		.amdhsa_next_free_vgpr 56
		.amdhsa_next_free_sgpr 31
		.amdhsa_named_barrier_count 0
		.amdhsa_reserve_vcc 1
		.amdhsa_float_round_mode_32 0
		.amdhsa_float_round_mode_16_64 0
		.amdhsa_float_denorm_mode_32 3
		.amdhsa_float_denorm_mode_16_64 3
		.amdhsa_fp16_overflow 0
		.amdhsa_memory_ordered 1
		.amdhsa_forward_progress 1
		.amdhsa_inst_pref_size 14
		.amdhsa_round_robin_scheduling 0
		.amdhsa_exception_fp_ieee_invalid_op 0
		.amdhsa_exception_fp_denorm_src 0
		.amdhsa_exception_fp_ieee_div_zero 0
		.amdhsa_exception_fp_ieee_overflow 0
		.amdhsa_exception_fp_ieee_underflow 0
		.amdhsa_exception_fp_ieee_inexact 0
		.amdhsa_exception_int_div_zero 0
	.end_amdhsa_kernel
	.section	.text._ZL29rocblas_internal_gemmt_kernelIiLi16ELi32ELi8ELc78ELc78ELc85ELb0ELb0EfPKfPKS1_PKPfEviT_T9_T10_S7_lS9_S7_lS8_T11_S7_li,"axG",@progbits,_ZL29rocblas_internal_gemmt_kernelIiLi16ELi32ELi8ELc78ELc78ELc85ELb0ELb0EfPKfPKS1_PKPfEviT_T9_T10_S7_lS9_S7_lS8_T11_S7_li,comdat
.Lfunc_end288:
	.size	_ZL29rocblas_internal_gemmt_kernelIiLi16ELi32ELi8ELc78ELc78ELc85ELb0ELb0EfPKfPKS1_PKPfEviT_T9_T10_S7_lS9_S7_lS8_T11_S7_li, .Lfunc_end288-_ZL29rocblas_internal_gemmt_kernelIiLi16ELi32ELi8ELc78ELc78ELc85ELb0ELb0EfPKfPKS1_PKPfEviT_T9_T10_S7_lS9_S7_lS8_T11_S7_li
                                        ; -- End function
	.set _ZL29rocblas_internal_gemmt_kernelIiLi16ELi32ELi8ELc78ELc78ELc85ELb0ELb0EfPKfPKS1_PKPfEviT_T9_T10_S7_lS9_S7_lS8_T11_S7_li.num_vgpr, 56
	.set _ZL29rocblas_internal_gemmt_kernelIiLi16ELi32ELi8ELc78ELc78ELc85ELb0ELb0EfPKfPKS1_PKPfEviT_T9_T10_S7_lS9_S7_lS8_T11_S7_li.num_agpr, 0
	.set _ZL29rocblas_internal_gemmt_kernelIiLi16ELi32ELi8ELc78ELc78ELc85ELb0ELb0EfPKfPKS1_PKPfEviT_T9_T10_S7_lS9_S7_lS8_T11_S7_li.numbered_sgpr, 31
	.set _ZL29rocblas_internal_gemmt_kernelIiLi16ELi32ELi8ELc78ELc78ELc85ELb0ELb0EfPKfPKS1_PKPfEviT_T9_T10_S7_lS9_S7_lS8_T11_S7_li.num_named_barrier, 0
	.set _ZL29rocblas_internal_gemmt_kernelIiLi16ELi32ELi8ELc78ELc78ELc85ELb0ELb0EfPKfPKS1_PKPfEviT_T9_T10_S7_lS9_S7_lS8_T11_S7_li.private_seg_size, 0
	.set _ZL29rocblas_internal_gemmt_kernelIiLi16ELi32ELi8ELc78ELc78ELc85ELb0ELb0EfPKfPKS1_PKPfEviT_T9_T10_S7_lS9_S7_lS8_T11_S7_li.uses_vcc, 1
	.set _ZL29rocblas_internal_gemmt_kernelIiLi16ELi32ELi8ELc78ELc78ELc85ELb0ELb0EfPKfPKS1_PKPfEviT_T9_T10_S7_lS9_S7_lS8_T11_S7_li.uses_flat_scratch, 0
	.set _ZL29rocblas_internal_gemmt_kernelIiLi16ELi32ELi8ELc78ELc78ELc85ELb0ELb0EfPKfPKS1_PKPfEviT_T9_T10_S7_lS9_S7_lS8_T11_S7_li.has_dyn_sized_stack, 0
	.set _ZL29rocblas_internal_gemmt_kernelIiLi16ELi32ELi8ELc78ELc78ELc85ELb0ELb0EfPKfPKS1_PKPfEviT_T9_T10_S7_lS9_S7_lS8_T11_S7_li.has_recursion, 0
	.set _ZL29rocblas_internal_gemmt_kernelIiLi16ELi32ELi8ELc78ELc78ELc85ELb0ELb0EfPKfPKS1_PKPfEviT_T9_T10_S7_lS9_S7_lS8_T11_S7_li.has_indirect_call, 0
	.section	.AMDGPU.csdata,"",@progbits
; Kernel info:
; codeLenInByte = 1676
; TotalNumSgprs: 33
; NumVgprs: 56
; ScratchSize: 0
; MemoryBound: 0
; FloatMode: 240
; IeeeMode: 1
; LDSByteSize: 2048 bytes/workgroup (compile time only)
; SGPRBlocks: 0
; VGPRBlocks: 3
; NumSGPRsForWavesPerEU: 33
; NumVGPRsForWavesPerEU: 56
; NamedBarCnt: 0
; Occupancy: 16
; WaveLimiterHint : 1
; COMPUTE_PGM_RSRC2:SCRATCH_EN: 0
; COMPUTE_PGM_RSRC2:USER_SGPR: 2
; COMPUTE_PGM_RSRC2:TRAP_HANDLER: 0
; COMPUTE_PGM_RSRC2:TGID_X_EN: 1
; COMPUTE_PGM_RSRC2:TGID_Y_EN: 1
; COMPUTE_PGM_RSRC2:TGID_Z_EN: 1
; COMPUTE_PGM_RSRC2:TIDIG_COMP_CNT: 1
	.section	.text._ZL29rocblas_internal_gemmt_kernelIiLi16ELi32ELi8ELc78ELc84ELc85ELb0ELb0EfPKfPKS1_PKPfEviT_T9_T10_S7_lS9_S7_lS8_T11_S7_li,"axG",@progbits,_ZL29rocblas_internal_gemmt_kernelIiLi16ELi32ELi8ELc78ELc84ELc85ELb0ELb0EfPKfPKS1_PKPfEviT_T9_T10_S7_lS9_S7_lS8_T11_S7_li,comdat
	.globl	_ZL29rocblas_internal_gemmt_kernelIiLi16ELi32ELi8ELc78ELc84ELc85ELb0ELb0EfPKfPKS1_PKPfEviT_T9_T10_S7_lS9_S7_lS8_T11_S7_li ; -- Begin function _ZL29rocblas_internal_gemmt_kernelIiLi16ELi32ELi8ELc78ELc84ELc85ELb0ELb0EfPKfPKS1_PKPfEviT_T9_T10_S7_lS9_S7_lS8_T11_S7_li
	.p2align	8
	.type	_ZL29rocblas_internal_gemmt_kernelIiLi16ELi32ELi8ELc78ELc84ELc85ELb0ELb0EfPKfPKS1_PKPfEviT_T9_T10_S7_lS9_S7_lS8_T11_S7_li,@function
_ZL29rocblas_internal_gemmt_kernelIiLi16ELi32ELi8ELc78ELc84ELc85ELb0ELb0EfPKfPKS1_PKPfEviT_T9_T10_S7_lS9_S7_lS8_T11_S7_li: ; @_ZL29rocblas_internal_gemmt_kernelIiLi16ELi32ELi8ELc78ELc84ELc85ELb0ELb0EfPKfPKS1_PKPfEviT_T9_T10_S7_lS9_S7_lS8_T11_S7_li
; %bb.0:
	s_clause 0x1
	s_load_b128 s[12:15], s[0:1], 0x38
	s_load_b128 s[4:7], s[0:1], 0x8
	s_wait_kmcnt 0x0
	s_load_b32 s19, s[14:15], 0x0
	s_load_b64 s[20:21], s[0:1], 0x0
	s_load_b32 s26, s[4:5], 0x0
	s_wait_kmcnt 0x0
	s_cmp_neq_f32 s19, 1.0
	s_cselect_b32 s2, -1, 0
	s_delay_alu instid0(SALU_CYCLE_1)
	s_and_b32 vcc_lo, exec_lo, s2
	s_cbranch_vccnz .LBB289_2
; %bb.1:
	s_cmp_lg_u32 s21, 0
	s_cselect_b32 s2, -1, 0
	s_cmp_neq_f32 s26, 0
	s_cselect_b32 s3, -1, 0
	s_delay_alu instid0(SALU_CYCLE_1)
	s_and_b32 s2, s2, s3
.LBB289_2:
	s_delay_alu instid0(SALU_CYCLE_1)
	s_and_not1_b32 vcc_lo, exec_lo, s2
	s_cbranch_vccnz .LBB289_33
; %bb.3:
	s_load_b32 s27, s[0:1], 0x60
	s_bfe_u32 s2, ttmp6, 0x40014
	s_lshr_b32 s3, ttmp7, 16
	s_add_co_i32 s2, s2, 1
	s_bfe_u32 s5, ttmp6, 0x40008
	s_mul_i32 s4, s3, s2
	s_getreg_b32 s2, hwreg(HW_REG_IB_STS2, 6, 4)
	s_add_co_i32 s5, s5, s4
	s_cmp_eq_u32 s2, 0
	s_cselect_b32 s4, s3, s5
	s_mov_b32 s5, 0
	s_wait_kmcnt 0x0
	s_cmp_ge_u32 s4, s27
	s_cbranch_scc1 .LBB289_33
; %bb.4:
	s_clause 0x4
	s_load_b32 s14, s[0:1], 0x18
	s_load_b32 s22, s[0:1], 0x30
	s_load_b96 s[16:18], s[0:1], 0x48
	s_load_b128 s[8:11], s[0:1], 0x20
	s_load_b64 s[24:25], s[0:1], 0x58
	s_wait_xcnt 0x0
	s_bfe_u32 s1, ttmp6, 0x4000c
	s_bfe_u32 s15, ttmp6, 0x40010
	v_and_b32_e32 v5, 0x3ff, v0
	v_bfe_u32 v11, v0, 10, 10
	s_and_b32 s3, ttmp7, 0xffff
	s_add_co_i32 s1, s1, 1
	s_add_co_i32 s30, s15, 1
	s_and_b32 s0, ttmp6, 15
	s_mul_i32 s1, ttmp9, s1
	v_lshl_add_u32 v1, v11, 4, v5
	s_add_co_i32 s0, s0, s1
	v_and_b32_e32 v0, 7, v0
	v_lshl_add_u32 v28, v11, 5, 0x400
	v_lshlrev_b32_e32 v27, 2, v5
	v_dual_lshrrev_b32 v4, 3, v1 :: v_dual_bitop2_b32 v6, 31, v1 bitop3:0x40
	s_wait_kmcnt 0x0
	s_ashr_i32 s15, s14, 31
	s_ashr_i32 s29, s18, 31
	s_mov_b32 s28, s18
	s_mul_i32 s18, s3, s30
	s_bfe_u32 s30, ttmp6, 0x40004
	s_ashr_i32 s23, s22, 31
	s_add_co_i32 s30, s30, s18
	s_cmp_eq_u32 s2, 0
	v_lshrrev_b32_e32 v2, 5, v1
	s_cselect_b32 s0, ttmp9, s0
	s_cselect_b32 s1, s3, s30
	s_lshl_b32 s2, s0, 5
	s_delay_alu instid0(SALU_CYCLE_1) | instskip(SKIP_1) | instid1(SALU_CYCLE_1)
	v_dual_mov_b32 v3, 0 :: v_dual_bitop2_b32 v12, s2, v6 bitop3:0x54
	s_lshl_b32 s0, s1, 5
	v_dual_lshlrev_b32 v6, 2, v6 :: v_dual_add_nc_u32 v16, s0, v11
	s_delay_alu instid0(VALU_DEP_2) | instskip(SKIP_2) | instid1(VALU_DEP_3)
	v_dual_mov_b32 v1, v3 :: v_dual_add_nc_u32 v14, s0, v4
	v_mul_u64_e32 v[18:19], s[14:15], v[2:3]
	s_cmp_neq_f32 s26, 0
	v_dual_add_nc_u32 v22, 16, v16 :: v_dual_ashrrev_i32 v17, 31, v16
	v_lshlrev_b32_e32 v7, 2, v0
	v_mul_u64_e32 v[20:21], s[22:23], v[0:1]
	v_lshl_or_b32 v1, v2, 7, v6
	s_delay_alu instid0(VALU_DEP_4) | instskip(SKIP_3) | instid1(VALU_DEP_3)
	v_ashrrev_i32_e32 v23, 31, v22
	s_cselect_b32 s31, -1, 0
	v_lshl_or_b32 v6, v4, 5, v7
	v_dual_add_nc_u32 v4, s2, v5 :: v_dual_ashrrev_i32 v15, 31, v14
	v_mul_u64_e32 v[8:9], s[28:29], v[22:23]
	s_cmp_gt_i32 s21, 0
	s_delay_alu instid0(VALU_DEP_3)
	v_add_nc_u32_e32 v26, 0x400, v6
	v_mul_u64_e32 v[6:7], s[28:29], v[16:17]
	s_cselect_b32 s33, -1, 0
	s_cmp_neq_f32 s19, 0
	v_add_nc_u32_e32 v10, 16, v4
	v_cmp_gt_i32_e32 vcc_lo, s20, v16
	v_cmp_le_i32_e64 s2, v4, v16
	s_cselect_b32 s18, -1, 0
	s_lshl_b64 s[8:9], s[8:9], 2
	v_cmp_le_i32_e64 s3, v10, v16
	v_ashrrev_i32_e32 v13, 31, v12
	s_and_b32 s28, vcc_lo, s2
	v_cmp_le_i32_e64 s2, v4, v22
	v_cmp_gt_i32_e64 s0, s20, v12
	s_and_b32 s29, vcc_lo, s3
	v_cmp_gt_i32_e32 vcc_lo, s20, v22
	v_cmp_le_i32_e64 s3, v10, v22
	v_cmp_gt_i32_e64 s1, s20, v14
	v_lshl_add_u64 v[16:17], v[18:19], 2, s[8:9]
	s_lshl_b64 s[8:9], s[12:13], 2
	v_dual_ashrrev_i32 v5, 31, v4 :: v_dual_ashrrev_i32 v11, 31, v10
	s_and_b32 s20, vcc_lo, s2
	v_lshl_add_u64 v[18:19], v[20:21], 2, s[8:9]
	v_lshl_add_u64 v[12:13], v[12:13], 2, v[16:17]
	s_and_b32 s30, vcc_lo, s3
	s_and_b32 s31, s31, s33
	s_lshl_b64 s[2:3], s[14:15], 5
	v_lshl_add_u64 v[14:15], v[14:15], 2, v[18:19]
	s_lshl_b64 s[8:9], s[22:23], 5
	s_lshl_b64 s[12:13], s[24:25], 2
	s_branch .LBB289_6
.LBB289_5:                              ;   in Loop: Header=BB289_6 Depth=1
	s_wait_xcnt 0x0
	s_or_b32 exec_lo, exec_lo, s14
	s_add_co_i32 s4, s4, 0x10000
	s_delay_alu instid0(SALU_CYCLE_1)
	s_cmp_lt_u32 s4, s27
	s_cbranch_scc0 .LBB289_33
.LBB289_6:                              ; =>This Loop Header: Depth=1
                                        ;     Child Loop BB289_9 Depth 2
	v_dual_mov_b32 v16, s4 :: v_dual_mov_b32 v25, 0
	v_dual_mov_b32 v24, 0 :: v_dual_mov_b32 v17, 0
	s_and_not1_b32 vcc_lo, exec_lo, s31
	global_load_b64 v[18:19], v16, s[16:17] scale_offset
	s_wait_xcnt 0x0
	v_mov_b32_e32 v16, 0
	s_cbranch_vccnz .LBB289_13
; %bb.7:                                ;   in Loop: Header=BB289_6 Depth=1
	s_lshl_b64 s[14:15], s[4:5], 3
	v_mov_b32_e32 v16, 0
	s_add_nc_u64 s[22:23], s[6:7], s[14:15]
	s_add_nc_u64 s[14:15], s[10:11], s[14:15]
	s_clause 0x1
	global_load_b64 v[20:21], v3, s[22:23]
	global_load_b64 v[22:23], v3, s[14:15]
	s_wait_xcnt 0x0
	s_mov_b32 s14, 0
	v_dual_mov_b32 v17, v16 :: v_dual_mov_b32 v24, v16
	v_mov_b32_e32 v25, v16
	s_wait_loadcnt 0x1
	v_add_nc_u64_e32 v[20:21], v[20:21], v[12:13]
	s_wait_loadcnt 0x0
	v_add_nc_u64_e32 v[22:23], v[22:23], v[14:15]
	s_branch .LBB289_9
.LBB289_8:                              ;   in Loop: Header=BB289_9 Depth=2
	s_wait_xcnt 0x0
	s_or_b32 exec_lo, exec_lo, s15
	s_wait_loadcnt_dscnt 0x0
	ds_store_b32 v26, v30
	s_wait_dscnt 0x0
	s_barrier_signal -1
	s_barrier_wait -1
	ds_load_b128 v[30:33], v28
	ds_load_2addr_b32 v[46:47], v27 offset1:16
	ds_load_b128 v[34:37], v28 offset:512
	ds_load_2addr_b32 v[48:49], v27 offset0:32 offset1:48
	ds_load_2addr_b32 v[50:51], v27 offset0:64 offset1:80
	;; [unrolled: 1-line block ×3, first 2 shown]
	ds_load_b128 v[38:41], v28 offset:16
	ds_load_2addr_b32 v[54:55], v27 offset0:128 offset1:144
	ds_load_b128 v[42:45], v28 offset:528
	v_add_nc_u64_e32 v[20:21], s[2:3], v[20:21]
	v_add_nc_u64_e32 v[22:23], s[8:9], v[22:23]
	s_add_co_i32 s14, s14, 8
	s_delay_alu instid0(SALU_CYCLE_1)
	s_cmp_lt_i32 s14, s21
	s_wait_dscnt 0x7
	v_pk_fma_f32 v[24:25], v[46:47], v[30:31], v[24:25] op_sel_hi:[1,0,1]
	s_wait_dscnt 0x6
	v_pk_fma_f32 v[16:17], v[46:47], v[34:35], v[16:17] op_sel_hi:[1,0,1]
	ds_load_2addr_b32 v[46:47], v27 offset0:160 offset1:176
	s_wait_dscnt 0x6
	v_pk_fma_f32 v[24:25], v[48:49], v[30:31], v[24:25] op_sel:[0,1,0]
	v_pk_fma_f32 v[16:17], v[48:49], v[34:35], v[16:17] op_sel:[0,1,0]
	ds_load_2addr_b32 v[30:31], v27 offset0:192 offset1:208
	v_dual_mov_b32 v34, v33 :: v_dual_mov_b32 v48, v37
	s_wait_dscnt 0x6
	v_pk_fma_f32 v[24:25], v[50:51], v[32:33], v[24:25] op_sel_hi:[1,0,1]
	v_pk_fma_f32 v[16:17], v[50:51], v[36:37], v[16:17] op_sel_hi:[1,0,1]
	ds_load_2addr_b32 v[32:33], v27 offset0:224 offset1:240
	s_wait_dscnt 0x3
	v_mov_b32_e32 v36, v45
	s_wait_dscnt 0x0
	v_pk_fma_f32 v[24:25], v[52:53], v[34:35], v[24:25] op_sel_hi:[1,0,1]
	v_pk_fma_f32 v[16:17], v[52:53], v[48:49], v[16:17] op_sel_hi:[1,0,1]
	v_mov_b32_e32 v34, v41
	s_barrier_signal -1
	s_barrier_wait -1
	v_pk_fma_f32 v[24:25], v[54:55], v[38:39], v[24:25] op_sel_hi:[1,0,1]
	v_pk_fma_f32 v[16:17], v[54:55], v[42:43], v[16:17] op_sel_hi:[1,0,1]
	s_delay_alu instid0(VALU_DEP_2) | instskip(NEXT) | instid1(VALU_DEP_2)
	v_pk_fma_f32 v[24:25], v[46:47], v[38:39], v[24:25] op_sel:[0,1,0]
	v_pk_fma_f32 v[16:17], v[46:47], v[42:43], v[16:17] op_sel:[0,1,0]
	s_delay_alu instid0(VALU_DEP_2) | instskip(NEXT) | instid1(VALU_DEP_2)
	v_pk_fma_f32 v[24:25], v[30:31], v[40:41], v[24:25] op_sel_hi:[1,0,1]
	v_pk_fma_f32 v[16:17], v[30:31], v[44:45], v[16:17] op_sel_hi:[1,0,1]
	s_delay_alu instid0(VALU_DEP_2) | instskip(NEXT) | instid1(VALU_DEP_2)
	v_pk_fma_f32 v[24:25], v[32:33], v[34:35], v[24:25] op_sel_hi:[1,0,1]
	v_pk_fma_f32 v[16:17], v[32:33], v[36:37], v[16:17] op_sel_hi:[1,0,1]
	s_cbranch_scc0 .LBB289_13
.LBB289_9:                              ;   Parent Loop BB289_6 Depth=1
                                        ; =>  This Inner Loop Header: Depth=2
	v_add_nc_u32_e32 v29, s14, v2
	s_delay_alu instid0(VALU_DEP_1) | instskip(SKIP_2) | instid1(SALU_CYCLE_1)
	v_cmp_gt_i32_e32 vcc_lo, s21, v29
	v_mov_b32_e32 v29, 0
	s_and_b32 s22, s0, vcc_lo
	s_and_saveexec_b32 s15, s22
	s_cbranch_execz .LBB289_11
; %bb.10:                               ;   in Loop: Header=BB289_9 Depth=2
	flat_load_b32 v29, v[20:21]
.LBB289_11:                             ;   in Loop: Header=BB289_9 Depth=2
	s_wait_xcnt 0x0
	s_or_b32 exec_lo, exec_lo, s15
	v_add_nc_u32_e32 v30, s14, v0
	s_wait_loadcnt_dscnt 0x0
	ds_store_b32 v1, v29
	v_cmp_gt_i32_e32 vcc_lo, s21, v30
	v_mov_b32_e32 v30, 0
	s_and_b32 s22, vcc_lo, s1
	s_delay_alu instid0(SALU_CYCLE_1)
	s_and_saveexec_b32 s15, s22
	s_cbranch_execz .LBB289_8
; %bb.12:                               ;   in Loop: Header=BB289_9 Depth=2
	flat_load_b32 v30, v[22:23]
	s_branch .LBB289_8
.LBB289_13:                             ;   in Loop: Header=BB289_6 Depth=1
	s_wait_loadcnt 0x0
	v_add_nc_u64_e32 v[18:19], s[12:13], v[18:19]
	s_delay_alu instid0(VALU_DEP_1)
	v_lshl_add_u64 v[20:21], v[6:7], 2, v[18:19]
	s_and_saveexec_b32 s14, s28
	s_cbranch_execz .LBB289_17
; %bb.14:                               ;   in Loop: Header=BB289_6 Depth=1
	v_mul_f32_e32 v24, s26, v24
	s_delay_alu instid0(VALU_DEP_2)
	v_lshl_add_u64 v[22:23], v[4:5], 2, v[20:21]
	s_and_b32 vcc_lo, exec_lo, s18
	s_cbranch_vccz .LBB289_28
; %bb.15:                               ;   in Loop: Header=BB289_6 Depth=1
	flat_load_b32 v29, v[22:23]
	s_wait_loadcnt_dscnt 0x0
	v_fma_f32 v29, s19, v29, v24
	flat_store_b32 v[22:23], v29
	s_cbranch_execnz .LBB289_17
.LBB289_16:                             ;   in Loop: Header=BB289_6 Depth=1
	flat_store_b32 v[22:23], v24
.LBB289_17:                             ;   in Loop: Header=BB289_6 Depth=1
	s_wait_xcnt 0x0
	s_or_b32 exec_lo, exec_lo, s14
	s_and_saveexec_b32 s14, s29
	s_cbranch_execz .LBB289_21
; %bb.18:                               ;   in Loop: Header=BB289_6 Depth=1
	v_mul_f32_e32 v22, s26, v25
	v_lshl_add_u64 v[20:21], v[10:11], 2, v[20:21]
	s_and_not1_b32 vcc_lo, exec_lo, s18
	s_cbranch_vccnz .LBB289_29
; %bb.19:                               ;   in Loop: Header=BB289_6 Depth=1
	flat_load_b32 v23, v[20:21]
	s_wait_loadcnt_dscnt 0x0
	v_fma_f32 v23, s19, v23, v22
	flat_store_b32 v[20:21], v23
	s_cbranch_execnz .LBB289_21
.LBB289_20:                             ;   in Loop: Header=BB289_6 Depth=1
	flat_store_b32 v[20:21], v22
.LBB289_21:                             ;   in Loop: Header=BB289_6 Depth=1
	s_wait_xcnt 0x0
	s_or_b32 exec_lo, exec_lo, s14
	v_lshl_add_u64 v[18:19], v[8:9], 2, v[18:19]
	s_and_saveexec_b32 s14, s20
	s_cbranch_execz .LBB289_25
; %bb.22:                               ;   in Loop: Header=BB289_6 Depth=1
	v_mul_f32_e32 v16, s26, v16
	s_delay_alu instid0(VALU_DEP_2)
	v_lshl_add_u64 v[20:21], v[4:5], 2, v[18:19]
	s_and_not1_b32 vcc_lo, exec_lo, s18
	s_cbranch_vccnz .LBB289_30
; %bb.23:                               ;   in Loop: Header=BB289_6 Depth=1
	flat_load_b32 v22, v[20:21]
	s_wait_loadcnt_dscnt 0x0
	v_fma_f32 v22, s19, v22, v16
	flat_store_b32 v[20:21], v22
	s_cbranch_execnz .LBB289_25
.LBB289_24:                             ;   in Loop: Header=BB289_6 Depth=1
	flat_store_b32 v[20:21], v16
.LBB289_25:                             ;   in Loop: Header=BB289_6 Depth=1
	s_wait_xcnt 0x0
	s_or_b32 exec_lo, exec_lo, s14
	s_and_saveexec_b32 s14, s30
	s_cbranch_execz .LBB289_5
; %bb.26:                               ;   in Loop: Header=BB289_6 Depth=1
	v_mul_f32_e32 v20, s26, v17
	v_lshl_add_u64 v[16:17], v[10:11], 2, v[18:19]
	s_and_not1_b32 vcc_lo, exec_lo, s18
	s_cbranch_vccnz .LBB289_31
; %bb.27:                               ;   in Loop: Header=BB289_6 Depth=1
	flat_load_b32 v18, v[16:17]
	s_wait_loadcnt_dscnt 0x0
	v_fma_f32 v18, s19, v18, v20
	flat_store_b32 v[16:17], v18
	s_cbranch_execnz .LBB289_5
	s_branch .LBB289_32
.LBB289_28:                             ;   in Loop: Header=BB289_6 Depth=1
	s_branch .LBB289_16
.LBB289_29:                             ;   in Loop: Header=BB289_6 Depth=1
	s_branch .LBB289_20
.LBB289_30:                             ;   in Loop: Header=BB289_6 Depth=1
	s_branch .LBB289_24
.LBB289_31:                             ;   in Loop: Header=BB289_6 Depth=1
.LBB289_32:                             ;   in Loop: Header=BB289_6 Depth=1
	flat_store_b32 v[16:17], v20
	s_branch .LBB289_5
.LBB289_33:
	s_endpgm
	.section	.rodata,"a",@progbits
	.p2align	6, 0x0
	.amdhsa_kernel _ZL29rocblas_internal_gemmt_kernelIiLi16ELi32ELi8ELc78ELc84ELc85ELb0ELb0EfPKfPKS1_PKPfEviT_T9_T10_S7_lS9_S7_lS8_T11_S7_li
		.amdhsa_group_segment_fixed_size 2048
		.amdhsa_private_segment_fixed_size 0
		.amdhsa_kernarg_size 100
		.amdhsa_user_sgpr_count 2
		.amdhsa_user_sgpr_dispatch_ptr 0
		.amdhsa_user_sgpr_queue_ptr 0
		.amdhsa_user_sgpr_kernarg_segment_ptr 1
		.amdhsa_user_sgpr_dispatch_id 0
		.amdhsa_user_sgpr_kernarg_preload_length 0
		.amdhsa_user_sgpr_kernarg_preload_offset 0
		.amdhsa_user_sgpr_private_segment_size 0
		.amdhsa_wavefront_size32 1
		.amdhsa_uses_dynamic_stack 0
		.amdhsa_enable_private_segment 0
		.amdhsa_system_sgpr_workgroup_id_x 1
		.amdhsa_system_sgpr_workgroup_id_y 1
		.amdhsa_system_sgpr_workgroup_id_z 1
		.amdhsa_system_sgpr_workgroup_info 0
		.amdhsa_system_vgpr_workitem_id 1
		.amdhsa_next_free_vgpr 56
		.amdhsa_next_free_sgpr 34
		.amdhsa_named_barrier_count 0
		.amdhsa_reserve_vcc 1
		.amdhsa_float_round_mode_32 0
		.amdhsa_float_round_mode_16_64 0
		.amdhsa_float_denorm_mode_32 3
		.amdhsa_float_denorm_mode_16_64 3
		.amdhsa_fp16_overflow 0
		.amdhsa_memory_ordered 1
		.amdhsa_forward_progress 1
		.amdhsa_inst_pref_size 14
		.amdhsa_round_robin_scheduling 0
		.amdhsa_exception_fp_ieee_invalid_op 0
		.amdhsa_exception_fp_denorm_src 0
		.amdhsa_exception_fp_ieee_div_zero 0
		.amdhsa_exception_fp_ieee_overflow 0
		.amdhsa_exception_fp_ieee_underflow 0
		.amdhsa_exception_fp_ieee_inexact 0
		.amdhsa_exception_int_div_zero 0
	.end_amdhsa_kernel
	.section	.text._ZL29rocblas_internal_gemmt_kernelIiLi16ELi32ELi8ELc78ELc84ELc85ELb0ELb0EfPKfPKS1_PKPfEviT_T9_T10_S7_lS9_S7_lS8_T11_S7_li,"axG",@progbits,_ZL29rocblas_internal_gemmt_kernelIiLi16ELi32ELi8ELc78ELc84ELc85ELb0ELb0EfPKfPKS1_PKPfEviT_T9_T10_S7_lS9_S7_lS8_T11_S7_li,comdat
.Lfunc_end289:
	.size	_ZL29rocblas_internal_gemmt_kernelIiLi16ELi32ELi8ELc78ELc84ELc85ELb0ELb0EfPKfPKS1_PKPfEviT_T9_T10_S7_lS9_S7_lS8_T11_S7_li, .Lfunc_end289-_ZL29rocblas_internal_gemmt_kernelIiLi16ELi32ELi8ELc78ELc84ELc85ELb0ELb0EfPKfPKS1_PKPfEviT_T9_T10_S7_lS9_S7_lS8_T11_S7_li
                                        ; -- End function
	.set _ZL29rocblas_internal_gemmt_kernelIiLi16ELi32ELi8ELc78ELc84ELc85ELb0ELb0EfPKfPKS1_PKPfEviT_T9_T10_S7_lS9_S7_lS8_T11_S7_li.num_vgpr, 56
	.set _ZL29rocblas_internal_gemmt_kernelIiLi16ELi32ELi8ELc78ELc84ELc85ELb0ELb0EfPKfPKS1_PKPfEviT_T9_T10_S7_lS9_S7_lS8_T11_S7_li.num_agpr, 0
	.set _ZL29rocblas_internal_gemmt_kernelIiLi16ELi32ELi8ELc78ELc84ELc85ELb0ELb0EfPKfPKS1_PKPfEviT_T9_T10_S7_lS9_S7_lS8_T11_S7_li.numbered_sgpr, 34
	.set _ZL29rocblas_internal_gemmt_kernelIiLi16ELi32ELi8ELc78ELc84ELc85ELb0ELb0EfPKfPKS1_PKPfEviT_T9_T10_S7_lS9_S7_lS8_T11_S7_li.num_named_barrier, 0
	.set _ZL29rocblas_internal_gemmt_kernelIiLi16ELi32ELi8ELc78ELc84ELc85ELb0ELb0EfPKfPKS1_PKPfEviT_T9_T10_S7_lS9_S7_lS8_T11_S7_li.private_seg_size, 0
	.set _ZL29rocblas_internal_gemmt_kernelIiLi16ELi32ELi8ELc78ELc84ELc85ELb0ELb0EfPKfPKS1_PKPfEviT_T9_T10_S7_lS9_S7_lS8_T11_S7_li.uses_vcc, 1
	.set _ZL29rocblas_internal_gemmt_kernelIiLi16ELi32ELi8ELc78ELc84ELc85ELb0ELb0EfPKfPKS1_PKPfEviT_T9_T10_S7_lS9_S7_lS8_T11_S7_li.uses_flat_scratch, 0
	.set _ZL29rocblas_internal_gemmt_kernelIiLi16ELi32ELi8ELc78ELc84ELc85ELb0ELb0EfPKfPKS1_PKPfEviT_T9_T10_S7_lS9_S7_lS8_T11_S7_li.has_dyn_sized_stack, 0
	.set _ZL29rocblas_internal_gemmt_kernelIiLi16ELi32ELi8ELc78ELc84ELc85ELb0ELb0EfPKfPKS1_PKPfEviT_T9_T10_S7_lS9_S7_lS8_T11_S7_li.has_recursion, 0
	.set _ZL29rocblas_internal_gemmt_kernelIiLi16ELi32ELi8ELc78ELc84ELc85ELb0ELb0EfPKfPKS1_PKPfEviT_T9_T10_S7_lS9_S7_lS8_T11_S7_li.has_indirect_call, 0
	.section	.AMDGPU.csdata,"",@progbits
; Kernel info:
; codeLenInByte = 1688
; TotalNumSgprs: 36
; NumVgprs: 56
; ScratchSize: 0
; MemoryBound: 0
; FloatMode: 240
; IeeeMode: 1
; LDSByteSize: 2048 bytes/workgroup (compile time only)
; SGPRBlocks: 0
; VGPRBlocks: 3
; NumSGPRsForWavesPerEU: 36
; NumVGPRsForWavesPerEU: 56
; NamedBarCnt: 0
; Occupancy: 16
; WaveLimiterHint : 1
; COMPUTE_PGM_RSRC2:SCRATCH_EN: 0
; COMPUTE_PGM_RSRC2:USER_SGPR: 2
; COMPUTE_PGM_RSRC2:TRAP_HANDLER: 0
; COMPUTE_PGM_RSRC2:TGID_X_EN: 1
; COMPUTE_PGM_RSRC2:TGID_Y_EN: 1
; COMPUTE_PGM_RSRC2:TGID_Z_EN: 1
; COMPUTE_PGM_RSRC2:TIDIG_COMP_CNT: 1
	.section	.text._ZL29rocblas_internal_gemmt_kernelIiLi16ELi32ELi8ELc78ELc67ELc85ELb0ELb0EfPKfPKS1_PKPfEviT_T9_T10_S7_lS9_S7_lS8_T11_S7_li,"axG",@progbits,_ZL29rocblas_internal_gemmt_kernelIiLi16ELi32ELi8ELc78ELc67ELc85ELb0ELb0EfPKfPKS1_PKPfEviT_T9_T10_S7_lS9_S7_lS8_T11_S7_li,comdat
	.globl	_ZL29rocblas_internal_gemmt_kernelIiLi16ELi32ELi8ELc78ELc67ELc85ELb0ELb0EfPKfPKS1_PKPfEviT_T9_T10_S7_lS9_S7_lS8_T11_S7_li ; -- Begin function _ZL29rocblas_internal_gemmt_kernelIiLi16ELi32ELi8ELc78ELc67ELc85ELb0ELb0EfPKfPKS1_PKPfEviT_T9_T10_S7_lS9_S7_lS8_T11_S7_li
	.p2align	8
	.type	_ZL29rocblas_internal_gemmt_kernelIiLi16ELi32ELi8ELc78ELc67ELc85ELb0ELb0EfPKfPKS1_PKPfEviT_T9_T10_S7_lS9_S7_lS8_T11_S7_li,@function
_ZL29rocblas_internal_gemmt_kernelIiLi16ELi32ELi8ELc78ELc67ELc85ELb0ELb0EfPKfPKS1_PKPfEviT_T9_T10_S7_lS9_S7_lS8_T11_S7_li: ; @_ZL29rocblas_internal_gemmt_kernelIiLi16ELi32ELi8ELc78ELc67ELc85ELb0ELb0EfPKfPKS1_PKPfEviT_T9_T10_S7_lS9_S7_lS8_T11_S7_li
; %bb.0:
	s_clause 0x1
	s_load_b128 s[12:15], s[0:1], 0x38
	s_load_b128 s[4:7], s[0:1], 0x8
	s_wait_kmcnt 0x0
	s_load_b32 s19, s[14:15], 0x0
	s_load_b64 s[20:21], s[0:1], 0x0
	s_load_b32 s26, s[4:5], 0x0
	s_wait_kmcnt 0x0
	s_cmp_neq_f32 s19, 1.0
	s_cselect_b32 s2, -1, 0
	s_delay_alu instid0(SALU_CYCLE_1)
	s_and_b32 vcc_lo, exec_lo, s2
	s_cbranch_vccnz .LBB290_2
; %bb.1:
	s_cmp_lg_u32 s21, 0
	s_cselect_b32 s2, -1, 0
	s_cmp_neq_f32 s26, 0
	s_cselect_b32 s3, -1, 0
	s_delay_alu instid0(SALU_CYCLE_1)
	s_and_b32 s2, s2, s3
.LBB290_2:
	s_delay_alu instid0(SALU_CYCLE_1)
	s_and_not1_b32 vcc_lo, exec_lo, s2
	s_cbranch_vccnz .LBB290_33
; %bb.3:
	s_load_b32 s27, s[0:1], 0x60
	s_bfe_u32 s2, ttmp6, 0x40014
	s_lshr_b32 s3, ttmp7, 16
	s_add_co_i32 s2, s2, 1
	s_bfe_u32 s5, ttmp6, 0x40008
	s_mul_i32 s4, s3, s2
	s_getreg_b32 s2, hwreg(HW_REG_IB_STS2, 6, 4)
	s_add_co_i32 s5, s5, s4
	s_cmp_eq_u32 s2, 0
	s_cselect_b32 s4, s3, s5
	s_mov_b32 s5, 0
	s_wait_kmcnt 0x0
	s_cmp_ge_u32 s4, s27
	s_cbranch_scc1 .LBB290_33
; %bb.4:
	s_clause 0x4
	s_load_b32 s14, s[0:1], 0x18
	s_load_b32 s22, s[0:1], 0x30
	s_load_b96 s[16:18], s[0:1], 0x48
	s_load_b128 s[8:11], s[0:1], 0x20
	s_load_b64 s[24:25], s[0:1], 0x58
	s_wait_xcnt 0x0
	s_bfe_u32 s1, ttmp6, 0x4000c
	s_bfe_u32 s15, ttmp6, 0x40010
	v_and_b32_e32 v5, 0x3ff, v0
	v_bfe_u32 v11, v0, 10, 10
	s_and_b32 s3, ttmp7, 0xffff
	s_add_co_i32 s1, s1, 1
	s_add_co_i32 s30, s15, 1
	s_and_b32 s0, ttmp6, 15
	s_mul_i32 s1, ttmp9, s1
	v_lshl_add_u32 v1, v11, 4, v5
	s_add_co_i32 s0, s0, s1
	v_and_b32_e32 v0, 7, v0
	v_lshl_add_u32 v28, v11, 5, 0x400
	v_lshlrev_b32_e32 v27, 2, v5
	v_dual_lshrrev_b32 v4, 3, v1 :: v_dual_bitop2_b32 v6, 31, v1 bitop3:0x40
	s_wait_kmcnt 0x0
	s_ashr_i32 s15, s14, 31
	s_ashr_i32 s29, s18, 31
	s_mov_b32 s28, s18
	s_mul_i32 s18, s3, s30
	s_bfe_u32 s30, ttmp6, 0x40004
	s_ashr_i32 s23, s22, 31
	s_add_co_i32 s30, s30, s18
	s_cmp_eq_u32 s2, 0
	v_lshrrev_b32_e32 v2, 5, v1
	s_cselect_b32 s0, ttmp9, s0
	s_cselect_b32 s1, s3, s30
	s_lshl_b32 s2, s0, 5
	s_delay_alu instid0(SALU_CYCLE_1) | instskip(SKIP_1) | instid1(SALU_CYCLE_1)
	v_dual_mov_b32 v3, 0 :: v_dual_bitop2_b32 v12, s2, v6 bitop3:0x54
	s_lshl_b32 s0, s1, 5
	v_dual_lshlrev_b32 v6, 2, v6 :: v_dual_add_nc_u32 v16, s0, v11
	s_delay_alu instid0(VALU_DEP_2) | instskip(SKIP_2) | instid1(VALU_DEP_3)
	v_dual_mov_b32 v1, v3 :: v_dual_add_nc_u32 v14, s0, v4
	v_mul_u64_e32 v[18:19], s[14:15], v[2:3]
	s_cmp_neq_f32 s26, 0
	v_dual_add_nc_u32 v22, 16, v16 :: v_dual_ashrrev_i32 v17, 31, v16
	v_lshlrev_b32_e32 v7, 2, v0
	v_mul_u64_e32 v[20:21], s[22:23], v[0:1]
	v_lshl_or_b32 v1, v2, 7, v6
	s_delay_alu instid0(VALU_DEP_4) | instskip(SKIP_3) | instid1(VALU_DEP_3)
	v_ashrrev_i32_e32 v23, 31, v22
	s_cselect_b32 s31, -1, 0
	v_lshl_or_b32 v6, v4, 5, v7
	v_dual_add_nc_u32 v4, s2, v5 :: v_dual_ashrrev_i32 v15, 31, v14
	v_mul_u64_e32 v[8:9], s[28:29], v[22:23]
	s_cmp_gt_i32 s21, 0
	s_delay_alu instid0(VALU_DEP_3)
	v_add_nc_u32_e32 v26, 0x400, v6
	v_mul_u64_e32 v[6:7], s[28:29], v[16:17]
	s_cselect_b32 s33, -1, 0
	s_cmp_neq_f32 s19, 0
	v_add_nc_u32_e32 v10, 16, v4
	v_cmp_gt_i32_e32 vcc_lo, s20, v16
	v_cmp_le_i32_e64 s2, v4, v16
	s_cselect_b32 s18, -1, 0
	s_lshl_b64 s[8:9], s[8:9], 2
	v_cmp_le_i32_e64 s3, v10, v16
	v_ashrrev_i32_e32 v13, 31, v12
	s_and_b32 s28, vcc_lo, s2
	v_cmp_le_i32_e64 s2, v4, v22
	v_cmp_gt_i32_e64 s0, s20, v12
	s_and_b32 s29, vcc_lo, s3
	v_cmp_gt_i32_e32 vcc_lo, s20, v22
	v_cmp_le_i32_e64 s3, v10, v22
	v_cmp_gt_i32_e64 s1, s20, v14
	v_lshl_add_u64 v[16:17], v[18:19], 2, s[8:9]
	s_lshl_b64 s[8:9], s[12:13], 2
	v_dual_ashrrev_i32 v5, 31, v4 :: v_dual_ashrrev_i32 v11, 31, v10
	s_and_b32 s20, vcc_lo, s2
	v_lshl_add_u64 v[18:19], v[20:21], 2, s[8:9]
	v_lshl_add_u64 v[12:13], v[12:13], 2, v[16:17]
	s_and_b32 s30, vcc_lo, s3
	s_and_b32 s31, s31, s33
	s_lshl_b64 s[2:3], s[14:15], 5
	v_lshl_add_u64 v[14:15], v[14:15], 2, v[18:19]
	s_lshl_b64 s[8:9], s[22:23], 5
	s_lshl_b64 s[12:13], s[24:25], 2
	s_branch .LBB290_6
.LBB290_5:                              ;   in Loop: Header=BB290_6 Depth=1
	s_wait_xcnt 0x0
	s_or_b32 exec_lo, exec_lo, s14
	s_add_co_i32 s4, s4, 0x10000
	s_delay_alu instid0(SALU_CYCLE_1)
	s_cmp_lt_u32 s4, s27
	s_cbranch_scc0 .LBB290_33
.LBB290_6:                              ; =>This Loop Header: Depth=1
                                        ;     Child Loop BB290_9 Depth 2
	v_dual_mov_b32 v16, s4 :: v_dual_mov_b32 v25, 0
	v_dual_mov_b32 v24, 0 :: v_dual_mov_b32 v17, 0
	s_and_not1_b32 vcc_lo, exec_lo, s31
	global_load_b64 v[18:19], v16, s[16:17] scale_offset
	s_wait_xcnt 0x0
	v_mov_b32_e32 v16, 0
	s_cbranch_vccnz .LBB290_13
; %bb.7:                                ;   in Loop: Header=BB290_6 Depth=1
	s_lshl_b64 s[14:15], s[4:5], 3
	v_mov_b32_e32 v16, 0
	s_add_nc_u64 s[22:23], s[6:7], s[14:15]
	s_add_nc_u64 s[14:15], s[10:11], s[14:15]
	s_clause 0x1
	global_load_b64 v[20:21], v3, s[22:23]
	global_load_b64 v[22:23], v3, s[14:15]
	s_wait_xcnt 0x0
	s_mov_b32 s14, 0
	v_dual_mov_b32 v17, v16 :: v_dual_mov_b32 v24, v16
	v_mov_b32_e32 v25, v16
	s_wait_loadcnt 0x1
	v_add_nc_u64_e32 v[20:21], v[20:21], v[12:13]
	s_wait_loadcnt 0x0
	v_add_nc_u64_e32 v[22:23], v[22:23], v[14:15]
	s_branch .LBB290_9
.LBB290_8:                              ;   in Loop: Header=BB290_9 Depth=2
	s_wait_xcnt 0x0
	s_or_b32 exec_lo, exec_lo, s15
	s_wait_loadcnt_dscnt 0x0
	ds_store_b32 v26, v30
	s_wait_dscnt 0x0
	s_barrier_signal -1
	s_barrier_wait -1
	ds_load_b128 v[30:33], v28
	ds_load_2addr_b32 v[46:47], v27 offset1:16
	ds_load_b128 v[34:37], v28 offset:512
	ds_load_2addr_b32 v[48:49], v27 offset0:32 offset1:48
	ds_load_2addr_b32 v[50:51], v27 offset0:64 offset1:80
	;; [unrolled: 1-line block ×3, first 2 shown]
	ds_load_b128 v[38:41], v28 offset:16
	ds_load_2addr_b32 v[54:55], v27 offset0:128 offset1:144
	ds_load_b128 v[42:45], v28 offset:528
	v_add_nc_u64_e32 v[20:21], s[2:3], v[20:21]
	v_add_nc_u64_e32 v[22:23], s[8:9], v[22:23]
	s_add_co_i32 s14, s14, 8
	s_delay_alu instid0(SALU_CYCLE_1)
	s_cmp_lt_i32 s14, s21
	s_wait_dscnt 0x7
	v_pk_fma_f32 v[24:25], v[46:47], v[30:31], v[24:25] op_sel_hi:[1,0,1]
	s_wait_dscnt 0x6
	v_pk_fma_f32 v[16:17], v[46:47], v[34:35], v[16:17] op_sel_hi:[1,0,1]
	ds_load_2addr_b32 v[46:47], v27 offset0:160 offset1:176
	s_wait_dscnt 0x6
	v_pk_fma_f32 v[24:25], v[48:49], v[30:31], v[24:25] op_sel:[0,1,0]
	v_pk_fma_f32 v[16:17], v[48:49], v[34:35], v[16:17] op_sel:[0,1,0]
	ds_load_2addr_b32 v[30:31], v27 offset0:192 offset1:208
	v_dual_mov_b32 v34, v33 :: v_dual_mov_b32 v48, v37
	s_wait_dscnt 0x6
	v_pk_fma_f32 v[24:25], v[50:51], v[32:33], v[24:25] op_sel_hi:[1,0,1]
	v_pk_fma_f32 v[16:17], v[50:51], v[36:37], v[16:17] op_sel_hi:[1,0,1]
	ds_load_2addr_b32 v[32:33], v27 offset0:224 offset1:240
	s_wait_dscnt 0x3
	v_mov_b32_e32 v36, v45
	s_wait_dscnt 0x0
	v_pk_fma_f32 v[24:25], v[52:53], v[34:35], v[24:25] op_sel_hi:[1,0,1]
	v_pk_fma_f32 v[16:17], v[52:53], v[48:49], v[16:17] op_sel_hi:[1,0,1]
	v_mov_b32_e32 v34, v41
	s_barrier_signal -1
	s_barrier_wait -1
	v_pk_fma_f32 v[24:25], v[54:55], v[38:39], v[24:25] op_sel_hi:[1,0,1]
	v_pk_fma_f32 v[16:17], v[54:55], v[42:43], v[16:17] op_sel_hi:[1,0,1]
	s_delay_alu instid0(VALU_DEP_2) | instskip(NEXT) | instid1(VALU_DEP_2)
	v_pk_fma_f32 v[24:25], v[46:47], v[38:39], v[24:25] op_sel:[0,1,0]
	v_pk_fma_f32 v[16:17], v[46:47], v[42:43], v[16:17] op_sel:[0,1,0]
	s_delay_alu instid0(VALU_DEP_2) | instskip(NEXT) | instid1(VALU_DEP_2)
	v_pk_fma_f32 v[24:25], v[30:31], v[40:41], v[24:25] op_sel_hi:[1,0,1]
	v_pk_fma_f32 v[16:17], v[30:31], v[44:45], v[16:17] op_sel_hi:[1,0,1]
	s_delay_alu instid0(VALU_DEP_2) | instskip(NEXT) | instid1(VALU_DEP_2)
	v_pk_fma_f32 v[24:25], v[32:33], v[34:35], v[24:25] op_sel_hi:[1,0,1]
	v_pk_fma_f32 v[16:17], v[32:33], v[36:37], v[16:17] op_sel_hi:[1,0,1]
	s_cbranch_scc0 .LBB290_13
.LBB290_9:                              ;   Parent Loop BB290_6 Depth=1
                                        ; =>  This Inner Loop Header: Depth=2
	v_add_nc_u32_e32 v29, s14, v2
	s_delay_alu instid0(VALU_DEP_1) | instskip(SKIP_2) | instid1(SALU_CYCLE_1)
	v_cmp_gt_i32_e32 vcc_lo, s21, v29
	v_mov_b32_e32 v29, 0
	s_and_b32 s22, s0, vcc_lo
	s_and_saveexec_b32 s15, s22
	s_cbranch_execz .LBB290_11
; %bb.10:                               ;   in Loop: Header=BB290_9 Depth=2
	flat_load_b32 v29, v[20:21]
.LBB290_11:                             ;   in Loop: Header=BB290_9 Depth=2
	s_wait_xcnt 0x0
	s_or_b32 exec_lo, exec_lo, s15
	v_add_nc_u32_e32 v30, s14, v0
	s_wait_loadcnt_dscnt 0x0
	ds_store_b32 v1, v29
	v_cmp_gt_i32_e32 vcc_lo, s21, v30
	v_mov_b32_e32 v30, 0
	s_and_b32 s22, vcc_lo, s1
	s_delay_alu instid0(SALU_CYCLE_1)
	s_and_saveexec_b32 s15, s22
	s_cbranch_execz .LBB290_8
; %bb.12:                               ;   in Loop: Header=BB290_9 Depth=2
	flat_load_b32 v30, v[22:23]
	s_branch .LBB290_8
.LBB290_13:                             ;   in Loop: Header=BB290_6 Depth=1
	s_wait_loadcnt 0x0
	v_add_nc_u64_e32 v[18:19], s[12:13], v[18:19]
	s_delay_alu instid0(VALU_DEP_1)
	v_lshl_add_u64 v[20:21], v[6:7], 2, v[18:19]
	s_and_saveexec_b32 s14, s28
	s_cbranch_execz .LBB290_17
; %bb.14:                               ;   in Loop: Header=BB290_6 Depth=1
	v_mul_f32_e32 v24, s26, v24
	s_delay_alu instid0(VALU_DEP_2)
	v_lshl_add_u64 v[22:23], v[4:5], 2, v[20:21]
	s_and_b32 vcc_lo, exec_lo, s18
	s_cbranch_vccz .LBB290_28
; %bb.15:                               ;   in Loop: Header=BB290_6 Depth=1
	flat_load_b32 v29, v[22:23]
	s_wait_loadcnt_dscnt 0x0
	v_fma_f32 v29, s19, v29, v24
	flat_store_b32 v[22:23], v29
	s_cbranch_execnz .LBB290_17
.LBB290_16:                             ;   in Loop: Header=BB290_6 Depth=1
	flat_store_b32 v[22:23], v24
.LBB290_17:                             ;   in Loop: Header=BB290_6 Depth=1
	s_wait_xcnt 0x0
	s_or_b32 exec_lo, exec_lo, s14
	s_and_saveexec_b32 s14, s29
	s_cbranch_execz .LBB290_21
; %bb.18:                               ;   in Loop: Header=BB290_6 Depth=1
	v_mul_f32_e32 v22, s26, v25
	v_lshl_add_u64 v[20:21], v[10:11], 2, v[20:21]
	s_and_not1_b32 vcc_lo, exec_lo, s18
	s_cbranch_vccnz .LBB290_29
; %bb.19:                               ;   in Loop: Header=BB290_6 Depth=1
	flat_load_b32 v23, v[20:21]
	s_wait_loadcnt_dscnt 0x0
	v_fma_f32 v23, s19, v23, v22
	flat_store_b32 v[20:21], v23
	s_cbranch_execnz .LBB290_21
.LBB290_20:                             ;   in Loop: Header=BB290_6 Depth=1
	flat_store_b32 v[20:21], v22
.LBB290_21:                             ;   in Loop: Header=BB290_6 Depth=1
	s_wait_xcnt 0x0
	s_or_b32 exec_lo, exec_lo, s14
	v_lshl_add_u64 v[18:19], v[8:9], 2, v[18:19]
	s_and_saveexec_b32 s14, s20
	s_cbranch_execz .LBB290_25
; %bb.22:                               ;   in Loop: Header=BB290_6 Depth=1
	v_mul_f32_e32 v16, s26, v16
	s_delay_alu instid0(VALU_DEP_2)
	v_lshl_add_u64 v[20:21], v[4:5], 2, v[18:19]
	s_and_not1_b32 vcc_lo, exec_lo, s18
	s_cbranch_vccnz .LBB290_30
; %bb.23:                               ;   in Loop: Header=BB290_6 Depth=1
	flat_load_b32 v22, v[20:21]
	s_wait_loadcnt_dscnt 0x0
	v_fma_f32 v22, s19, v22, v16
	flat_store_b32 v[20:21], v22
	s_cbranch_execnz .LBB290_25
.LBB290_24:                             ;   in Loop: Header=BB290_6 Depth=1
	flat_store_b32 v[20:21], v16
.LBB290_25:                             ;   in Loop: Header=BB290_6 Depth=1
	s_wait_xcnt 0x0
	s_or_b32 exec_lo, exec_lo, s14
	s_and_saveexec_b32 s14, s30
	s_cbranch_execz .LBB290_5
; %bb.26:                               ;   in Loop: Header=BB290_6 Depth=1
	v_mul_f32_e32 v20, s26, v17
	v_lshl_add_u64 v[16:17], v[10:11], 2, v[18:19]
	s_and_not1_b32 vcc_lo, exec_lo, s18
	s_cbranch_vccnz .LBB290_31
; %bb.27:                               ;   in Loop: Header=BB290_6 Depth=1
	flat_load_b32 v18, v[16:17]
	s_wait_loadcnt_dscnt 0x0
	v_fma_f32 v18, s19, v18, v20
	flat_store_b32 v[16:17], v18
	s_cbranch_execnz .LBB290_5
	s_branch .LBB290_32
.LBB290_28:                             ;   in Loop: Header=BB290_6 Depth=1
	s_branch .LBB290_16
.LBB290_29:                             ;   in Loop: Header=BB290_6 Depth=1
	s_branch .LBB290_20
.LBB290_30:                             ;   in Loop: Header=BB290_6 Depth=1
	s_branch .LBB290_24
.LBB290_31:                             ;   in Loop: Header=BB290_6 Depth=1
.LBB290_32:                             ;   in Loop: Header=BB290_6 Depth=1
	flat_store_b32 v[16:17], v20
	s_branch .LBB290_5
.LBB290_33:
	s_endpgm
	.section	.rodata,"a",@progbits
	.p2align	6, 0x0
	.amdhsa_kernel _ZL29rocblas_internal_gemmt_kernelIiLi16ELi32ELi8ELc78ELc67ELc85ELb0ELb0EfPKfPKS1_PKPfEviT_T9_T10_S7_lS9_S7_lS8_T11_S7_li
		.amdhsa_group_segment_fixed_size 2048
		.amdhsa_private_segment_fixed_size 0
		.amdhsa_kernarg_size 100
		.amdhsa_user_sgpr_count 2
		.amdhsa_user_sgpr_dispatch_ptr 0
		.amdhsa_user_sgpr_queue_ptr 0
		.amdhsa_user_sgpr_kernarg_segment_ptr 1
		.amdhsa_user_sgpr_dispatch_id 0
		.amdhsa_user_sgpr_kernarg_preload_length 0
		.amdhsa_user_sgpr_kernarg_preload_offset 0
		.amdhsa_user_sgpr_private_segment_size 0
		.amdhsa_wavefront_size32 1
		.amdhsa_uses_dynamic_stack 0
		.amdhsa_enable_private_segment 0
		.amdhsa_system_sgpr_workgroup_id_x 1
		.amdhsa_system_sgpr_workgroup_id_y 1
		.amdhsa_system_sgpr_workgroup_id_z 1
		.amdhsa_system_sgpr_workgroup_info 0
		.amdhsa_system_vgpr_workitem_id 1
		.amdhsa_next_free_vgpr 56
		.amdhsa_next_free_sgpr 34
		.amdhsa_named_barrier_count 0
		.amdhsa_reserve_vcc 1
		.amdhsa_float_round_mode_32 0
		.amdhsa_float_round_mode_16_64 0
		.amdhsa_float_denorm_mode_32 3
		.amdhsa_float_denorm_mode_16_64 3
		.amdhsa_fp16_overflow 0
		.amdhsa_memory_ordered 1
		.amdhsa_forward_progress 1
		.amdhsa_inst_pref_size 14
		.amdhsa_round_robin_scheduling 0
		.amdhsa_exception_fp_ieee_invalid_op 0
		.amdhsa_exception_fp_denorm_src 0
		.amdhsa_exception_fp_ieee_div_zero 0
		.amdhsa_exception_fp_ieee_overflow 0
		.amdhsa_exception_fp_ieee_underflow 0
		.amdhsa_exception_fp_ieee_inexact 0
		.amdhsa_exception_int_div_zero 0
	.end_amdhsa_kernel
	.section	.text._ZL29rocblas_internal_gemmt_kernelIiLi16ELi32ELi8ELc78ELc67ELc85ELb0ELb0EfPKfPKS1_PKPfEviT_T9_T10_S7_lS9_S7_lS8_T11_S7_li,"axG",@progbits,_ZL29rocblas_internal_gemmt_kernelIiLi16ELi32ELi8ELc78ELc67ELc85ELb0ELb0EfPKfPKS1_PKPfEviT_T9_T10_S7_lS9_S7_lS8_T11_S7_li,comdat
.Lfunc_end290:
	.size	_ZL29rocblas_internal_gemmt_kernelIiLi16ELi32ELi8ELc78ELc67ELc85ELb0ELb0EfPKfPKS1_PKPfEviT_T9_T10_S7_lS9_S7_lS8_T11_S7_li, .Lfunc_end290-_ZL29rocblas_internal_gemmt_kernelIiLi16ELi32ELi8ELc78ELc67ELc85ELb0ELb0EfPKfPKS1_PKPfEviT_T9_T10_S7_lS9_S7_lS8_T11_S7_li
                                        ; -- End function
	.set _ZL29rocblas_internal_gemmt_kernelIiLi16ELi32ELi8ELc78ELc67ELc85ELb0ELb0EfPKfPKS1_PKPfEviT_T9_T10_S7_lS9_S7_lS8_T11_S7_li.num_vgpr, 56
	.set _ZL29rocblas_internal_gemmt_kernelIiLi16ELi32ELi8ELc78ELc67ELc85ELb0ELb0EfPKfPKS1_PKPfEviT_T9_T10_S7_lS9_S7_lS8_T11_S7_li.num_agpr, 0
	.set _ZL29rocblas_internal_gemmt_kernelIiLi16ELi32ELi8ELc78ELc67ELc85ELb0ELb0EfPKfPKS1_PKPfEviT_T9_T10_S7_lS9_S7_lS8_T11_S7_li.numbered_sgpr, 34
	.set _ZL29rocblas_internal_gemmt_kernelIiLi16ELi32ELi8ELc78ELc67ELc85ELb0ELb0EfPKfPKS1_PKPfEviT_T9_T10_S7_lS9_S7_lS8_T11_S7_li.num_named_barrier, 0
	.set _ZL29rocblas_internal_gemmt_kernelIiLi16ELi32ELi8ELc78ELc67ELc85ELb0ELb0EfPKfPKS1_PKPfEviT_T9_T10_S7_lS9_S7_lS8_T11_S7_li.private_seg_size, 0
	.set _ZL29rocblas_internal_gemmt_kernelIiLi16ELi32ELi8ELc78ELc67ELc85ELb0ELb0EfPKfPKS1_PKPfEviT_T9_T10_S7_lS9_S7_lS8_T11_S7_li.uses_vcc, 1
	.set _ZL29rocblas_internal_gemmt_kernelIiLi16ELi32ELi8ELc78ELc67ELc85ELb0ELb0EfPKfPKS1_PKPfEviT_T9_T10_S7_lS9_S7_lS8_T11_S7_li.uses_flat_scratch, 0
	.set _ZL29rocblas_internal_gemmt_kernelIiLi16ELi32ELi8ELc78ELc67ELc85ELb0ELb0EfPKfPKS1_PKPfEviT_T9_T10_S7_lS9_S7_lS8_T11_S7_li.has_dyn_sized_stack, 0
	.set _ZL29rocblas_internal_gemmt_kernelIiLi16ELi32ELi8ELc78ELc67ELc85ELb0ELb0EfPKfPKS1_PKPfEviT_T9_T10_S7_lS9_S7_lS8_T11_S7_li.has_recursion, 0
	.set _ZL29rocblas_internal_gemmt_kernelIiLi16ELi32ELi8ELc78ELc67ELc85ELb0ELb0EfPKfPKS1_PKPfEviT_T9_T10_S7_lS9_S7_lS8_T11_S7_li.has_indirect_call, 0
	.section	.AMDGPU.csdata,"",@progbits
; Kernel info:
; codeLenInByte = 1688
; TotalNumSgprs: 36
; NumVgprs: 56
; ScratchSize: 0
; MemoryBound: 0
; FloatMode: 240
; IeeeMode: 1
; LDSByteSize: 2048 bytes/workgroup (compile time only)
; SGPRBlocks: 0
; VGPRBlocks: 3
; NumSGPRsForWavesPerEU: 36
; NumVGPRsForWavesPerEU: 56
; NamedBarCnt: 0
; Occupancy: 16
; WaveLimiterHint : 1
; COMPUTE_PGM_RSRC2:SCRATCH_EN: 0
; COMPUTE_PGM_RSRC2:USER_SGPR: 2
; COMPUTE_PGM_RSRC2:TRAP_HANDLER: 0
; COMPUTE_PGM_RSRC2:TGID_X_EN: 1
; COMPUTE_PGM_RSRC2:TGID_Y_EN: 1
; COMPUTE_PGM_RSRC2:TGID_Z_EN: 1
; COMPUTE_PGM_RSRC2:TIDIG_COMP_CNT: 1
	.section	.text._ZL29rocblas_internal_gemmt_kernelIiLi16ELi32ELi8ELc84ELc78ELc85ELb0ELb0EfPKfPKS1_PKPfEviT_T9_T10_S7_lS9_S7_lS8_T11_S7_li,"axG",@progbits,_ZL29rocblas_internal_gemmt_kernelIiLi16ELi32ELi8ELc84ELc78ELc85ELb0ELb0EfPKfPKS1_PKPfEviT_T9_T10_S7_lS9_S7_lS8_T11_S7_li,comdat
	.globl	_ZL29rocblas_internal_gemmt_kernelIiLi16ELi32ELi8ELc84ELc78ELc85ELb0ELb0EfPKfPKS1_PKPfEviT_T9_T10_S7_lS9_S7_lS8_T11_S7_li ; -- Begin function _ZL29rocblas_internal_gemmt_kernelIiLi16ELi32ELi8ELc84ELc78ELc85ELb0ELb0EfPKfPKS1_PKPfEviT_T9_T10_S7_lS9_S7_lS8_T11_S7_li
	.p2align	8
	.type	_ZL29rocblas_internal_gemmt_kernelIiLi16ELi32ELi8ELc84ELc78ELc85ELb0ELb0EfPKfPKS1_PKPfEviT_T9_T10_S7_lS9_S7_lS8_T11_S7_li,@function
_ZL29rocblas_internal_gemmt_kernelIiLi16ELi32ELi8ELc84ELc78ELc85ELb0ELb0EfPKfPKS1_PKPfEviT_T9_T10_S7_lS9_S7_lS8_T11_S7_li: ; @_ZL29rocblas_internal_gemmt_kernelIiLi16ELi32ELi8ELc84ELc78ELc85ELb0ELb0EfPKfPKS1_PKPfEviT_T9_T10_S7_lS9_S7_lS8_T11_S7_li
; %bb.0:
	s_clause 0x1
	s_load_b128 s[12:15], s[0:1], 0x38
	s_load_b128 s[4:7], s[0:1], 0x8
	s_wait_kmcnt 0x0
	s_load_b32 s19, s[14:15], 0x0
	s_load_b64 s[20:21], s[0:1], 0x0
	s_load_b32 s24, s[4:5], 0x0
	s_wait_kmcnt 0x0
	s_cmp_neq_f32 s19, 1.0
	s_cselect_b32 s2, -1, 0
	s_delay_alu instid0(SALU_CYCLE_1)
	s_and_b32 vcc_lo, exec_lo, s2
	s_cbranch_vccnz .LBB291_2
; %bb.1:
	s_cmp_lg_u32 s21, 0
	s_cselect_b32 s2, -1, 0
	s_cmp_neq_f32 s24, 0
	s_cselect_b32 s3, -1, 0
	s_delay_alu instid0(SALU_CYCLE_1)
	s_and_b32 s2, s2, s3
.LBB291_2:
	s_delay_alu instid0(SALU_CYCLE_1)
	s_and_not1_b32 vcc_lo, exec_lo, s2
	s_cbranch_vccnz .LBB291_33
; %bb.3:
	s_load_b32 s25, s[0:1], 0x60
	s_bfe_u32 s2, ttmp6, 0x40014
	s_lshr_b32 s3, ttmp7, 16
	s_add_co_i32 s2, s2, 1
	s_bfe_u32 s4, ttmp6, 0x40008
	s_mul_i32 s2, s3, s2
	s_getreg_b32 s26, hwreg(HW_REG_IB_STS2, 6, 4)
	s_add_co_i32 s4, s4, s2
	s_cmp_eq_u32 s26, 0
	s_mov_b32 s5, 0
	s_cselect_b32 s4, s3, s4
	s_wait_kmcnt 0x0
	s_cmp_ge_u32 s4, s25
	s_cbranch_scc1 .LBB291_33
; %bb.4:
	s_clause 0x3
	s_load_b32 s22, s[0:1], 0x18
	s_load_b32 s2, s[0:1], 0x30
	s_load_b96 s[16:18], s[0:1], 0x48
	s_load_b128 s[8:11], s[0:1], 0x20
	v_and_b32_e32 v1, 0x3ff, v0
	v_bfe_u32 v7, v0, 10, 10
	s_load_b64 s[14:15], s[0:1], 0x58
	s_wait_xcnt 0x0
	s_bfe_u32 s1, ttmp6, 0x4000c
	s_bfe_u32 s3, ttmp6, 0x40010
	s_and_b32 s28, ttmp7, 0xffff
	s_add_co_i32 s1, s1, 1
	s_add_co_i32 s3, s3, 1
	v_lshl_add_u32 v3, v7, 4, v1
	s_and_b32 s0, ttmp6, 15
	s_bfe_u32 s29, ttmp6, 0x40004
	s_mul_i32 s1, ttmp9, s1
	s_mul_i32 s30, s28, s3
	s_add_co_i32 s0, s0, s1
	s_add_co_i32 s29, s29, s30
	v_dual_lshrrev_b32 v6, 3, v3 :: v_dual_bitop2_b32 v9, 31, v3 bitop3:0x40
	s_wait_kmcnt 0x0
	s_ashr_i32 s23, s22, 31
	s_ashr_i32 s3, s2, 31
	;; [unrolled: 1-line block ×3, first 2 shown]
	s_cmp_eq_u32 s26, 0
	s_mov_b32 s26, s18
	s_cselect_b32 s0, ttmp9, s0
	s_cselect_b32 s1, s28, s29
	s_lshl_b32 s28, s0, 5
	s_lshl_b32 s0, s1, 5
	v_dual_lshrrev_b32 v24, 5, v3 :: v_dual_bitop2_b32 v2, s28, v9 bitop3:0x54
	v_dual_add_nc_u32 v4, s0, v6 :: v_dual_bitop2_b32 v25, 7, v0 bitop3:0x40
	v_dual_add_nc_u32 v8, s0, v7 :: v_dual_lshlrev_b32 v0, 2, v9
	s_delay_alu instid0(VALU_DEP_2) | instskip(NEXT) | instid1(VALU_DEP_2)
	v_dual_ashrrev_i32 v3, 31, v2 :: v_dual_ashrrev_i32 v5, 31, v4
	v_dual_lshlrev_b32 v16, 2, v25 :: v_dual_add_nc_u32 v14, 16, v8
	v_ashrrev_i32_e32 v9, 31, v8
	s_delay_alu instid0(VALU_DEP_3) | instskip(NEXT) | instid1(VALU_DEP_4)
	v_mul_u64_e32 v[10:11], s[22:23], v[2:3]
	v_mul_u64_e32 v[12:13], s[2:3], v[4:5]
	v_cmp_gt_i32_e64 s0, s20, v2
	v_ashrrev_i32_e32 v15, 31, v14
	v_cmp_gt_i32_e64 s1, s20, v4
	v_mul_u64_e32 v[2:3], s[26:27], v[8:9]
	v_lshl_or_b32 v26, v24, 7, v0
	v_lshl_or_b32 v6, v6, 5, v16
	v_mul_u64_e32 v[4:5], s[26:27], v[14:15]
	v_dual_add_nc_u32 v0, s28, v1 :: v_dual_lshlrev_b32 v28, 2, v1
	s_cmp_neq_f32 s24, 0
	s_delay_alu instid0(VALU_DEP_3) | instskip(SKIP_1) | instid1(VALU_DEP_3)
	v_add_nc_u32_e32 v27, 0x400, v6
	v_cmp_gt_i32_e32 vcc_lo, s20, v8
	v_dual_add_nc_u32 v6, 16, v0 :: v_dual_ashrrev_i32 v1, 31, v0
	s_cselect_b32 s29, -1, 0
	s_cmp_gt_i32 s21, 0
	v_cmp_le_i32_e64 s2, v0, v8
	s_delay_alu instid0(VALU_DEP_2)
	v_cmp_le_i32_e64 s3, v6, v8
	s_cselect_b32 s30, -1, 0
	s_cmp_neq_f32 s19, 0
	v_lshl_add_u32 v29, v7, 5, 0x400
	v_dual_ashrrev_i32 v7, 31, v6 :: v_dual_mov_b32 v9, 0
	s_cselect_b32 s18, -1, 0
	s_and_b32 s22, vcc_lo, s2
	s_and_b32 s23, vcc_lo, s3
	s_lshl_b64 s[2:3], s[8:9], 2
	v_dual_mov_b32 v17, v9 :: v_dual_lshlrev_b32 v8, 2, v24
	v_cmp_gt_i32_e32 vcc_lo, s20, v14
	v_lshl_add_u64 v[10:11], v[10:11], 2, s[2:3]
	s_lshl_b64 s[2:3], s[12:13], 2
	s_and_b32 s8, s29, s30
	v_lshl_add_u64 v[12:13], v[12:13], 2, s[2:3]
	v_cmp_le_i32_e64 s2, v0, v14
	v_cmp_le_i32_e64 s3, v6, v14
	v_add_nc_u64_e32 v[10:11], v[10:11], v[8:9]
	s_delay_alu instid0(VALU_DEP_4)
	v_add_nc_u64_e32 v[12:13], v[12:13], v[16:17]
	s_and_b32 s9, vcc_lo, s2
	s_and_b32 s12, vcc_lo, s3
	s_lshl_b64 s[2:3], s[14:15], 2
	s_branch .LBB291_6
.LBB291_5:                              ;   in Loop: Header=BB291_6 Depth=1
	s_wait_xcnt 0x0
	s_or_b32 exec_lo, exec_lo, s13
	s_add_co_i32 s4, s4, 0x10000
	s_delay_alu instid0(SALU_CYCLE_1)
	s_cmp_lt_u32 s4, s25
	s_cbranch_scc0 .LBB291_33
.LBB291_6:                              ; =>This Loop Header: Depth=1
                                        ;     Child Loop BB291_9 Depth 2
	v_dual_mov_b32 v8, s4 :: v_dual_mov_b32 v23, 0
	v_dual_mov_b32 v22, 0 :: v_dual_mov_b32 v15, 0
	v_mov_b32_e32 v14, 0
	global_load_b64 v[16:17], v8, s[16:17] scale_offset
	s_and_not1_b32 vcc_lo, exec_lo, s8
	s_cbranch_vccnz .LBB291_13
; %bb.7:                                ;   in Loop: Header=BB291_6 Depth=1
	s_lshl_b64 s[14:15], s[4:5], 3
	v_mov_b32_e32 v14, 0
	s_add_nc_u64 s[26:27], s[6:7], s[14:15]
	s_add_nc_u64 s[14:15], s[10:11], s[14:15]
	s_clause 0x1
	global_load_b64 v[18:19], v9, s[26:27]
	global_load_b64 v[20:21], v9, s[14:15]
	s_mov_b32 s13, 0
	v_dual_mov_b32 v15, v14 :: v_dual_mov_b32 v22, v14
	v_mov_b32_e32 v23, v14
	s_wait_loadcnt 0x1
	v_add_nc_u64_e32 v[18:19], v[18:19], v[10:11]
	s_wait_loadcnt 0x0
	v_add_nc_u64_e32 v[20:21], v[20:21], v[12:13]
	s_branch .LBB291_9
.LBB291_8:                              ;   in Loop: Header=BB291_9 Depth=2
	s_wait_xcnt 0x0
	s_or_b32 exec_lo, exec_lo, s14
	s_wait_loadcnt_dscnt 0x0
	ds_store_b32 v27, v30
	s_wait_dscnt 0x0
	s_barrier_signal -1
	s_barrier_wait -1
	ds_load_b128 v[30:33], v29
	ds_load_2addr_b32 v[46:47], v28 offset1:16
	ds_load_b128 v[34:37], v29 offset:512
	ds_load_2addr_b32 v[48:49], v28 offset0:32 offset1:48
	ds_load_2addr_b32 v[50:51], v28 offset0:64 offset1:80
	;; [unrolled: 1-line block ×3, first 2 shown]
	ds_load_b128 v[38:41], v29 offset:16
	ds_load_2addr_b32 v[54:55], v28 offset0:128 offset1:144
	ds_load_b128 v[42:45], v29 offset:528
	v_add_nc_u64_e32 v[18:19], 32, v[18:19]
	v_add_nc_u64_e32 v[20:21], 32, v[20:21]
	s_add_co_i32 s13, s13, 8
	s_delay_alu instid0(SALU_CYCLE_1)
	s_cmp_lt_i32 s13, s21
	s_wait_dscnt 0x8
	v_mov_b32_e32 v8, v33
	s_wait_dscnt 0x7
	v_pk_fma_f32 v[22:23], v[46:47], v[30:31], v[22:23] op_sel_hi:[1,0,1]
	s_wait_dscnt 0x6
	v_pk_fma_f32 v[14:15], v[46:47], v[34:35], v[14:15] op_sel_hi:[1,0,1]
	ds_load_2addr_b32 v[46:47], v28 offset0:160 offset1:176
	s_wait_dscnt 0x6
	v_pk_fma_f32 v[22:23], v[48:49], v[30:31], v[22:23] op_sel:[0,1,0]
	v_pk_fma_f32 v[14:15], v[48:49], v[34:35], v[14:15] op_sel:[0,1,0]
	ds_load_2addr_b32 v[30:31], v28 offset0:192 offset1:208
	v_mov_b32_e32 v34, v37
	s_wait_dscnt 0x6
	v_pk_fma_f32 v[22:23], v[50:51], v[32:33], v[22:23] op_sel_hi:[1,0,1]
	v_pk_fma_f32 v[14:15], v[50:51], v[36:37], v[14:15] op_sel_hi:[1,0,1]
	ds_load_2addr_b32 v[32:33], v28 offset0:224 offset1:240
	s_wait_dscnt 0x0
	s_barrier_signal -1
	v_pk_fma_f32 v[22:23], v[52:53], v[8:9], v[22:23] op_sel_hi:[1,0,1]
	v_pk_fma_f32 v[14:15], v[52:53], v[34:35], v[14:15] op_sel_hi:[1,0,1]
	v_dual_mov_b32 v8, v41 :: v_dual_mov_b32 v34, v45
	s_barrier_wait -1
	s_delay_alu instid0(VALU_DEP_3) | instskip(NEXT) | instid1(VALU_DEP_3)
	v_pk_fma_f32 v[22:23], v[54:55], v[38:39], v[22:23] op_sel_hi:[1,0,1]
	v_pk_fma_f32 v[14:15], v[54:55], v[42:43], v[14:15] op_sel_hi:[1,0,1]
	s_delay_alu instid0(VALU_DEP_2) | instskip(NEXT) | instid1(VALU_DEP_2)
	v_pk_fma_f32 v[22:23], v[46:47], v[38:39], v[22:23] op_sel:[0,1,0]
	v_pk_fma_f32 v[14:15], v[46:47], v[42:43], v[14:15] op_sel:[0,1,0]
	s_delay_alu instid0(VALU_DEP_2) | instskip(NEXT) | instid1(VALU_DEP_2)
	v_pk_fma_f32 v[22:23], v[30:31], v[40:41], v[22:23] op_sel_hi:[1,0,1]
	v_pk_fma_f32 v[14:15], v[30:31], v[44:45], v[14:15] op_sel_hi:[1,0,1]
	s_delay_alu instid0(VALU_DEP_2) | instskip(NEXT) | instid1(VALU_DEP_2)
	v_pk_fma_f32 v[22:23], v[32:33], v[8:9], v[22:23] op_sel_hi:[1,0,1]
	v_pk_fma_f32 v[14:15], v[32:33], v[34:35], v[14:15] op_sel_hi:[1,0,1]
	s_cbranch_scc0 .LBB291_13
.LBB291_9:                              ;   Parent Loop BB291_6 Depth=1
                                        ; =>  This Inner Loop Header: Depth=2
	s_wait_xcnt 0x2
	v_add_nc_u32_e32 v8, s13, v24
	s_delay_alu instid0(VALU_DEP_1) | instskip(SKIP_3) | instid1(SALU_CYCLE_1)
	v_cmp_gt_i32_e32 vcc_lo, s21, v8
	v_mov_b32_e32 v8, 0
	s_wait_xcnt 0x0
	s_and_b32 s15, s0, vcc_lo
	s_and_saveexec_b32 s14, s15
	s_cbranch_execz .LBB291_11
; %bb.10:                               ;   in Loop: Header=BB291_9 Depth=2
	flat_load_b32 v8, v[18:19]
.LBB291_11:                             ;   in Loop: Header=BB291_9 Depth=2
	s_wait_xcnt 0x0
	s_or_b32 exec_lo, exec_lo, s14
	v_add_nc_u32_e32 v30, s13, v25
	s_wait_loadcnt_dscnt 0x0
	ds_store_b32 v26, v8
	v_cmp_gt_i32_e32 vcc_lo, s21, v30
	v_mov_b32_e32 v30, 0
	s_and_b32 s15, vcc_lo, s1
	s_delay_alu instid0(SALU_CYCLE_1)
	s_and_saveexec_b32 s14, s15
	s_cbranch_execz .LBB291_8
; %bb.12:                               ;   in Loop: Header=BB291_9 Depth=2
	flat_load_b32 v30, v[20:21]
	s_branch .LBB291_8
.LBB291_13:                             ;   in Loop: Header=BB291_6 Depth=1
	s_wait_loadcnt 0x0
	v_add_nc_u64_e32 v[16:17], s[2:3], v[16:17]
	s_delay_alu instid0(VALU_DEP_1)
	v_lshl_add_u64 v[18:19], v[2:3], 2, v[16:17]
	s_wait_xcnt 0x0
	s_and_saveexec_b32 s13, s22
	s_cbranch_execz .LBB291_17
; %bb.14:                               ;   in Loop: Header=BB291_6 Depth=1
	v_mul_f32_e32 v8, s24, v22
	v_lshl_add_u64 v[20:21], v[0:1], 2, v[18:19]
	s_and_b32 vcc_lo, exec_lo, s18
	s_cbranch_vccz .LBB291_28
; %bb.15:                               ;   in Loop: Header=BB291_6 Depth=1
	flat_load_b32 v22, v[20:21]
	s_wait_loadcnt_dscnt 0x0
	v_fma_f32 v22, s19, v22, v8
	flat_store_b32 v[20:21], v22
	s_cbranch_execnz .LBB291_17
.LBB291_16:                             ;   in Loop: Header=BB291_6 Depth=1
	flat_store_b32 v[20:21], v8
.LBB291_17:                             ;   in Loop: Header=BB291_6 Depth=1
	s_wait_xcnt 0x0
	s_or_b32 exec_lo, exec_lo, s13
	s_and_saveexec_b32 s13, s23
	s_cbranch_execz .LBB291_21
; %bb.18:                               ;   in Loop: Header=BB291_6 Depth=1
	v_mul_f32_e32 v8, s24, v23
	v_lshl_add_u64 v[18:19], v[6:7], 2, v[18:19]
	s_and_not1_b32 vcc_lo, exec_lo, s18
	s_cbranch_vccnz .LBB291_29
; %bb.19:                               ;   in Loop: Header=BB291_6 Depth=1
	flat_load_b32 v20, v[18:19]
	s_wait_loadcnt_dscnt 0x0
	v_fma_f32 v20, s19, v20, v8
	flat_store_b32 v[18:19], v20
	s_cbranch_execnz .LBB291_21
.LBB291_20:                             ;   in Loop: Header=BB291_6 Depth=1
	flat_store_b32 v[18:19], v8
.LBB291_21:                             ;   in Loop: Header=BB291_6 Depth=1
	s_wait_xcnt 0x0
	s_or_b32 exec_lo, exec_lo, s13
	v_lshl_add_u64 v[16:17], v[4:5], 2, v[16:17]
	s_and_saveexec_b32 s13, s9
	s_cbranch_execz .LBB291_25
; %bb.22:                               ;   in Loop: Header=BB291_6 Depth=1
	v_mul_f32_e32 v8, s24, v14
	s_delay_alu instid0(VALU_DEP_2)
	v_lshl_add_u64 v[18:19], v[0:1], 2, v[16:17]
	s_and_not1_b32 vcc_lo, exec_lo, s18
	s_cbranch_vccnz .LBB291_30
; %bb.23:                               ;   in Loop: Header=BB291_6 Depth=1
	flat_load_b32 v14, v[18:19]
	s_wait_loadcnt_dscnt 0x0
	v_fma_f32 v14, s19, v14, v8
	flat_store_b32 v[18:19], v14
	s_cbranch_execnz .LBB291_25
.LBB291_24:                             ;   in Loop: Header=BB291_6 Depth=1
	flat_store_b32 v[18:19], v8
.LBB291_25:                             ;   in Loop: Header=BB291_6 Depth=1
	s_wait_xcnt 0x0
	s_or_b32 exec_lo, exec_lo, s13
	s_and_saveexec_b32 s13, s12
	s_cbranch_execz .LBB291_5
; %bb.26:                               ;   in Loop: Header=BB291_6 Depth=1
	v_mul_f32_e32 v8, s24, v15
	v_lshl_add_u64 v[14:15], v[6:7], 2, v[16:17]
	s_and_not1_b32 vcc_lo, exec_lo, s18
	s_cbranch_vccnz .LBB291_31
; %bb.27:                               ;   in Loop: Header=BB291_6 Depth=1
	flat_load_b32 v16, v[14:15]
	s_wait_loadcnt_dscnt 0x0
	v_fma_f32 v16, s19, v16, v8
	flat_store_b32 v[14:15], v16
	s_cbranch_execnz .LBB291_5
	s_branch .LBB291_32
.LBB291_28:                             ;   in Loop: Header=BB291_6 Depth=1
	s_branch .LBB291_16
.LBB291_29:                             ;   in Loop: Header=BB291_6 Depth=1
	s_branch .LBB291_20
.LBB291_30:                             ;   in Loop: Header=BB291_6 Depth=1
	s_branch .LBB291_24
.LBB291_31:                             ;   in Loop: Header=BB291_6 Depth=1
.LBB291_32:                             ;   in Loop: Header=BB291_6 Depth=1
	flat_store_b32 v[14:15], v8
	s_branch .LBB291_5
.LBB291_33:
	s_endpgm
	.section	.rodata,"a",@progbits
	.p2align	6, 0x0
	.amdhsa_kernel _ZL29rocblas_internal_gemmt_kernelIiLi16ELi32ELi8ELc84ELc78ELc85ELb0ELb0EfPKfPKS1_PKPfEviT_T9_T10_S7_lS9_S7_lS8_T11_S7_li
		.amdhsa_group_segment_fixed_size 2048
		.amdhsa_private_segment_fixed_size 0
		.amdhsa_kernarg_size 100
		.amdhsa_user_sgpr_count 2
		.amdhsa_user_sgpr_dispatch_ptr 0
		.amdhsa_user_sgpr_queue_ptr 0
		.amdhsa_user_sgpr_kernarg_segment_ptr 1
		.amdhsa_user_sgpr_dispatch_id 0
		.amdhsa_user_sgpr_kernarg_preload_length 0
		.amdhsa_user_sgpr_kernarg_preload_offset 0
		.amdhsa_user_sgpr_private_segment_size 0
		.amdhsa_wavefront_size32 1
		.amdhsa_uses_dynamic_stack 0
		.amdhsa_enable_private_segment 0
		.amdhsa_system_sgpr_workgroup_id_x 1
		.amdhsa_system_sgpr_workgroup_id_y 1
		.amdhsa_system_sgpr_workgroup_id_z 1
		.amdhsa_system_sgpr_workgroup_info 0
		.amdhsa_system_vgpr_workitem_id 1
		.amdhsa_next_free_vgpr 56
		.amdhsa_next_free_sgpr 31
		.amdhsa_named_barrier_count 0
		.amdhsa_reserve_vcc 1
		.amdhsa_float_round_mode_32 0
		.amdhsa_float_round_mode_16_64 0
		.amdhsa_float_denorm_mode_32 3
		.amdhsa_float_denorm_mode_16_64 3
		.amdhsa_fp16_overflow 0
		.amdhsa_memory_ordered 1
		.amdhsa_forward_progress 1
		.amdhsa_inst_pref_size 14
		.amdhsa_round_robin_scheduling 0
		.amdhsa_exception_fp_ieee_invalid_op 0
		.amdhsa_exception_fp_denorm_src 0
		.amdhsa_exception_fp_ieee_div_zero 0
		.amdhsa_exception_fp_ieee_overflow 0
		.amdhsa_exception_fp_ieee_underflow 0
		.amdhsa_exception_fp_ieee_inexact 0
		.amdhsa_exception_int_div_zero 0
	.end_amdhsa_kernel
	.section	.text._ZL29rocblas_internal_gemmt_kernelIiLi16ELi32ELi8ELc84ELc78ELc85ELb0ELb0EfPKfPKS1_PKPfEviT_T9_T10_S7_lS9_S7_lS8_T11_S7_li,"axG",@progbits,_ZL29rocblas_internal_gemmt_kernelIiLi16ELi32ELi8ELc84ELc78ELc85ELb0ELb0EfPKfPKS1_PKPfEviT_T9_T10_S7_lS9_S7_lS8_T11_S7_li,comdat
.Lfunc_end291:
	.size	_ZL29rocblas_internal_gemmt_kernelIiLi16ELi32ELi8ELc84ELc78ELc85ELb0ELb0EfPKfPKS1_PKPfEviT_T9_T10_S7_lS9_S7_lS8_T11_S7_li, .Lfunc_end291-_ZL29rocblas_internal_gemmt_kernelIiLi16ELi32ELi8ELc84ELc78ELc85ELb0ELb0EfPKfPKS1_PKPfEviT_T9_T10_S7_lS9_S7_lS8_T11_S7_li
                                        ; -- End function
	.set _ZL29rocblas_internal_gemmt_kernelIiLi16ELi32ELi8ELc84ELc78ELc85ELb0ELb0EfPKfPKS1_PKPfEviT_T9_T10_S7_lS9_S7_lS8_T11_S7_li.num_vgpr, 56
	.set _ZL29rocblas_internal_gemmt_kernelIiLi16ELi32ELi8ELc84ELc78ELc85ELb0ELb0EfPKfPKS1_PKPfEviT_T9_T10_S7_lS9_S7_lS8_T11_S7_li.num_agpr, 0
	.set _ZL29rocblas_internal_gemmt_kernelIiLi16ELi32ELi8ELc84ELc78ELc85ELb0ELb0EfPKfPKS1_PKPfEviT_T9_T10_S7_lS9_S7_lS8_T11_S7_li.numbered_sgpr, 31
	.set _ZL29rocblas_internal_gemmt_kernelIiLi16ELi32ELi8ELc84ELc78ELc85ELb0ELb0EfPKfPKS1_PKPfEviT_T9_T10_S7_lS9_S7_lS8_T11_S7_li.num_named_barrier, 0
	.set _ZL29rocblas_internal_gemmt_kernelIiLi16ELi32ELi8ELc84ELc78ELc85ELb0ELb0EfPKfPKS1_PKPfEviT_T9_T10_S7_lS9_S7_lS8_T11_S7_li.private_seg_size, 0
	.set _ZL29rocblas_internal_gemmt_kernelIiLi16ELi32ELi8ELc84ELc78ELc85ELb0ELb0EfPKfPKS1_PKPfEviT_T9_T10_S7_lS9_S7_lS8_T11_S7_li.uses_vcc, 1
	.set _ZL29rocblas_internal_gemmt_kernelIiLi16ELi32ELi8ELc84ELc78ELc85ELb0ELb0EfPKfPKS1_PKPfEviT_T9_T10_S7_lS9_S7_lS8_T11_S7_li.uses_flat_scratch, 0
	.set _ZL29rocblas_internal_gemmt_kernelIiLi16ELi32ELi8ELc84ELc78ELc85ELb0ELb0EfPKfPKS1_PKPfEviT_T9_T10_S7_lS9_S7_lS8_T11_S7_li.has_dyn_sized_stack, 0
	.set _ZL29rocblas_internal_gemmt_kernelIiLi16ELi32ELi8ELc84ELc78ELc85ELb0ELb0EfPKfPKS1_PKPfEviT_T9_T10_S7_lS9_S7_lS8_T11_S7_li.has_recursion, 0
	.set _ZL29rocblas_internal_gemmt_kernelIiLi16ELi32ELi8ELc84ELc78ELc85ELb0ELb0EfPKfPKS1_PKPfEviT_T9_T10_S7_lS9_S7_lS8_T11_S7_li.has_indirect_call, 0
	.section	.AMDGPU.csdata,"",@progbits
; Kernel info:
; codeLenInByte = 1696
; TotalNumSgprs: 33
; NumVgprs: 56
; ScratchSize: 0
; MemoryBound: 0
; FloatMode: 240
; IeeeMode: 1
; LDSByteSize: 2048 bytes/workgroup (compile time only)
; SGPRBlocks: 0
; VGPRBlocks: 3
; NumSGPRsForWavesPerEU: 33
; NumVGPRsForWavesPerEU: 56
; NamedBarCnt: 0
; Occupancy: 16
; WaveLimiterHint : 1
; COMPUTE_PGM_RSRC2:SCRATCH_EN: 0
; COMPUTE_PGM_RSRC2:USER_SGPR: 2
; COMPUTE_PGM_RSRC2:TRAP_HANDLER: 0
; COMPUTE_PGM_RSRC2:TGID_X_EN: 1
; COMPUTE_PGM_RSRC2:TGID_Y_EN: 1
; COMPUTE_PGM_RSRC2:TGID_Z_EN: 1
; COMPUTE_PGM_RSRC2:TIDIG_COMP_CNT: 1
	.section	.text._ZL29rocblas_internal_gemmt_kernelIiLi16ELi32ELi8ELc84ELc84ELc85ELb0ELb0EfPKfPKS1_PKPfEviT_T9_T10_S7_lS9_S7_lS8_T11_S7_li,"axG",@progbits,_ZL29rocblas_internal_gemmt_kernelIiLi16ELi32ELi8ELc84ELc84ELc85ELb0ELb0EfPKfPKS1_PKPfEviT_T9_T10_S7_lS9_S7_lS8_T11_S7_li,comdat
	.globl	_ZL29rocblas_internal_gemmt_kernelIiLi16ELi32ELi8ELc84ELc84ELc85ELb0ELb0EfPKfPKS1_PKPfEviT_T9_T10_S7_lS9_S7_lS8_T11_S7_li ; -- Begin function _ZL29rocblas_internal_gemmt_kernelIiLi16ELi32ELi8ELc84ELc84ELc85ELb0ELb0EfPKfPKS1_PKPfEviT_T9_T10_S7_lS9_S7_lS8_T11_S7_li
	.p2align	8
	.type	_ZL29rocblas_internal_gemmt_kernelIiLi16ELi32ELi8ELc84ELc84ELc85ELb0ELb0EfPKfPKS1_PKPfEviT_T9_T10_S7_lS9_S7_lS8_T11_S7_li,@function
_ZL29rocblas_internal_gemmt_kernelIiLi16ELi32ELi8ELc84ELc84ELc85ELb0ELb0EfPKfPKS1_PKPfEviT_T9_T10_S7_lS9_S7_lS8_T11_S7_li: ; @_ZL29rocblas_internal_gemmt_kernelIiLi16ELi32ELi8ELc84ELc84ELc85ELb0ELb0EfPKfPKS1_PKPfEviT_T9_T10_S7_lS9_S7_lS8_T11_S7_li
; %bb.0:
	s_clause 0x1
	s_load_b128 s[12:15], s[0:1], 0x38
	s_load_b128 s[4:7], s[0:1], 0x8
	s_wait_kmcnt 0x0
	s_load_b32 s19, s[14:15], 0x0
	s_load_b64 s[20:21], s[0:1], 0x0
	s_load_b32 s24, s[4:5], 0x0
	s_wait_kmcnt 0x0
	s_cmp_neq_f32 s19, 1.0
	s_cselect_b32 s2, -1, 0
	s_delay_alu instid0(SALU_CYCLE_1)
	s_and_b32 vcc_lo, exec_lo, s2
	s_cbranch_vccnz .LBB292_2
; %bb.1:
	s_cmp_lg_u32 s21, 0
	s_cselect_b32 s2, -1, 0
	s_cmp_neq_f32 s24, 0
	s_cselect_b32 s3, -1, 0
	s_delay_alu instid0(SALU_CYCLE_1)
	s_and_b32 s2, s2, s3
.LBB292_2:
	s_delay_alu instid0(SALU_CYCLE_1)
	s_and_not1_b32 vcc_lo, exec_lo, s2
	s_cbranch_vccnz .LBB292_33
; %bb.3:
	s_load_b32 s25, s[0:1], 0x60
	s_bfe_u32 s2, ttmp6, 0x40014
	s_lshr_b32 s3, ttmp7, 16
	s_add_co_i32 s2, s2, 1
	s_bfe_u32 s4, ttmp6, 0x40008
	s_mul_i32 s2, s3, s2
	s_getreg_b32 s26, hwreg(HW_REG_IB_STS2, 6, 4)
	s_add_co_i32 s4, s4, s2
	s_cmp_eq_u32 s26, 0
	s_mov_b32 s5, 0
	s_cselect_b32 s4, s3, s4
	s_wait_kmcnt 0x0
	s_cmp_ge_u32 s4, s25
	s_cbranch_scc1 .LBB292_33
; %bb.4:
	s_clause 0x3
	s_load_b32 s2, s[0:1], 0x18
	s_load_b32 s14, s[0:1], 0x30
	s_load_b96 s[16:18], s[0:1], 0x48
	s_load_b128 s[8:11], s[0:1], 0x20
	v_and_b32_e32 v2, 0x3ff, v0
	v_bfe_u32 v11, v0, 10, 10
	s_load_b64 s[22:23], s[0:1], 0x58
	s_wait_xcnt 0x0
	s_bfe_u32 s1, ttmp6, 0x4000c
	s_bfe_u32 s3, ttmp6, 0x40010
	s_and_b32 s28, ttmp7, 0xffff
	s_add_co_i32 s1, s1, 1
	s_add_co_i32 s3, s3, 1
	v_lshl_add_u32 v1, v11, 4, v2
	s_and_b32 s0, ttmp6, 15
	s_mul_i32 s1, ttmp9, s1
	s_mul_i32 s29, s28, s3
	s_bfe_u32 s30, ttmp6, 0x40004
	s_add_co_i32 s0, s0, s1
	s_add_co_i32 s30, s30, s29
	v_dual_lshrrev_b32 v7, 3, v1 :: v_dual_bitop2_b32 v6, 31, v1 bitop3:0x40
	s_wait_kmcnt 0x0
	s_ashr_i32 s3, s2, 31
	s_ashr_i32 s15, s14, 31
	s_ashr_i32 s27, s18, 31
	s_cmp_eq_u32 s26, 0
	v_dual_lshrrev_b32 v26, 5, v1 :: v_dual_bitop2_b32 v0, 7, v0 bitop3:0x40
	s_cselect_b32 s0, ttmp9, s0
	s_cselect_b32 s1, s28, s30
	s_lshl_b32 s28, s0, 5
	s_delay_alu instid0(SALU_CYCLE_1) | instskip(SKIP_2) | instid1(VALU_DEP_1)
	v_dual_mov_b32 v3, 0 :: v_dual_bitop2_b32 v4, s28, v6 bitop3:0x54
	s_lshl_b32 s0, s1, 5
	s_mov_b32 s26, s18
	v_dual_mov_b32 v1, v3 :: v_dual_add_nc_u32 v12, s0, v11
	s_delay_alu instid0(VALU_DEP_2) | instskip(SKIP_1) | instid1(VALU_DEP_3)
	v_dual_ashrrev_i32 v5, 31, v4 :: v_dual_add_nc_u32 v14, s0, v7
	v_cmp_gt_i32_e64 s0, s20, v4
	v_add_nc_u32_e32 v20, 16, v12
	s_delay_alu instid0(VALU_DEP_4) | instskip(NEXT) | instid1(VALU_DEP_4)
	v_mul_u64_e32 v[18:19], s[14:15], v[0:1]
	v_mul_u64_e32 v[16:17], s[2:3], v[4:5]
	v_dual_lshlrev_b32 v5, 2, v6 :: v_dual_lshlrev_b32 v6, 2, v0
	v_dual_add_nc_u32 v4, s28, v2 :: v_dual_ashrrev_i32 v13, 31, v12
	v_dual_ashrrev_i32 v15, 31, v14 :: v_dual_ashrrev_i32 v21, 31, v20
	v_lshlrev_b32_e32 v28, 2, v2
	s_delay_alu instid0(VALU_DEP_4)
	v_lshl_or_b32 v1, v26, 7, v5
	v_lshl_or_b32 v5, v7, 5, v6
	v_mul_u64_e32 v[6:7], s[26:27], v[12:13]
	v_mul_u64_e32 v[8:9], s[26:27], v[20:21]
	s_cmp_neq_f32 s24, 0
	v_add_nc_u32_e32 v10, 16, v4
	v_add_nc_u32_e32 v27, 0x400, v5
	v_cmp_gt_i32_e32 vcc_lo, s20, v12
	s_cselect_b32 s29, -1, 0
	s_cmp_gt_i32 s21, 0
	v_cmp_le_i32_e64 s2, v4, v12
	s_cselect_b32 s30, -1, 0
	s_cmp_neq_f32 s19, 0
	v_ashrrev_i32_e32 v5, 31, v4
	v_cmp_le_i32_e64 s3, v10, v12
	v_lshlrev_b32_e32 v2, 2, v26
	s_cselect_b32 s18, -1, 0
	s_lshl_b64 s[8:9], s[8:9], 2
	s_and_b32 s26, vcc_lo, s2
	s_and_b32 s27, vcc_lo, s3
	v_cmp_gt_i32_e32 vcc_lo, s20, v20
	v_cmp_le_i32_e64 s2, v4, v20
	v_cmp_gt_i32_e64 s1, s20, v14
	v_lshl_add_u32 v29, v11, 5, 0x400
	v_lshl_add_u64 v[12:13], v[16:17], 2, s[8:9]
	s_lshl_b64 s[8:9], s[12:13], 2
	s_and_b32 s12, vcc_lo, s2
	v_lshl_add_u64 v[16:17], v[18:19], 2, s[8:9]
	v_cmp_le_i32_e64 s2, v10, v20
	v_add_nc_u64_e32 v[12:13], v[12:13], v[2:3]
	v_ashrrev_i32_e32 v11, 31, v10
	s_and_b32 s13, s29, s30
	v_lshl_add_u64 v[14:15], v[14:15], 2, v[16:17]
	s_and_b32 s20, vcc_lo, s2
	s_lshl_b64 s[2:3], s[14:15], 5
	s_lshl_b64 s[8:9], s[22:23], 2
	s_branch .LBB292_6
.LBB292_5:                              ;   in Loop: Header=BB292_6 Depth=1
	s_wait_xcnt 0x0
	s_or_b32 exec_lo, exec_lo, s14
	s_add_co_i32 s4, s4, 0x10000
	s_delay_alu instid0(SALU_CYCLE_1)
	s_cmp_lt_u32 s4, s25
	s_cbranch_scc0 .LBB292_33
.LBB292_6:                              ; =>This Loop Header: Depth=1
                                        ;     Child Loop BB292_9 Depth 2
	v_dual_mov_b32 v2, s4 :: v_dual_mov_b32 v25, 0
	v_dual_mov_b32 v24, 0 :: v_dual_mov_b32 v17, 0
	v_mov_b32_e32 v16, 0
	global_load_b64 v[18:19], v2, s[16:17] scale_offset
	s_and_not1_b32 vcc_lo, exec_lo, s13
	s_cbranch_vccnz .LBB292_13
; %bb.7:                                ;   in Loop: Header=BB292_6 Depth=1
	s_lshl_b64 s[14:15], s[4:5], 3
	v_mov_b32_e32 v16, 0
	s_add_nc_u64 s[22:23], s[6:7], s[14:15]
	s_add_nc_u64 s[14:15], s[10:11], s[14:15]
	s_clause 0x1
	global_load_b64 v[20:21], v3, s[22:23]
	global_load_b64 v[22:23], v3, s[14:15]
	s_wait_xcnt 0x0
	s_mov_b32 s14, 0
	v_dual_mov_b32 v17, v16 :: v_dual_mov_b32 v24, v16
	v_mov_b32_e32 v25, v16
	s_wait_loadcnt 0x1
	v_add_nc_u64_e32 v[20:21], v[20:21], v[12:13]
	s_wait_loadcnt 0x0
	v_add_nc_u64_e32 v[22:23], v[22:23], v[14:15]
	s_branch .LBB292_9
.LBB292_8:                              ;   in Loop: Header=BB292_9 Depth=2
	s_wait_xcnt 0x0
	s_or_b32 exec_lo, exec_lo, s15
	s_wait_loadcnt_dscnt 0x0
	ds_store_b32 v27, v30
	s_wait_dscnt 0x0
	s_barrier_signal -1
	s_barrier_wait -1
	ds_load_b128 v[30:33], v29
	ds_load_2addr_b32 v[46:47], v28 offset1:16
	ds_load_b128 v[34:37], v29 offset:512
	ds_load_2addr_b32 v[48:49], v28 offset0:32 offset1:48
	ds_load_2addr_b32 v[50:51], v28 offset0:64 offset1:80
	;; [unrolled: 1-line block ×3, first 2 shown]
	ds_load_b128 v[38:41], v29 offset:16
	ds_load_2addr_b32 v[54:55], v28 offset0:128 offset1:144
	ds_load_b128 v[42:45], v29 offset:528
	v_add_nc_u64_e32 v[20:21], 32, v[20:21]
	v_add_nc_u64_e32 v[22:23], s[2:3], v[22:23]
	s_add_co_i32 s14, s14, 8
	s_delay_alu instid0(SALU_CYCLE_1)
	s_cmp_lt_i32 s14, s21
	s_wait_dscnt 0x8
	v_mov_b32_e32 v2, v33
	s_wait_dscnt 0x7
	v_pk_fma_f32 v[24:25], v[46:47], v[30:31], v[24:25] op_sel_hi:[1,0,1]
	s_wait_dscnt 0x6
	v_pk_fma_f32 v[16:17], v[46:47], v[34:35], v[16:17] op_sel_hi:[1,0,1]
	ds_load_2addr_b32 v[46:47], v28 offset0:160 offset1:176
	s_wait_dscnt 0x6
	v_pk_fma_f32 v[24:25], v[48:49], v[30:31], v[24:25] op_sel:[0,1,0]
	v_pk_fma_f32 v[16:17], v[48:49], v[34:35], v[16:17] op_sel:[0,1,0]
	ds_load_2addr_b32 v[30:31], v28 offset0:192 offset1:208
	v_mov_b32_e32 v34, v37
	s_wait_dscnt 0x6
	v_pk_fma_f32 v[24:25], v[50:51], v[32:33], v[24:25] op_sel_hi:[1,0,1]
	v_pk_fma_f32 v[16:17], v[50:51], v[36:37], v[16:17] op_sel_hi:[1,0,1]
	ds_load_2addr_b32 v[32:33], v28 offset0:224 offset1:240
	s_wait_dscnt 0x0
	s_barrier_signal -1
	v_pk_fma_f32 v[24:25], v[52:53], v[2:3], v[24:25] op_sel_hi:[1,0,1]
	v_pk_fma_f32 v[16:17], v[52:53], v[34:35], v[16:17] op_sel_hi:[1,0,1]
	v_dual_mov_b32 v2, v41 :: v_dual_mov_b32 v34, v45
	s_barrier_wait -1
	s_delay_alu instid0(VALU_DEP_3) | instskip(NEXT) | instid1(VALU_DEP_3)
	v_pk_fma_f32 v[24:25], v[54:55], v[38:39], v[24:25] op_sel_hi:[1,0,1]
	v_pk_fma_f32 v[16:17], v[54:55], v[42:43], v[16:17] op_sel_hi:[1,0,1]
	s_delay_alu instid0(VALU_DEP_2) | instskip(NEXT) | instid1(VALU_DEP_2)
	v_pk_fma_f32 v[24:25], v[46:47], v[38:39], v[24:25] op_sel:[0,1,0]
	v_pk_fma_f32 v[16:17], v[46:47], v[42:43], v[16:17] op_sel:[0,1,0]
	s_delay_alu instid0(VALU_DEP_2) | instskip(NEXT) | instid1(VALU_DEP_2)
	v_pk_fma_f32 v[24:25], v[30:31], v[40:41], v[24:25] op_sel_hi:[1,0,1]
	v_pk_fma_f32 v[16:17], v[30:31], v[44:45], v[16:17] op_sel_hi:[1,0,1]
	s_delay_alu instid0(VALU_DEP_2) | instskip(NEXT) | instid1(VALU_DEP_2)
	v_pk_fma_f32 v[24:25], v[32:33], v[2:3], v[24:25] op_sel_hi:[1,0,1]
	v_pk_fma_f32 v[16:17], v[32:33], v[34:35], v[16:17] op_sel_hi:[1,0,1]
	s_cbranch_scc0 .LBB292_13
.LBB292_9:                              ;   Parent Loop BB292_6 Depth=1
                                        ; =>  This Inner Loop Header: Depth=2
	v_add_nc_u32_e32 v2, s14, v26
	s_delay_alu instid0(VALU_DEP_1) | instskip(SKIP_2) | instid1(SALU_CYCLE_1)
	v_cmp_gt_i32_e32 vcc_lo, s21, v2
	v_mov_b32_e32 v2, 0
	s_and_b32 s22, s0, vcc_lo
	s_and_saveexec_b32 s15, s22
	s_cbranch_execz .LBB292_11
; %bb.10:                               ;   in Loop: Header=BB292_9 Depth=2
	flat_load_b32 v2, v[20:21]
.LBB292_11:                             ;   in Loop: Header=BB292_9 Depth=2
	s_wait_xcnt 0x0
	s_or_b32 exec_lo, exec_lo, s15
	v_add_nc_u32_e32 v30, s14, v0
	s_wait_loadcnt_dscnt 0x0
	ds_store_b32 v1, v2
	v_cmp_gt_i32_e32 vcc_lo, s21, v30
	v_mov_b32_e32 v30, 0
	s_and_b32 s22, vcc_lo, s1
	s_delay_alu instid0(SALU_CYCLE_1)
	s_and_saveexec_b32 s15, s22
	s_cbranch_execz .LBB292_8
; %bb.12:                               ;   in Loop: Header=BB292_9 Depth=2
	flat_load_b32 v30, v[22:23]
	s_branch .LBB292_8
.LBB292_13:                             ;   in Loop: Header=BB292_6 Depth=1
	s_wait_loadcnt 0x0
	v_add_nc_u64_e32 v[18:19], s[8:9], v[18:19]
	s_delay_alu instid0(VALU_DEP_1)
	v_lshl_add_u64 v[20:21], v[6:7], 2, v[18:19]
	s_wait_xcnt 0x0
	s_and_saveexec_b32 s14, s26
	s_cbranch_execz .LBB292_17
; %bb.14:                               ;   in Loop: Header=BB292_6 Depth=1
	v_mul_f32_e32 v2, s24, v24
	v_lshl_add_u64 v[22:23], v[4:5], 2, v[20:21]
	s_and_b32 vcc_lo, exec_lo, s18
	s_cbranch_vccz .LBB292_28
; %bb.15:                               ;   in Loop: Header=BB292_6 Depth=1
	flat_load_b32 v24, v[22:23]
	s_wait_loadcnt_dscnt 0x0
	v_fma_f32 v24, s19, v24, v2
	flat_store_b32 v[22:23], v24
	s_cbranch_execnz .LBB292_17
.LBB292_16:                             ;   in Loop: Header=BB292_6 Depth=1
	flat_store_b32 v[22:23], v2
.LBB292_17:                             ;   in Loop: Header=BB292_6 Depth=1
	s_wait_xcnt 0x0
	s_or_b32 exec_lo, exec_lo, s14
	s_and_saveexec_b32 s14, s27
	s_cbranch_execz .LBB292_21
; %bb.18:                               ;   in Loop: Header=BB292_6 Depth=1
	v_mul_f32_e32 v2, s24, v25
	v_lshl_add_u64 v[20:21], v[10:11], 2, v[20:21]
	s_and_not1_b32 vcc_lo, exec_lo, s18
	s_cbranch_vccnz .LBB292_29
; %bb.19:                               ;   in Loop: Header=BB292_6 Depth=1
	flat_load_b32 v22, v[20:21]
	s_wait_loadcnt_dscnt 0x0
	v_fma_f32 v22, s19, v22, v2
	flat_store_b32 v[20:21], v22
	s_cbranch_execnz .LBB292_21
.LBB292_20:                             ;   in Loop: Header=BB292_6 Depth=1
	flat_store_b32 v[20:21], v2
.LBB292_21:                             ;   in Loop: Header=BB292_6 Depth=1
	s_wait_xcnt 0x0
	s_or_b32 exec_lo, exec_lo, s14
	v_lshl_add_u64 v[18:19], v[8:9], 2, v[18:19]
	s_and_saveexec_b32 s14, s12
	s_cbranch_execz .LBB292_25
; %bb.22:                               ;   in Loop: Header=BB292_6 Depth=1
	v_mul_f32_e32 v2, s24, v16
	s_delay_alu instid0(VALU_DEP_2)
	v_lshl_add_u64 v[20:21], v[4:5], 2, v[18:19]
	s_and_not1_b32 vcc_lo, exec_lo, s18
	s_cbranch_vccnz .LBB292_30
; %bb.23:                               ;   in Loop: Header=BB292_6 Depth=1
	flat_load_b32 v16, v[20:21]
	s_wait_loadcnt_dscnt 0x0
	v_fma_f32 v16, s19, v16, v2
	flat_store_b32 v[20:21], v16
	s_cbranch_execnz .LBB292_25
.LBB292_24:                             ;   in Loop: Header=BB292_6 Depth=1
	flat_store_b32 v[20:21], v2
.LBB292_25:                             ;   in Loop: Header=BB292_6 Depth=1
	s_wait_xcnt 0x0
	s_or_b32 exec_lo, exec_lo, s14
	s_and_saveexec_b32 s14, s20
	s_cbranch_execz .LBB292_5
; %bb.26:                               ;   in Loop: Header=BB292_6 Depth=1
	v_mul_f32_e32 v2, s24, v17
	v_lshl_add_u64 v[16:17], v[10:11], 2, v[18:19]
	s_and_not1_b32 vcc_lo, exec_lo, s18
	s_cbranch_vccnz .LBB292_31
; %bb.27:                               ;   in Loop: Header=BB292_6 Depth=1
	flat_load_b32 v18, v[16:17]
	s_wait_loadcnt_dscnt 0x0
	v_fma_f32 v18, s19, v18, v2
	flat_store_b32 v[16:17], v18
	s_cbranch_execnz .LBB292_5
	s_branch .LBB292_32
.LBB292_28:                             ;   in Loop: Header=BB292_6 Depth=1
	s_branch .LBB292_16
.LBB292_29:                             ;   in Loop: Header=BB292_6 Depth=1
	s_branch .LBB292_20
.LBB292_30:                             ;   in Loop: Header=BB292_6 Depth=1
	s_branch .LBB292_24
.LBB292_31:                             ;   in Loop: Header=BB292_6 Depth=1
.LBB292_32:                             ;   in Loop: Header=BB292_6 Depth=1
	flat_store_b32 v[16:17], v2
	s_branch .LBB292_5
.LBB292_33:
	s_endpgm
	.section	.rodata,"a",@progbits
	.p2align	6, 0x0
	.amdhsa_kernel _ZL29rocblas_internal_gemmt_kernelIiLi16ELi32ELi8ELc84ELc84ELc85ELb0ELb0EfPKfPKS1_PKPfEviT_T9_T10_S7_lS9_S7_lS8_T11_S7_li
		.amdhsa_group_segment_fixed_size 2048
		.amdhsa_private_segment_fixed_size 0
		.amdhsa_kernarg_size 100
		.amdhsa_user_sgpr_count 2
		.amdhsa_user_sgpr_dispatch_ptr 0
		.amdhsa_user_sgpr_queue_ptr 0
		.amdhsa_user_sgpr_kernarg_segment_ptr 1
		.amdhsa_user_sgpr_dispatch_id 0
		.amdhsa_user_sgpr_kernarg_preload_length 0
		.amdhsa_user_sgpr_kernarg_preload_offset 0
		.amdhsa_user_sgpr_private_segment_size 0
		.amdhsa_wavefront_size32 1
		.amdhsa_uses_dynamic_stack 0
		.amdhsa_enable_private_segment 0
		.amdhsa_system_sgpr_workgroup_id_x 1
		.amdhsa_system_sgpr_workgroup_id_y 1
		.amdhsa_system_sgpr_workgroup_id_z 1
		.amdhsa_system_sgpr_workgroup_info 0
		.amdhsa_system_vgpr_workitem_id 1
		.amdhsa_next_free_vgpr 56
		.amdhsa_next_free_sgpr 31
		.amdhsa_named_barrier_count 0
		.amdhsa_reserve_vcc 1
		.amdhsa_float_round_mode_32 0
		.amdhsa_float_round_mode_16_64 0
		.amdhsa_float_denorm_mode_32 3
		.amdhsa_float_denorm_mode_16_64 3
		.amdhsa_fp16_overflow 0
		.amdhsa_memory_ordered 1
		.amdhsa_forward_progress 1
		.amdhsa_inst_pref_size 14
		.amdhsa_round_robin_scheduling 0
		.amdhsa_exception_fp_ieee_invalid_op 0
		.amdhsa_exception_fp_denorm_src 0
		.amdhsa_exception_fp_ieee_div_zero 0
		.amdhsa_exception_fp_ieee_overflow 0
		.amdhsa_exception_fp_ieee_underflow 0
		.amdhsa_exception_fp_ieee_inexact 0
		.amdhsa_exception_int_div_zero 0
	.end_amdhsa_kernel
	.section	.text._ZL29rocblas_internal_gemmt_kernelIiLi16ELi32ELi8ELc84ELc84ELc85ELb0ELb0EfPKfPKS1_PKPfEviT_T9_T10_S7_lS9_S7_lS8_T11_S7_li,"axG",@progbits,_ZL29rocblas_internal_gemmt_kernelIiLi16ELi32ELi8ELc84ELc84ELc85ELb0ELb0EfPKfPKS1_PKPfEviT_T9_T10_S7_lS9_S7_lS8_T11_S7_li,comdat
.Lfunc_end292:
	.size	_ZL29rocblas_internal_gemmt_kernelIiLi16ELi32ELi8ELc84ELc84ELc85ELb0ELb0EfPKfPKS1_PKPfEviT_T9_T10_S7_lS9_S7_lS8_T11_S7_li, .Lfunc_end292-_ZL29rocblas_internal_gemmt_kernelIiLi16ELi32ELi8ELc84ELc84ELc85ELb0ELb0EfPKfPKS1_PKPfEviT_T9_T10_S7_lS9_S7_lS8_T11_S7_li
                                        ; -- End function
	.set _ZL29rocblas_internal_gemmt_kernelIiLi16ELi32ELi8ELc84ELc84ELc85ELb0ELb0EfPKfPKS1_PKPfEviT_T9_T10_S7_lS9_S7_lS8_T11_S7_li.num_vgpr, 56
	.set _ZL29rocblas_internal_gemmt_kernelIiLi16ELi32ELi8ELc84ELc84ELc85ELb0ELb0EfPKfPKS1_PKPfEviT_T9_T10_S7_lS9_S7_lS8_T11_S7_li.num_agpr, 0
	.set _ZL29rocblas_internal_gemmt_kernelIiLi16ELi32ELi8ELc84ELc84ELc85ELb0ELb0EfPKfPKS1_PKPfEviT_T9_T10_S7_lS9_S7_lS8_T11_S7_li.numbered_sgpr, 31
	.set _ZL29rocblas_internal_gemmt_kernelIiLi16ELi32ELi8ELc84ELc84ELc85ELb0ELb0EfPKfPKS1_PKPfEviT_T9_T10_S7_lS9_S7_lS8_T11_S7_li.num_named_barrier, 0
	.set _ZL29rocblas_internal_gemmt_kernelIiLi16ELi32ELi8ELc84ELc84ELc85ELb0ELb0EfPKfPKS1_PKPfEviT_T9_T10_S7_lS9_S7_lS8_T11_S7_li.private_seg_size, 0
	.set _ZL29rocblas_internal_gemmt_kernelIiLi16ELi32ELi8ELc84ELc84ELc85ELb0ELb0EfPKfPKS1_PKPfEviT_T9_T10_S7_lS9_S7_lS8_T11_S7_li.uses_vcc, 1
	.set _ZL29rocblas_internal_gemmt_kernelIiLi16ELi32ELi8ELc84ELc84ELc85ELb0ELb0EfPKfPKS1_PKPfEviT_T9_T10_S7_lS9_S7_lS8_T11_S7_li.uses_flat_scratch, 0
	.set _ZL29rocblas_internal_gemmt_kernelIiLi16ELi32ELi8ELc84ELc84ELc85ELb0ELb0EfPKfPKS1_PKPfEviT_T9_T10_S7_lS9_S7_lS8_T11_S7_li.has_dyn_sized_stack, 0
	.set _ZL29rocblas_internal_gemmt_kernelIiLi16ELi32ELi8ELc84ELc84ELc85ELb0ELb0EfPKfPKS1_PKPfEviT_T9_T10_S7_lS9_S7_lS8_T11_S7_li.has_recursion, 0
	.set _ZL29rocblas_internal_gemmt_kernelIiLi16ELi32ELi8ELc84ELc84ELc85ELb0ELb0EfPKfPKS1_PKPfEviT_T9_T10_S7_lS9_S7_lS8_T11_S7_li.has_indirect_call, 0
	.section	.AMDGPU.csdata,"",@progbits
; Kernel info:
; codeLenInByte = 1688
; TotalNumSgprs: 33
; NumVgprs: 56
; ScratchSize: 0
; MemoryBound: 0
; FloatMode: 240
; IeeeMode: 1
; LDSByteSize: 2048 bytes/workgroup (compile time only)
; SGPRBlocks: 0
; VGPRBlocks: 3
; NumSGPRsForWavesPerEU: 33
; NumVGPRsForWavesPerEU: 56
; NamedBarCnt: 0
; Occupancy: 16
; WaveLimiterHint : 1
; COMPUTE_PGM_RSRC2:SCRATCH_EN: 0
; COMPUTE_PGM_RSRC2:USER_SGPR: 2
; COMPUTE_PGM_RSRC2:TRAP_HANDLER: 0
; COMPUTE_PGM_RSRC2:TGID_X_EN: 1
; COMPUTE_PGM_RSRC2:TGID_Y_EN: 1
; COMPUTE_PGM_RSRC2:TGID_Z_EN: 1
; COMPUTE_PGM_RSRC2:TIDIG_COMP_CNT: 1
	.section	.text._ZL29rocblas_internal_gemmt_kernelIiLi16ELi32ELi8ELc84ELc67ELc85ELb0ELb0EfPKfPKS1_PKPfEviT_T9_T10_S7_lS9_S7_lS8_T11_S7_li,"axG",@progbits,_ZL29rocblas_internal_gemmt_kernelIiLi16ELi32ELi8ELc84ELc67ELc85ELb0ELb0EfPKfPKS1_PKPfEviT_T9_T10_S7_lS9_S7_lS8_T11_S7_li,comdat
	.globl	_ZL29rocblas_internal_gemmt_kernelIiLi16ELi32ELi8ELc84ELc67ELc85ELb0ELb0EfPKfPKS1_PKPfEviT_T9_T10_S7_lS9_S7_lS8_T11_S7_li ; -- Begin function _ZL29rocblas_internal_gemmt_kernelIiLi16ELi32ELi8ELc84ELc67ELc85ELb0ELb0EfPKfPKS1_PKPfEviT_T9_T10_S7_lS9_S7_lS8_T11_S7_li
	.p2align	8
	.type	_ZL29rocblas_internal_gemmt_kernelIiLi16ELi32ELi8ELc84ELc67ELc85ELb0ELb0EfPKfPKS1_PKPfEviT_T9_T10_S7_lS9_S7_lS8_T11_S7_li,@function
_ZL29rocblas_internal_gemmt_kernelIiLi16ELi32ELi8ELc84ELc67ELc85ELb0ELb0EfPKfPKS1_PKPfEviT_T9_T10_S7_lS9_S7_lS8_T11_S7_li: ; @_ZL29rocblas_internal_gemmt_kernelIiLi16ELi32ELi8ELc84ELc67ELc85ELb0ELb0EfPKfPKS1_PKPfEviT_T9_T10_S7_lS9_S7_lS8_T11_S7_li
; %bb.0:
	s_clause 0x1
	s_load_b128 s[12:15], s[0:1], 0x38
	s_load_b128 s[4:7], s[0:1], 0x8
	s_wait_kmcnt 0x0
	s_load_b32 s19, s[14:15], 0x0
	s_load_b64 s[20:21], s[0:1], 0x0
	s_load_b32 s24, s[4:5], 0x0
	s_wait_kmcnt 0x0
	s_cmp_neq_f32 s19, 1.0
	s_cselect_b32 s2, -1, 0
	s_delay_alu instid0(SALU_CYCLE_1)
	s_and_b32 vcc_lo, exec_lo, s2
	s_cbranch_vccnz .LBB293_2
; %bb.1:
	s_cmp_lg_u32 s21, 0
	s_cselect_b32 s2, -1, 0
	s_cmp_neq_f32 s24, 0
	s_cselect_b32 s3, -1, 0
	s_delay_alu instid0(SALU_CYCLE_1)
	s_and_b32 s2, s2, s3
.LBB293_2:
	s_delay_alu instid0(SALU_CYCLE_1)
	s_and_not1_b32 vcc_lo, exec_lo, s2
	s_cbranch_vccnz .LBB293_33
; %bb.3:
	s_load_b32 s25, s[0:1], 0x60
	s_bfe_u32 s2, ttmp6, 0x40014
	s_lshr_b32 s3, ttmp7, 16
	s_add_co_i32 s2, s2, 1
	s_bfe_u32 s4, ttmp6, 0x40008
	s_mul_i32 s2, s3, s2
	s_getreg_b32 s26, hwreg(HW_REG_IB_STS2, 6, 4)
	s_add_co_i32 s4, s4, s2
	s_cmp_eq_u32 s26, 0
	s_mov_b32 s5, 0
	s_cselect_b32 s4, s3, s4
	s_wait_kmcnt 0x0
	s_cmp_ge_u32 s4, s25
	s_cbranch_scc1 .LBB293_33
; %bb.4:
	s_clause 0x3
	s_load_b32 s2, s[0:1], 0x18
	s_load_b32 s14, s[0:1], 0x30
	s_load_b96 s[16:18], s[0:1], 0x48
	s_load_b128 s[8:11], s[0:1], 0x20
	v_and_b32_e32 v2, 0x3ff, v0
	v_bfe_u32 v11, v0, 10, 10
	s_load_b64 s[22:23], s[0:1], 0x58
	s_wait_xcnt 0x0
	s_bfe_u32 s1, ttmp6, 0x4000c
	s_bfe_u32 s3, ttmp6, 0x40010
	s_and_b32 s28, ttmp7, 0xffff
	s_add_co_i32 s1, s1, 1
	s_add_co_i32 s3, s3, 1
	v_lshl_add_u32 v1, v11, 4, v2
	s_and_b32 s0, ttmp6, 15
	s_mul_i32 s1, ttmp9, s1
	s_mul_i32 s29, s28, s3
	s_bfe_u32 s30, ttmp6, 0x40004
	s_add_co_i32 s0, s0, s1
	s_add_co_i32 s30, s30, s29
	v_dual_lshrrev_b32 v7, 3, v1 :: v_dual_bitop2_b32 v6, 31, v1 bitop3:0x40
	s_wait_kmcnt 0x0
	s_ashr_i32 s3, s2, 31
	s_ashr_i32 s15, s14, 31
	;; [unrolled: 1-line block ×3, first 2 shown]
	s_cmp_eq_u32 s26, 0
	v_dual_lshrrev_b32 v26, 5, v1 :: v_dual_bitop2_b32 v0, 7, v0 bitop3:0x40
	s_cselect_b32 s0, ttmp9, s0
	s_cselect_b32 s1, s28, s30
	s_lshl_b32 s28, s0, 5
	s_delay_alu instid0(SALU_CYCLE_1) | instskip(SKIP_2) | instid1(VALU_DEP_1)
	v_dual_mov_b32 v3, 0 :: v_dual_bitop2_b32 v4, s28, v6 bitop3:0x54
	s_lshl_b32 s0, s1, 5
	s_mov_b32 s26, s18
	v_dual_mov_b32 v1, v3 :: v_dual_add_nc_u32 v12, s0, v11
	s_delay_alu instid0(VALU_DEP_2) | instskip(SKIP_1) | instid1(VALU_DEP_3)
	v_dual_ashrrev_i32 v5, 31, v4 :: v_dual_add_nc_u32 v14, s0, v7
	v_cmp_gt_i32_e64 s0, s20, v4
	v_add_nc_u32_e32 v20, 16, v12
	s_delay_alu instid0(VALU_DEP_4) | instskip(NEXT) | instid1(VALU_DEP_4)
	v_mul_u64_e32 v[18:19], s[14:15], v[0:1]
	v_mul_u64_e32 v[16:17], s[2:3], v[4:5]
	v_dual_lshlrev_b32 v5, 2, v6 :: v_dual_lshlrev_b32 v6, 2, v0
	v_dual_add_nc_u32 v4, s28, v2 :: v_dual_ashrrev_i32 v13, 31, v12
	v_dual_ashrrev_i32 v15, 31, v14 :: v_dual_ashrrev_i32 v21, 31, v20
	v_lshlrev_b32_e32 v28, 2, v2
	s_delay_alu instid0(VALU_DEP_4)
	v_lshl_or_b32 v1, v26, 7, v5
	v_lshl_or_b32 v5, v7, 5, v6
	v_mul_u64_e32 v[6:7], s[26:27], v[12:13]
	v_mul_u64_e32 v[8:9], s[26:27], v[20:21]
	s_cmp_neq_f32 s24, 0
	v_add_nc_u32_e32 v10, 16, v4
	v_add_nc_u32_e32 v27, 0x400, v5
	v_cmp_gt_i32_e32 vcc_lo, s20, v12
	s_cselect_b32 s29, -1, 0
	s_cmp_gt_i32 s21, 0
	v_cmp_le_i32_e64 s2, v4, v12
	s_cselect_b32 s30, -1, 0
	s_cmp_neq_f32 s19, 0
	v_ashrrev_i32_e32 v5, 31, v4
	v_cmp_le_i32_e64 s3, v10, v12
	v_lshlrev_b32_e32 v2, 2, v26
	s_cselect_b32 s18, -1, 0
	s_lshl_b64 s[8:9], s[8:9], 2
	s_and_b32 s26, vcc_lo, s2
	s_and_b32 s27, vcc_lo, s3
	v_cmp_gt_i32_e32 vcc_lo, s20, v20
	v_cmp_le_i32_e64 s2, v4, v20
	v_cmp_gt_i32_e64 s1, s20, v14
	v_lshl_add_u32 v29, v11, 5, 0x400
	v_lshl_add_u64 v[12:13], v[16:17], 2, s[8:9]
	s_lshl_b64 s[8:9], s[12:13], 2
	s_and_b32 s12, vcc_lo, s2
	v_lshl_add_u64 v[16:17], v[18:19], 2, s[8:9]
	v_cmp_le_i32_e64 s2, v10, v20
	v_add_nc_u64_e32 v[12:13], v[12:13], v[2:3]
	v_ashrrev_i32_e32 v11, 31, v10
	s_and_b32 s13, s29, s30
	v_lshl_add_u64 v[14:15], v[14:15], 2, v[16:17]
	s_and_b32 s20, vcc_lo, s2
	s_lshl_b64 s[2:3], s[14:15], 5
	s_lshl_b64 s[8:9], s[22:23], 2
	s_branch .LBB293_6
.LBB293_5:                              ;   in Loop: Header=BB293_6 Depth=1
	s_wait_xcnt 0x0
	s_or_b32 exec_lo, exec_lo, s14
	s_add_co_i32 s4, s4, 0x10000
	s_delay_alu instid0(SALU_CYCLE_1)
	s_cmp_lt_u32 s4, s25
	s_cbranch_scc0 .LBB293_33
.LBB293_6:                              ; =>This Loop Header: Depth=1
                                        ;     Child Loop BB293_9 Depth 2
	v_dual_mov_b32 v2, s4 :: v_dual_mov_b32 v25, 0
	v_dual_mov_b32 v24, 0 :: v_dual_mov_b32 v17, 0
	v_mov_b32_e32 v16, 0
	global_load_b64 v[18:19], v2, s[16:17] scale_offset
	s_and_not1_b32 vcc_lo, exec_lo, s13
	s_cbranch_vccnz .LBB293_13
; %bb.7:                                ;   in Loop: Header=BB293_6 Depth=1
	s_lshl_b64 s[14:15], s[4:5], 3
	v_mov_b32_e32 v16, 0
	s_add_nc_u64 s[22:23], s[6:7], s[14:15]
	s_add_nc_u64 s[14:15], s[10:11], s[14:15]
	s_clause 0x1
	global_load_b64 v[20:21], v3, s[22:23]
	global_load_b64 v[22:23], v3, s[14:15]
	s_wait_xcnt 0x0
	s_mov_b32 s14, 0
	v_dual_mov_b32 v17, v16 :: v_dual_mov_b32 v24, v16
	v_mov_b32_e32 v25, v16
	s_wait_loadcnt 0x1
	v_add_nc_u64_e32 v[20:21], v[20:21], v[12:13]
	s_wait_loadcnt 0x0
	v_add_nc_u64_e32 v[22:23], v[22:23], v[14:15]
	s_branch .LBB293_9
.LBB293_8:                              ;   in Loop: Header=BB293_9 Depth=2
	s_wait_xcnt 0x0
	s_or_b32 exec_lo, exec_lo, s15
	s_wait_loadcnt_dscnt 0x0
	ds_store_b32 v27, v30
	s_wait_dscnt 0x0
	s_barrier_signal -1
	s_barrier_wait -1
	ds_load_b128 v[30:33], v29
	ds_load_2addr_b32 v[46:47], v28 offset1:16
	ds_load_b128 v[34:37], v29 offset:512
	ds_load_2addr_b32 v[48:49], v28 offset0:32 offset1:48
	ds_load_2addr_b32 v[50:51], v28 offset0:64 offset1:80
	;; [unrolled: 1-line block ×3, first 2 shown]
	ds_load_b128 v[38:41], v29 offset:16
	ds_load_2addr_b32 v[54:55], v28 offset0:128 offset1:144
	ds_load_b128 v[42:45], v29 offset:528
	v_add_nc_u64_e32 v[20:21], 32, v[20:21]
	v_add_nc_u64_e32 v[22:23], s[2:3], v[22:23]
	s_add_co_i32 s14, s14, 8
	s_delay_alu instid0(SALU_CYCLE_1)
	s_cmp_lt_i32 s14, s21
	s_wait_dscnt 0x8
	v_mov_b32_e32 v2, v33
	s_wait_dscnt 0x7
	v_pk_fma_f32 v[24:25], v[46:47], v[30:31], v[24:25] op_sel_hi:[1,0,1]
	s_wait_dscnt 0x6
	v_pk_fma_f32 v[16:17], v[46:47], v[34:35], v[16:17] op_sel_hi:[1,0,1]
	ds_load_2addr_b32 v[46:47], v28 offset0:160 offset1:176
	s_wait_dscnt 0x6
	v_pk_fma_f32 v[24:25], v[48:49], v[30:31], v[24:25] op_sel:[0,1,0]
	v_pk_fma_f32 v[16:17], v[48:49], v[34:35], v[16:17] op_sel:[0,1,0]
	ds_load_2addr_b32 v[30:31], v28 offset0:192 offset1:208
	v_mov_b32_e32 v34, v37
	s_wait_dscnt 0x6
	v_pk_fma_f32 v[24:25], v[50:51], v[32:33], v[24:25] op_sel_hi:[1,0,1]
	v_pk_fma_f32 v[16:17], v[50:51], v[36:37], v[16:17] op_sel_hi:[1,0,1]
	ds_load_2addr_b32 v[32:33], v28 offset0:224 offset1:240
	s_wait_dscnt 0x0
	s_barrier_signal -1
	v_pk_fma_f32 v[24:25], v[52:53], v[2:3], v[24:25] op_sel_hi:[1,0,1]
	v_pk_fma_f32 v[16:17], v[52:53], v[34:35], v[16:17] op_sel_hi:[1,0,1]
	v_dual_mov_b32 v2, v41 :: v_dual_mov_b32 v34, v45
	s_barrier_wait -1
	s_delay_alu instid0(VALU_DEP_3) | instskip(NEXT) | instid1(VALU_DEP_3)
	v_pk_fma_f32 v[24:25], v[54:55], v[38:39], v[24:25] op_sel_hi:[1,0,1]
	v_pk_fma_f32 v[16:17], v[54:55], v[42:43], v[16:17] op_sel_hi:[1,0,1]
	s_delay_alu instid0(VALU_DEP_2) | instskip(NEXT) | instid1(VALU_DEP_2)
	v_pk_fma_f32 v[24:25], v[46:47], v[38:39], v[24:25] op_sel:[0,1,0]
	v_pk_fma_f32 v[16:17], v[46:47], v[42:43], v[16:17] op_sel:[0,1,0]
	s_delay_alu instid0(VALU_DEP_2) | instskip(NEXT) | instid1(VALU_DEP_2)
	v_pk_fma_f32 v[24:25], v[30:31], v[40:41], v[24:25] op_sel_hi:[1,0,1]
	v_pk_fma_f32 v[16:17], v[30:31], v[44:45], v[16:17] op_sel_hi:[1,0,1]
	s_delay_alu instid0(VALU_DEP_2) | instskip(NEXT) | instid1(VALU_DEP_2)
	v_pk_fma_f32 v[24:25], v[32:33], v[2:3], v[24:25] op_sel_hi:[1,0,1]
	v_pk_fma_f32 v[16:17], v[32:33], v[34:35], v[16:17] op_sel_hi:[1,0,1]
	s_cbranch_scc0 .LBB293_13
.LBB293_9:                              ;   Parent Loop BB293_6 Depth=1
                                        ; =>  This Inner Loop Header: Depth=2
	v_add_nc_u32_e32 v2, s14, v26
	s_delay_alu instid0(VALU_DEP_1) | instskip(SKIP_2) | instid1(SALU_CYCLE_1)
	v_cmp_gt_i32_e32 vcc_lo, s21, v2
	v_mov_b32_e32 v2, 0
	s_and_b32 s22, s0, vcc_lo
	s_and_saveexec_b32 s15, s22
	s_cbranch_execz .LBB293_11
; %bb.10:                               ;   in Loop: Header=BB293_9 Depth=2
	flat_load_b32 v2, v[20:21]
.LBB293_11:                             ;   in Loop: Header=BB293_9 Depth=2
	s_wait_xcnt 0x0
	s_or_b32 exec_lo, exec_lo, s15
	v_add_nc_u32_e32 v30, s14, v0
	s_wait_loadcnt_dscnt 0x0
	ds_store_b32 v1, v2
	v_cmp_gt_i32_e32 vcc_lo, s21, v30
	v_mov_b32_e32 v30, 0
	s_and_b32 s22, vcc_lo, s1
	s_delay_alu instid0(SALU_CYCLE_1)
	s_and_saveexec_b32 s15, s22
	s_cbranch_execz .LBB293_8
; %bb.12:                               ;   in Loop: Header=BB293_9 Depth=2
	flat_load_b32 v30, v[22:23]
	s_branch .LBB293_8
.LBB293_13:                             ;   in Loop: Header=BB293_6 Depth=1
	s_wait_loadcnt 0x0
	v_add_nc_u64_e32 v[18:19], s[8:9], v[18:19]
	s_delay_alu instid0(VALU_DEP_1)
	v_lshl_add_u64 v[20:21], v[6:7], 2, v[18:19]
	s_wait_xcnt 0x0
	s_and_saveexec_b32 s14, s26
	s_cbranch_execz .LBB293_17
; %bb.14:                               ;   in Loop: Header=BB293_6 Depth=1
	v_mul_f32_e32 v2, s24, v24
	v_lshl_add_u64 v[22:23], v[4:5], 2, v[20:21]
	s_and_b32 vcc_lo, exec_lo, s18
	s_cbranch_vccz .LBB293_28
; %bb.15:                               ;   in Loop: Header=BB293_6 Depth=1
	flat_load_b32 v24, v[22:23]
	s_wait_loadcnt_dscnt 0x0
	v_fma_f32 v24, s19, v24, v2
	flat_store_b32 v[22:23], v24
	s_cbranch_execnz .LBB293_17
.LBB293_16:                             ;   in Loop: Header=BB293_6 Depth=1
	flat_store_b32 v[22:23], v2
.LBB293_17:                             ;   in Loop: Header=BB293_6 Depth=1
	s_wait_xcnt 0x0
	s_or_b32 exec_lo, exec_lo, s14
	s_and_saveexec_b32 s14, s27
	s_cbranch_execz .LBB293_21
; %bb.18:                               ;   in Loop: Header=BB293_6 Depth=1
	v_mul_f32_e32 v2, s24, v25
	v_lshl_add_u64 v[20:21], v[10:11], 2, v[20:21]
	s_and_not1_b32 vcc_lo, exec_lo, s18
	s_cbranch_vccnz .LBB293_29
; %bb.19:                               ;   in Loop: Header=BB293_6 Depth=1
	flat_load_b32 v22, v[20:21]
	s_wait_loadcnt_dscnt 0x0
	v_fma_f32 v22, s19, v22, v2
	flat_store_b32 v[20:21], v22
	s_cbranch_execnz .LBB293_21
.LBB293_20:                             ;   in Loop: Header=BB293_6 Depth=1
	flat_store_b32 v[20:21], v2
.LBB293_21:                             ;   in Loop: Header=BB293_6 Depth=1
	s_wait_xcnt 0x0
	s_or_b32 exec_lo, exec_lo, s14
	v_lshl_add_u64 v[18:19], v[8:9], 2, v[18:19]
	s_and_saveexec_b32 s14, s12
	s_cbranch_execz .LBB293_25
; %bb.22:                               ;   in Loop: Header=BB293_6 Depth=1
	v_mul_f32_e32 v2, s24, v16
	s_delay_alu instid0(VALU_DEP_2)
	v_lshl_add_u64 v[20:21], v[4:5], 2, v[18:19]
	s_and_not1_b32 vcc_lo, exec_lo, s18
	s_cbranch_vccnz .LBB293_30
; %bb.23:                               ;   in Loop: Header=BB293_6 Depth=1
	flat_load_b32 v16, v[20:21]
	s_wait_loadcnt_dscnt 0x0
	v_fma_f32 v16, s19, v16, v2
	flat_store_b32 v[20:21], v16
	s_cbranch_execnz .LBB293_25
.LBB293_24:                             ;   in Loop: Header=BB293_6 Depth=1
	flat_store_b32 v[20:21], v2
.LBB293_25:                             ;   in Loop: Header=BB293_6 Depth=1
	s_wait_xcnt 0x0
	s_or_b32 exec_lo, exec_lo, s14
	s_and_saveexec_b32 s14, s20
	s_cbranch_execz .LBB293_5
; %bb.26:                               ;   in Loop: Header=BB293_6 Depth=1
	v_mul_f32_e32 v2, s24, v17
	v_lshl_add_u64 v[16:17], v[10:11], 2, v[18:19]
	s_and_not1_b32 vcc_lo, exec_lo, s18
	s_cbranch_vccnz .LBB293_31
; %bb.27:                               ;   in Loop: Header=BB293_6 Depth=1
	flat_load_b32 v18, v[16:17]
	s_wait_loadcnt_dscnt 0x0
	v_fma_f32 v18, s19, v18, v2
	flat_store_b32 v[16:17], v18
	s_cbranch_execnz .LBB293_5
	s_branch .LBB293_32
.LBB293_28:                             ;   in Loop: Header=BB293_6 Depth=1
	s_branch .LBB293_16
.LBB293_29:                             ;   in Loop: Header=BB293_6 Depth=1
	s_branch .LBB293_20
.LBB293_30:                             ;   in Loop: Header=BB293_6 Depth=1
	s_branch .LBB293_24
.LBB293_31:                             ;   in Loop: Header=BB293_6 Depth=1
.LBB293_32:                             ;   in Loop: Header=BB293_6 Depth=1
	flat_store_b32 v[16:17], v2
	s_branch .LBB293_5
.LBB293_33:
	s_endpgm
	.section	.rodata,"a",@progbits
	.p2align	6, 0x0
	.amdhsa_kernel _ZL29rocblas_internal_gemmt_kernelIiLi16ELi32ELi8ELc84ELc67ELc85ELb0ELb0EfPKfPKS1_PKPfEviT_T9_T10_S7_lS9_S7_lS8_T11_S7_li
		.amdhsa_group_segment_fixed_size 2048
		.amdhsa_private_segment_fixed_size 0
		.amdhsa_kernarg_size 100
		.amdhsa_user_sgpr_count 2
		.amdhsa_user_sgpr_dispatch_ptr 0
		.amdhsa_user_sgpr_queue_ptr 0
		.amdhsa_user_sgpr_kernarg_segment_ptr 1
		.amdhsa_user_sgpr_dispatch_id 0
		.amdhsa_user_sgpr_kernarg_preload_length 0
		.amdhsa_user_sgpr_kernarg_preload_offset 0
		.amdhsa_user_sgpr_private_segment_size 0
		.amdhsa_wavefront_size32 1
		.amdhsa_uses_dynamic_stack 0
		.amdhsa_enable_private_segment 0
		.amdhsa_system_sgpr_workgroup_id_x 1
		.amdhsa_system_sgpr_workgroup_id_y 1
		.amdhsa_system_sgpr_workgroup_id_z 1
		.amdhsa_system_sgpr_workgroup_info 0
		.amdhsa_system_vgpr_workitem_id 1
		.amdhsa_next_free_vgpr 56
		.amdhsa_next_free_sgpr 31
		.amdhsa_named_barrier_count 0
		.amdhsa_reserve_vcc 1
		.amdhsa_float_round_mode_32 0
		.amdhsa_float_round_mode_16_64 0
		.amdhsa_float_denorm_mode_32 3
		.amdhsa_float_denorm_mode_16_64 3
		.amdhsa_fp16_overflow 0
		.amdhsa_memory_ordered 1
		.amdhsa_forward_progress 1
		.amdhsa_inst_pref_size 14
		.amdhsa_round_robin_scheduling 0
		.amdhsa_exception_fp_ieee_invalid_op 0
		.amdhsa_exception_fp_denorm_src 0
		.amdhsa_exception_fp_ieee_div_zero 0
		.amdhsa_exception_fp_ieee_overflow 0
		.amdhsa_exception_fp_ieee_underflow 0
		.amdhsa_exception_fp_ieee_inexact 0
		.amdhsa_exception_int_div_zero 0
	.end_amdhsa_kernel
	.section	.text._ZL29rocblas_internal_gemmt_kernelIiLi16ELi32ELi8ELc84ELc67ELc85ELb0ELb0EfPKfPKS1_PKPfEviT_T9_T10_S7_lS9_S7_lS8_T11_S7_li,"axG",@progbits,_ZL29rocblas_internal_gemmt_kernelIiLi16ELi32ELi8ELc84ELc67ELc85ELb0ELb0EfPKfPKS1_PKPfEviT_T9_T10_S7_lS9_S7_lS8_T11_S7_li,comdat
.Lfunc_end293:
	.size	_ZL29rocblas_internal_gemmt_kernelIiLi16ELi32ELi8ELc84ELc67ELc85ELb0ELb0EfPKfPKS1_PKPfEviT_T9_T10_S7_lS9_S7_lS8_T11_S7_li, .Lfunc_end293-_ZL29rocblas_internal_gemmt_kernelIiLi16ELi32ELi8ELc84ELc67ELc85ELb0ELb0EfPKfPKS1_PKPfEviT_T9_T10_S7_lS9_S7_lS8_T11_S7_li
                                        ; -- End function
	.set _ZL29rocblas_internal_gemmt_kernelIiLi16ELi32ELi8ELc84ELc67ELc85ELb0ELb0EfPKfPKS1_PKPfEviT_T9_T10_S7_lS9_S7_lS8_T11_S7_li.num_vgpr, 56
	.set _ZL29rocblas_internal_gemmt_kernelIiLi16ELi32ELi8ELc84ELc67ELc85ELb0ELb0EfPKfPKS1_PKPfEviT_T9_T10_S7_lS9_S7_lS8_T11_S7_li.num_agpr, 0
	.set _ZL29rocblas_internal_gemmt_kernelIiLi16ELi32ELi8ELc84ELc67ELc85ELb0ELb0EfPKfPKS1_PKPfEviT_T9_T10_S7_lS9_S7_lS8_T11_S7_li.numbered_sgpr, 31
	.set _ZL29rocblas_internal_gemmt_kernelIiLi16ELi32ELi8ELc84ELc67ELc85ELb0ELb0EfPKfPKS1_PKPfEviT_T9_T10_S7_lS9_S7_lS8_T11_S7_li.num_named_barrier, 0
	.set _ZL29rocblas_internal_gemmt_kernelIiLi16ELi32ELi8ELc84ELc67ELc85ELb0ELb0EfPKfPKS1_PKPfEviT_T9_T10_S7_lS9_S7_lS8_T11_S7_li.private_seg_size, 0
	.set _ZL29rocblas_internal_gemmt_kernelIiLi16ELi32ELi8ELc84ELc67ELc85ELb0ELb0EfPKfPKS1_PKPfEviT_T9_T10_S7_lS9_S7_lS8_T11_S7_li.uses_vcc, 1
	.set _ZL29rocblas_internal_gemmt_kernelIiLi16ELi32ELi8ELc84ELc67ELc85ELb0ELb0EfPKfPKS1_PKPfEviT_T9_T10_S7_lS9_S7_lS8_T11_S7_li.uses_flat_scratch, 0
	.set _ZL29rocblas_internal_gemmt_kernelIiLi16ELi32ELi8ELc84ELc67ELc85ELb0ELb0EfPKfPKS1_PKPfEviT_T9_T10_S7_lS9_S7_lS8_T11_S7_li.has_dyn_sized_stack, 0
	.set _ZL29rocblas_internal_gemmt_kernelIiLi16ELi32ELi8ELc84ELc67ELc85ELb0ELb0EfPKfPKS1_PKPfEviT_T9_T10_S7_lS9_S7_lS8_T11_S7_li.has_recursion, 0
	.set _ZL29rocblas_internal_gemmt_kernelIiLi16ELi32ELi8ELc84ELc67ELc85ELb0ELb0EfPKfPKS1_PKPfEviT_T9_T10_S7_lS9_S7_lS8_T11_S7_li.has_indirect_call, 0
	.section	.AMDGPU.csdata,"",@progbits
; Kernel info:
; codeLenInByte = 1688
; TotalNumSgprs: 33
; NumVgprs: 56
; ScratchSize: 0
; MemoryBound: 0
; FloatMode: 240
; IeeeMode: 1
; LDSByteSize: 2048 bytes/workgroup (compile time only)
; SGPRBlocks: 0
; VGPRBlocks: 3
; NumSGPRsForWavesPerEU: 33
; NumVGPRsForWavesPerEU: 56
; NamedBarCnt: 0
; Occupancy: 16
; WaveLimiterHint : 1
; COMPUTE_PGM_RSRC2:SCRATCH_EN: 0
; COMPUTE_PGM_RSRC2:USER_SGPR: 2
; COMPUTE_PGM_RSRC2:TRAP_HANDLER: 0
; COMPUTE_PGM_RSRC2:TGID_X_EN: 1
; COMPUTE_PGM_RSRC2:TGID_Y_EN: 1
; COMPUTE_PGM_RSRC2:TGID_Z_EN: 1
; COMPUTE_PGM_RSRC2:TIDIG_COMP_CNT: 1
	.section	.text._ZL29rocblas_internal_gemmt_kernelIiLi16ELi32ELi8ELc67ELc78ELc85ELb0ELb0EfPKfPKS1_PKPfEviT_T9_T10_S7_lS9_S7_lS8_T11_S7_li,"axG",@progbits,_ZL29rocblas_internal_gemmt_kernelIiLi16ELi32ELi8ELc67ELc78ELc85ELb0ELb0EfPKfPKS1_PKPfEviT_T9_T10_S7_lS9_S7_lS8_T11_S7_li,comdat
	.globl	_ZL29rocblas_internal_gemmt_kernelIiLi16ELi32ELi8ELc67ELc78ELc85ELb0ELb0EfPKfPKS1_PKPfEviT_T9_T10_S7_lS9_S7_lS8_T11_S7_li ; -- Begin function _ZL29rocblas_internal_gemmt_kernelIiLi16ELi32ELi8ELc67ELc78ELc85ELb0ELb0EfPKfPKS1_PKPfEviT_T9_T10_S7_lS9_S7_lS8_T11_S7_li
	.p2align	8
	.type	_ZL29rocblas_internal_gemmt_kernelIiLi16ELi32ELi8ELc67ELc78ELc85ELb0ELb0EfPKfPKS1_PKPfEviT_T9_T10_S7_lS9_S7_lS8_T11_S7_li,@function
_ZL29rocblas_internal_gemmt_kernelIiLi16ELi32ELi8ELc67ELc78ELc85ELb0ELb0EfPKfPKS1_PKPfEviT_T9_T10_S7_lS9_S7_lS8_T11_S7_li: ; @_ZL29rocblas_internal_gemmt_kernelIiLi16ELi32ELi8ELc67ELc78ELc85ELb0ELb0EfPKfPKS1_PKPfEviT_T9_T10_S7_lS9_S7_lS8_T11_S7_li
; %bb.0:
	s_clause 0x1
	s_load_b128 s[12:15], s[0:1], 0x38
	s_load_b128 s[4:7], s[0:1], 0x8
	s_wait_kmcnt 0x0
	s_load_b32 s19, s[14:15], 0x0
	s_load_b64 s[20:21], s[0:1], 0x0
	s_load_b32 s24, s[4:5], 0x0
	s_wait_kmcnt 0x0
	s_cmp_neq_f32 s19, 1.0
	s_cselect_b32 s2, -1, 0
	s_delay_alu instid0(SALU_CYCLE_1)
	s_and_b32 vcc_lo, exec_lo, s2
	s_cbranch_vccnz .LBB294_2
; %bb.1:
	s_cmp_lg_u32 s21, 0
	s_cselect_b32 s2, -1, 0
	s_cmp_neq_f32 s24, 0
	s_cselect_b32 s3, -1, 0
	s_delay_alu instid0(SALU_CYCLE_1)
	s_and_b32 s2, s2, s3
.LBB294_2:
	s_delay_alu instid0(SALU_CYCLE_1)
	s_and_not1_b32 vcc_lo, exec_lo, s2
	s_cbranch_vccnz .LBB294_33
; %bb.3:
	s_load_b32 s25, s[0:1], 0x60
	s_bfe_u32 s2, ttmp6, 0x40014
	s_lshr_b32 s3, ttmp7, 16
	s_add_co_i32 s2, s2, 1
	s_bfe_u32 s4, ttmp6, 0x40008
	s_mul_i32 s2, s3, s2
	s_getreg_b32 s26, hwreg(HW_REG_IB_STS2, 6, 4)
	s_add_co_i32 s4, s4, s2
	s_cmp_eq_u32 s26, 0
	s_mov_b32 s5, 0
	s_cselect_b32 s4, s3, s4
	s_wait_kmcnt 0x0
	s_cmp_ge_u32 s4, s25
	s_cbranch_scc1 .LBB294_33
; %bb.4:
	s_clause 0x3
	s_load_b32 s22, s[0:1], 0x18
	s_load_b32 s2, s[0:1], 0x30
	s_load_b96 s[16:18], s[0:1], 0x48
	s_load_b128 s[8:11], s[0:1], 0x20
	v_and_b32_e32 v1, 0x3ff, v0
	v_bfe_u32 v7, v0, 10, 10
	s_load_b64 s[14:15], s[0:1], 0x58
	s_wait_xcnt 0x0
	s_bfe_u32 s1, ttmp6, 0x4000c
	s_bfe_u32 s3, ttmp6, 0x40010
	s_and_b32 s28, ttmp7, 0xffff
	s_add_co_i32 s1, s1, 1
	s_add_co_i32 s3, s3, 1
	v_lshl_add_u32 v3, v7, 4, v1
	s_and_b32 s0, ttmp6, 15
	s_bfe_u32 s29, ttmp6, 0x40004
	s_mul_i32 s1, ttmp9, s1
	s_mul_i32 s30, s28, s3
	s_add_co_i32 s0, s0, s1
	s_add_co_i32 s29, s29, s30
	v_dual_lshrrev_b32 v6, 3, v3 :: v_dual_bitop2_b32 v9, 31, v3 bitop3:0x40
	s_wait_kmcnt 0x0
	s_ashr_i32 s23, s22, 31
	s_ashr_i32 s3, s2, 31
	;; [unrolled: 1-line block ×3, first 2 shown]
	s_cmp_eq_u32 s26, 0
	s_mov_b32 s26, s18
	s_cselect_b32 s0, ttmp9, s0
	s_cselect_b32 s1, s28, s29
	s_lshl_b32 s28, s0, 5
	s_lshl_b32 s0, s1, 5
	v_dual_lshrrev_b32 v24, 5, v3 :: v_dual_bitop2_b32 v2, s28, v9 bitop3:0x54
	v_dual_add_nc_u32 v4, s0, v6 :: v_dual_bitop2_b32 v25, 7, v0 bitop3:0x40
	v_dual_add_nc_u32 v8, s0, v7 :: v_dual_lshlrev_b32 v0, 2, v9
	s_delay_alu instid0(VALU_DEP_2) | instskip(NEXT) | instid1(VALU_DEP_2)
	v_dual_ashrrev_i32 v3, 31, v2 :: v_dual_ashrrev_i32 v5, 31, v4
	v_dual_lshlrev_b32 v16, 2, v25 :: v_dual_add_nc_u32 v14, 16, v8
	v_ashrrev_i32_e32 v9, 31, v8
	s_delay_alu instid0(VALU_DEP_3) | instskip(NEXT) | instid1(VALU_DEP_4)
	v_mul_u64_e32 v[10:11], s[22:23], v[2:3]
	v_mul_u64_e32 v[12:13], s[2:3], v[4:5]
	v_cmp_gt_i32_e64 s0, s20, v2
	v_ashrrev_i32_e32 v15, 31, v14
	v_cmp_gt_i32_e64 s1, s20, v4
	v_mul_u64_e32 v[2:3], s[26:27], v[8:9]
	v_lshl_or_b32 v26, v24, 7, v0
	v_lshl_or_b32 v6, v6, 5, v16
	v_mul_u64_e32 v[4:5], s[26:27], v[14:15]
	v_dual_add_nc_u32 v0, s28, v1 :: v_dual_lshlrev_b32 v28, 2, v1
	s_cmp_neq_f32 s24, 0
	s_delay_alu instid0(VALU_DEP_3) | instskip(SKIP_1) | instid1(VALU_DEP_3)
	v_add_nc_u32_e32 v27, 0x400, v6
	v_cmp_gt_i32_e32 vcc_lo, s20, v8
	v_dual_add_nc_u32 v6, 16, v0 :: v_dual_ashrrev_i32 v1, 31, v0
	s_cselect_b32 s29, -1, 0
	s_cmp_gt_i32 s21, 0
	v_cmp_le_i32_e64 s2, v0, v8
	s_delay_alu instid0(VALU_DEP_2)
	v_cmp_le_i32_e64 s3, v6, v8
	s_cselect_b32 s30, -1, 0
	s_cmp_neq_f32 s19, 0
	v_lshl_add_u32 v29, v7, 5, 0x400
	v_dual_ashrrev_i32 v7, 31, v6 :: v_dual_mov_b32 v9, 0
	s_cselect_b32 s18, -1, 0
	s_and_b32 s22, vcc_lo, s2
	s_and_b32 s23, vcc_lo, s3
	s_lshl_b64 s[2:3], s[8:9], 2
	v_dual_mov_b32 v17, v9 :: v_dual_lshlrev_b32 v8, 2, v24
	v_cmp_gt_i32_e32 vcc_lo, s20, v14
	v_lshl_add_u64 v[10:11], v[10:11], 2, s[2:3]
	s_lshl_b64 s[2:3], s[12:13], 2
	s_and_b32 s8, s29, s30
	v_lshl_add_u64 v[12:13], v[12:13], 2, s[2:3]
	v_cmp_le_i32_e64 s2, v0, v14
	v_cmp_le_i32_e64 s3, v6, v14
	v_add_nc_u64_e32 v[10:11], v[10:11], v[8:9]
	s_delay_alu instid0(VALU_DEP_4)
	v_add_nc_u64_e32 v[12:13], v[12:13], v[16:17]
	s_and_b32 s9, vcc_lo, s2
	s_and_b32 s12, vcc_lo, s3
	s_lshl_b64 s[2:3], s[14:15], 2
	s_branch .LBB294_6
.LBB294_5:                              ;   in Loop: Header=BB294_6 Depth=1
	s_wait_xcnt 0x0
	s_or_b32 exec_lo, exec_lo, s13
	s_add_co_i32 s4, s4, 0x10000
	s_delay_alu instid0(SALU_CYCLE_1)
	s_cmp_lt_u32 s4, s25
	s_cbranch_scc0 .LBB294_33
.LBB294_6:                              ; =>This Loop Header: Depth=1
                                        ;     Child Loop BB294_9 Depth 2
	v_dual_mov_b32 v8, s4 :: v_dual_mov_b32 v23, 0
	v_dual_mov_b32 v22, 0 :: v_dual_mov_b32 v15, 0
	v_mov_b32_e32 v14, 0
	global_load_b64 v[16:17], v8, s[16:17] scale_offset
	s_and_not1_b32 vcc_lo, exec_lo, s8
	s_cbranch_vccnz .LBB294_13
; %bb.7:                                ;   in Loop: Header=BB294_6 Depth=1
	s_lshl_b64 s[14:15], s[4:5], 3
	v_mov_b32_e32 v14, 0
	s_add_nc_u64 s[26:27], s[6:7], s[14:15]
	s_add_nc_u64 s[14:15], s[10:11], s[14:15]
	s_clause 0x1
	global_load_b64 v[18:19], v9, s[26:27]
	global_load_b64 v[20:21], v9, s[14:15]
	s_mov_b32 s13, 0
	v_dual_mov_b32 v15, v14 :: v_dual_mov_b32 v22, v14
	v_mov_b32_e32 v23, v14
	s_wait_loadcnt 0x1
	v_add_nc_u64_e32 v[18:19], v[18:19], v[10:11]
	s_wait_loadcnt 0x0
	v_add_nc_u64_e32 v[20:21], v[20:21], v[12:13]
	s_branch .LBB294_9
.LBB294_8:                              ;   in Loop: Header=BB294_9 Depth=2
	s_wait_xcnt 0x0
	s_or_b32 exec_lo, exec_lo, s14
	s_wait_loadcnt_dscnt 0x0
	ds_store_b32 v27, v30
	s_wait_dscnt 0x0
	s_barrier_signal -1
	s_barrier_wait -1
	ds_load_b128 v[30:33], v29
	ds_load_2addr_b32 v[46:47], v28 offset1:16
	ds_load_b128 v[34:37], v29 offset:512
	ds_load_2addr_b32 v[48:49], v28 offset0:32 offset1:48
	ds_load_2addr_b32 v[50:51], v28 offset0:64 offset1:80
	ds_load_2addr_b32 v[52:53], v28 offset0:96 offset1:112
	ds_load_b128 v[38:41], v29 offset:16
	ds_load_2addr_b32 v[54:55], v28 offset0:128 offset1:144
	ds_load_b128 v[42:45], v29 offset:528
	v_add_nc_u64_e32 v[18:19], 32, v[18:19]
	v_add_nc_u64_e32 v[20:21], 32, v[20:21]
	s_add_co_i32 s13, s13, 8
	s_delay_alu instid0(SALU_CYCLE_1)
	s_cmp_lt_i32 s13, s21
	s_wait_dscnt 0x8
	v_mov_b32_e32 v8, v33
	s_wait_dscnt 0x7
	v_pk_fma_f32 v[22:23], v[46:47], v[30:31], v[22:23] op_sel_hi:[1,0,1]
	s_wait_dscnt 0x6
	v_pk_fma_f32 v[14:15], v[46:47], v[34:35], v[14:15] op_sel_hi:[1,0,1]
	ds_load_2addr_b32 v[46:47], v28 offset0:160 offset1:176
	s_wait_dscnt 0x6
	v_pk_fma_f32 v[22:23], v[48:49], v[30:31], v[22:23] op_sel:[0,1,0]
	v_pk_fma_f32 v[14:15], v[48:49], v[34:35], v[14:15] op_sel:[0,1,0]
	ds_load_2addr_b32 v[30:31], v28 offset0:192 offset1:208
	v_mov_b32_e32 v34, v37
	s_wait_dscnt 0x6
	v_pk_fma_f32 v[22:23], v[50:51], v[32:33], v[22:23] op_sel_hi:[1,0,1]
	v_pk_fma_f32 v[14:15], v[50:51], v[36:37], v[14:15] op_sel_hi:[1,0,1]
	ds_load_2addr_b32 v[32:33], v28 offset0:224 offset1:240
	s_wait_dscnt 0x0
	s_barrier_signal -1
	v_pk_fma_f32 v[22:23], v[52:53], v[8:9], v[22:23] op_sel_hi:[1,0,1]
	v_pk_fma_f32 v[14:15], v[52:53], v[34:35], v[14:15] op_sel_hi:[1,0,1]
	v_dual_mov_b32 v8, v41 :: v_dual_mov_b32 v34, v45
	s_barrier_wait -1
	s_delay_alu instid0(VALU_DEP_3) | instskip(NEXT) | instid1(VALU_DEP_3)
	v_pk_fma_f32 v[22:23], v[54:55], v[38:39], v[22:23] op_sel_hi:[1,0,1]
	v_pk_fma_f32 v[14:15], v[54:55], v[42:43], v[14:15] op_sel_hi:[1,0,1]
	s_delay_alu instid0(VALU_DEP_2) | instskip(NEXT) | instid1(VALU_DEP_2)
	v_pk_fma_f32 v[22:23], v[46:47], v[38:39], v[22:23] op_sel:[0,1,0]
	v_pk_fma_f32 v[14:15], v[46:47], v[42:43], v[14:15] op_sel:[0,1,0]
	s_delay_alu instid0(VALU_DEP_2) | instskip(NEXT) | instid1(VALU_DEP_2)
	v_pk_fma_f32 v[22:23], v[30:31], v[40:41], v[22:23] op_sel_hi:[1,0,1]
	v_pk_fma_f32 v[14:15], v[30:31], v[44:45], v[14:15] op_sel_hi:[1,0,1]
	s_delay_alu instid0(VALU_DEP_2) | instskip(NEXT) | instid1(VALU_DEP_2)
	v_pk_fma_f32 v[22:23], v[32:33], v[8:9], v[22:23] op_sel_hi:[1,0,1]
	v_pk_fma_f32 v[14:15], v[32:33], v[34:35], v[14:15] op_sel_hi:[1,0,1]
	s_cbranch_scc0 .LBB294_13
.LBB294_9:                              ;   Parent Loop BB294_6 Depth=1
                                        ; =>  This Inner Loop Header: Depth=2
	s_wait_xcnt 0x2
	v_add_nc_u32_e32 v8, s13, v24
	s_delay_alu instid0(VALU_DEP_1) | instskip(SKIP_3) | instid1(SALU_CYCLE_1)
	v_cmp_gt_i32_e32 vcc_lo, s21, v8
	v_mov_b32_e32 v8, 0
	s_wait_xcnt 0x0
	s_and_b32 s15, s0, vcc_lo
	s_and_saveexec_b32 s14, s15
	s_cbranch_execz .LBB294_11
; %bb.10:                               ;   in Loop: Header=BB294_9 Depth=2
	flat_load_b32 v8, v[18:19]
.LBB294_11:                             ;   in Loop: Header=BB294_9 Depth=2
	s_wait_xcnt 0x0
	s_or_b32 exec_lo, exec_lo, s14
	v_add_nc_u32_e32 v30, s13, v25
	s_wait_loadcnt_dscnt 0x0
	ds_store_b32 v26, v8
	v_cmp_gt_i32_e32 vcc_lo, s21, v30
	v_mov_b32_e32 v30, 0
	s_and_b32 s15, vcc_lo, s1
	s_delay_alu instid0(SALU_CYCLE_1)
	s_and_saveexec_b32 s14, s15
	s_cbranch_execz .LBB294_8
; %bb.12:                               ;   in Loop: Header=BB294_9 Depth=2
	flat_load_b32 v30, v[20:21]
	s_branch .LBB294_8
.LBB294_13:                             ;   in Loop: Header=BB294_6 Depth=1
	s_wait_loadcnt 0x0
	v_add_nc_u64_e32 v[16:17], s[2:3], v[16:17]
	s_delay_alu instid0(VALU_DEP_1)
	v_lshl_add_u64 v[18:19], v[2:3], 2, v[16:17]
	s_wait_xcnt 0x0
	s_and_saveexec_b32 s13, s22
	s_cbranch_execz .LBB294_17
; %bb.14:                               ;   in Loop: Header=BB294_6 Depth=1
	v_mul_f32_e32 v8, s24, v22
	v_lshl_add_u64 v[20:21], v[0:1], 2, v[18:19]
	s_and_b32 vcc_lo, exec_lo, s18
	s_cbranch_vccz .LBB294_28
; %bb.15:                               ;   in Loop: Header=BB294_6 Depth=1
	flat_load_b32 v22, v[20:21]
	s_wait_loadcnt_dscnt 0x0
	v_fma_f32 v22, s19, v22, v8
	flat_store_b32 v[20:21], v22
	s_cbranch_execnz .LBB294_17
.LBB294_16:                             ;   in Loop: Header=BB294_6 Depth=1
	flat_store_b32 v[20:21], v8
.LBB294_17:                             ;   in Loop: Header=BB294_6 Depth=1
	s_wait_xcnt 0x0
	s_or_b32 exec_lo, exec_lo, s13
	s_and_saveexec_b32 s13, s23
	s_cbranch_execz .LBB294_21
; %bb.18:                               ;   in Loop: Header=BB294_6 Depth=1
	v_mul_f32_e32 v8, s24, v23
	v_lshl_add_u64 v[18:19], v[6:7], 2, v[18:19]
	s_and_not1_b32 vcc_lo, exec_lo, s18
	s_cbranch_vccnz .LBB294_29
; %bb.19:                               ;   in Loop: Header=BB294_6 Depth=1
	flat_load_b32 v20, v[18:19]
	s_wait_loadcnt_dscnt 0x0
	v_fma_f32 v20, s19, v20, v8
	flat_store_b32 v[18:19], v20
	s_cbranch_execnz .LBB294_21
.LBB294_20:                             ;   in Loop: Header=BB294_6 Depth=1
	flat_store_b32 v[18:19], v8
.LBB294_21:                             ;   in Loop: Header=BB294_6 Depth=1
	s_wait_xcnt 0x0
	s_or_b32 exec_lo, exec_lo, s13
	v_lshl_add_u64 v[16:17], v[4:5], 2, v[16:17]
	s_and_saveexec_b32 s13, s9
	s_cbranch_execz .LBB294_25
; %bb.22:                               ;   in Loop: Header=BB294_6 Depth=1
	v_mul_f32_e32 v8, s24, v14
	s_delay_alu instid0(VALU_DEP_2)
	v_lshl_add_u64 v[18:19], v[0:1], 2, v[16:17]
	s_and_not1_b32 vcc_lo, exec_lo, s18
	s_cbranch_vccnz .LBB294_30
; %bb.23:                               ;   in Loop: Header=BB294_6 Depth=1
	flat_load_b32 v14, v[18:19]
	s_wait_loadcnt_dscnt 0x0
	v_fma_f32 v14, s19, v14, v8
	flat_store_b32 v[18:19], v14
	s_cbranch_execnz .LBB294_25
.LBB294_24:                             ;   in Loop: Header=BB294_6 Depth=1
	flat_store_b32 v[18:19], v8
.LBB294_25:                             ;   in Loop: Header=BB294_6 Depth=1
	s_wait_xcnt 0x0
	s_or_b32 exec_lo, exec_lo, s13
	s_and_saveexec_b32 s13, s12
	s_cbranch_execz .LBB294_5
; %bb.26:                               ;   in Loop: Header=BB294_6 Depth=1
	v_mul_f32_e32 v8, s24, v15
	v_lshl_add_u64 v[14:15], v[6:7], 2, v[16:17]
	s_and_not1_b32 vcc_lo, exec_lo, s18
	s_cbranch_vccnz .LBB294_31
; %bb.27:                               ;   in Loop: Header=BB294_6 Depth=1
	flat_load_b32 v16, v[14:15]
	s_wait_loadcnt_dscnt 0x0
	v_fma_f32 v16, s19, v16, v8
	flat_store_b32 v[14:15], v16
	s_cbranch_execnz .LBB294_5
	s_branch .LBB294_32
.LBB294_28:                             ;   in Loop: Header=BB294_6 Depth=1
	s_branch .LBB294_16
.LBB294_29:                             ;   in Loop: Header=BB294_6 Depth=1
	s_branch .LBB294_20
.LBB294_30:                             ;   in Loop: Header=BB294_6 Depth=1
	s_branch .LBB294_24
.LBB294_31:                             ;   in Loop: Header=BB294_6 Depth=1
.LBB294_32:                             ;   in Loop: Header=BB294_6 Depth=1
	flat_store_b32 v[14:15], v8
	s_branch .LBB294_5
.LBB294_33:
	s_endpgm
	.section	.rodata,"a",@progbits
	.p2align	6, 0x0
	.amdhsa_kernel _ZL29rocblas_internal_gemmt_kernelIiLi16ELi32ELi8ELc67ELc78ELc85ELb0ELb0EfPKfPKS1_PKPfEviT_T9_T10_S7_lS9_S7_lS8_T11_S7_li
		.amdhsa_group_segment_fixed_size 2048
		.amdhsa_private_segment_fixed_size 0
		.amdhsa_kernarg_size 100
		.amdhsa_user_sgpr_count 2
		.amdhsa_user_sgpr_dispatch_ptr 0
		.amdhsa_user_sgpr_queue_ptr 0
		.amdhsa_user_sgpr_kernarg_segment_ptr 1
		.amdhsa_user_sgpr_dispatch_id 0
		.amdhsa_user_sgpr_kernarg_preload_length 0
		.amdhsa_user_sgpr_kernarg_preload_offset 0
		.amdhsa_user_sgpr_private_segment_size 0
		.amdhsa_wavefront_size32 1
		.amdhsa_uses_dynamic_stack 0
		.amdhsa_enable_private_segment 0
		.amdhsa_system_sgpr_workgroup_id_x 1
		.amdhsa_system_sgpr_workgroup_id_y 1
		.amdhsa_system_sgpr_workgroup_id_z 1
		.amdhsa_system_sgpr_workgroup_info 0
		.amdhsa_system_vgpr_workitem_id 1
		.amdhsa_next_free_vgpr 56
		.amdhsa_next_free_sgpr 31
		.amdhsa_named_barrier_count 0
		.amdhsa_reserve_vcc 1
		.amdhsa_float_round_mode_32 0
		.amdhsa_float_round_mode_16_64 0
		.amdhsa_float_denorm_mode_32 3
		.amdhsa_float_denorm_mode_16_64 3
		.amdhsa_fp16_overflow 0
		.amdhsa_memory_ordered 1
		.amdhsa_forward_progress 1
		.amdhsa_inst_pref_size 14
		.amdhsa_round_robin_scheduling 0
		.amdhsa_exception_fp_ieee_invalid_op 0
		.amdhsa_exception_fp_denorm_src 0
		.amdhsa_exception_fp_ieee_div_zero 0
		.amdhsa_exception_fp_ieee_overflow 0
		.amdhsa_exception_fp_ieee_underflow 0
		.amdhsa_exception_fp_ieee_inexact 0
		.amdhsa_exception_int_div_zero 0
	.end_amdhsa_kernel
	.section	.text._ZL29rocblas_internal_gemmt_kernelIiLi16ELi32ELi8ELc67ELc78ELc85ELb0ELb0EfPKfPKS1_PKPfEviT_T9_T10_S7_lS9_S7_lS8_T11_S7_li,"axG",@progbits,_ZL29rocblas_internal_gemmt_kernelIiLi16ELi32ELi8ELc67ELc78ELc85ELb0ELb0EfPKfPKS1_PKPfEviT_T9_T10_S7_lS9_S7_lS8_T11_S7_li,comdat
.Lfunc_end294:
	.size	_ZL29rocblas_internal_gemmt_kernelIiLi16ELi32ELi8ELc67ELc78ELc85ELb0ELb0EfPKfPKS1_PKPfEviT_T9_T10_S7_lS9_S7_lS8_T11_S7_li, .Lfunc_end294-_ZL29rocblas_internal_gemmt_kernelIiLi16ELi32ELi8ELc67ELc78ELc85ELb0ELb0EfPKfPKS1_PKPfEviT_T9_T10_S7_lS9_S7_lS8_T11_S7_li
                                        ; -- End function
	.set _ZL29rocblas_internal_gemmt_kernelIiLi16ELi32ELi8ELc67ELc78ELc85ELb0ELb0EfPKfPKS1_PKPfEviT_T9_T10_S7_lS9_S7_lS8_T11_S7_li.num_vgpr, 56
	.set _ZL29rocblas_internal_gemmt_kernelIiLi16ELi32ELi8ELc67ELc78ELc85ELb0ELb0EfPKfPKS1_PKPfEviT_T9_T10_S7_lS9_S7_lS8_T11_S7_li.num_agpr, 0
	.set _ZL29rocblas_internal_gemmt_kernelIiLi16ELi32ELi8ELc67ELc78ELc85ELb0ELb0EfPKfPKS1_PKPfEviT_T9_T10_S7_lS9_S7_lS8_T11_S7_li.numbered_sgpr, 31
	.set _ZL29rocblas_internal_gemmt_kernelIiLi16ELi32ELi8ELc67ELc78ELc85ELb0ELb0EfPKfPKS1_PKPfEviT_T9_T10_S7_lS9_S7_lS8_T11_S7_li.num_named_barrier, 0
	.set _ZL29rocblas_internal_gemmt_kernelIiLi16ELi32ELi8ELc67ELc78ELc85ELb0ELb0EfPKfPKS1_PKPfEviT_T9_T10_S7_lS9_S7_lS8_T11_S7_li.private_seg_size, 0
	.set _ZL29rocblas_internal_gemmt_kernelIiLi16ELi32ELi8ELc67ELc78ELc85ELb0ELb0EfPKfPKS1_PKPfEviT_T9_T10_S7_lS9_S7_lS8_T11_S7_li.uses_vcc, 1
	.set _ZL29rocblas_internal_gemmt_kernelIiLi16ELi32ELi8ELc67ELc78ELc85ELb0ELb0EfPKfPKS1_PKPfEviT_T9_T10_S7_lS9_S7_lS8_T11_S7_li.uses_flat_scratch, 0
	.set _ZL29rocblas_internal_gemmt_kernelIiLi16ELi32ELi8ELc67ELc78ELc85ELb0ELb0EfPKfPKS1_PKPfEviT_T9_T10_S7_lS9_S7_lS8_T11_S7_li.has_dyn_sized_stack, 0
	.set _ZL29rocblas_internal_gemmt_kernelIiLi16ELi32ELi8ELc67ELc78ELc85ELb0ELb0EfPKfPKS1_PKPfEviT_T9_T10_S7_lS9_S7_lS8_T11_S7_li.has_recursion, 0
	.set _ZL29rocblas_internal_gemmt_kernelIiLi16ELi32ELi8ELc67ELc78ELc85ELb0ELb0EfPKfPKS1_PKPfEviT_T9_T10_S7_lS9_S7_lS8_T11_S7_li.has_indirect_call, 0
	.section	.AMDGPU.csdata,"",@progbits
; Kernel info:
; codeLenInByte = 1696
; TotalNumSgprs: 33
; NumVgprs: 56
; ScratchSize: 0
; MemoryBound: 0
; FloatMode: 240
; IeeeMode: 1
; LDSByteSize: 2048 bytes/workgroup (compile time only)
; SGPRBlocks: 0
; VGPRBlocks: 3
; NumSGPRsForWavesPerEU: 33
; NumVGPRsForWavesPerEU: 56
; NamedBarCnt: 0
; Occupancy: 16
; WaveLimiterHint : 1
; COMPUTE_PGM_RSRC2:SCRATCH_EN: 0
; COMPUTE_PGM_RSRC2:USER_SGPR: 2
; COMPUTE_PGM_RSRC2:TRAP_HANDLER: 0
; COMPUTE_PGM_RSRC2:TGID_X_EN: 1
; COMPUTE_PGM_RSRC2:TGID_Y_EN: 1
; COMPUTE_PGM_RSRC2:TGID_Z_EN: 1
; COMPUTE_PGM_RSRC2:TIDIG_COMP_CNT: 1
	.section	.text._ZL29rocblas_internal_gemmt_kernelIiLi16ELi32ELi8ELc67ELc84ELc85ELb0ELb0EfPKfPKS1_PKPfEviT_T9_T10_S7_lS9_S7_lS8_T11_S7_li,"axG",@progbits,_ZL29rocblas_internal_gemmt_kernelIiLi16ELi32ELi8ELc67ELc84ELc85ELb0ELb0EfPKfPKS1_PKPfEviT_T9_T10_S7_lS9_S7_lS8_T11_S7_li,comdat
	.globl	_ZL29rocblas_internal_gemmt_kernelIiLi16ELi32ELi8ELc67ELc84ELc85ELb0ELb0EfPKfPKS1_PKPfEviT_T9_T10_S7_lS9_S7_lS8_T11_S7_li ; -- Begin function _ZL29rocblas_internal_gemmt_kernelIiLi16ELi32ELi8ELc67ELc84ELc85ELb0ELb0EfPKfPKS1_PKPfEviT_T9_T10_S7_lS9_S7_lS8_T11_S7_li
	.p2align	8
	.type	_ZL29rocblas_internal_gemmt_kernelIiLi16ELi32ELi8ELc67ELc84ELc85ELb0ELb0EfPKfPKS1_PKPfEviT_T9_T10_S7_lS9_S7_lS8_T11_S7_li,@function
_ZL29rocblas_internal_gemmt_kernelIiLi16ELi32ELi8ELc67ELc84ELc85ELb0ELb0EfPKfPKS1_PKPfEviT_T9_T10_S7_lS9_S7_lS8_T11_S7_li: ; @_ZL29rocblas_internal_gemmt_kernelIiLi16ELi32ELi8ELc67ELc84ELc85ELb0ELb0EfPKfPKS1_PKPfEviT_T9_T10_S7_lS9_S7_lS8_T11_S7_li
; %bb.0:
	s_clause 0x1
	s_load_b128 s[12:15], s[0:1], 0x38
	s_load_b128 s[4:7], s[0:1], 0x8
	s_wait_kmcnt 0x0
	s_load_b32 s19, s[14:15], 0x0
	s_load_b64 s[20:21], s[0:1], 0x0
	s_load_b32 s24, s[4:5], 0x0
	s_wait_kmcnt 0x0
	s_cmp_neq_f32 s19, 1.0
	s_cselect_b32 s2, -1, 0
	s_delay_alu instid0(SALU_CYCLE_1)
	s_and_b32 vcc_lo, exec_lo, s2
	s_cbranch_vccnz .LBB295_2
; %bb.1:
	s_cmp_lg_u32 s21, 0
	s_cselect_b32 s2, -1, 0
	s_cmp_neq_f32 s24, 0
	s_cselect_b32 s3, -1, 0
	s_delay_alu instid0(SALU_CYCLE_1)
	s_and_b32 s2, s2, s3
.LBB295_2:
	s_delay_alu instid0(SALU_CYCLE_1)
	s_and_not1_b32 vcc_lo, exec_lo, s2
	s_cbranch_vccnz .LBB295_33
; %bb.3:
	s_load_b32 s25, s[0:1], 0x60
	s_bfe_u32 s2, ttmp6, 0x40014
	s_lshr_b32 s3, ttmp7, 16
	s_add_co_i32 s2, s2, 1
	s_bfe_u32 s4, ttmp6, 0x40008
	s_mul_i32 s2, s3, s2
	s_getreg_b32 s26, hwreg(HW_REG_IB_STS2, 6, 4)
	s_add_co_i32 s4, s4, s2
	s_cmp_eq_u32 s26, 0
	s_mov_b32 s5, 0
	s_cselect_b32 s4, s3, s4
	s_wait_kmcnt 0x0
	s_cmp_ge_u32 s4, s25
	s_cbranch_scc1 .LBB295_33
; %bb.4:
	s_clause 0x3
	s_load_b32 s2, s[0:1], 0x18
	s_load_b32 s14, s[0:1], 0x30
	s_load_b96 s[16:18], s[0:1], 0x48
	s_load_b128 s[8:11], s[0:1], 0x20
	v_and_b32_e32 v2, 0x3ff, v0
	v_bfe_u32 v11, v0, 10, 10
	s_load_b64 s[22:23], s[0:1], 0x58
	s_wait_xcnt 0x0
	s_bfe_u32 s1, ttmp6, 0x4000c
	s_bfe_u32 s3, ttmp6, 0x40010
	s_and_b32 s28, ttmp7, 0xffff
	s_add_co_i32 s1, s1, 1
	s_add_co_i32 s3, s3, 1
	v_lshl_add_u32 v1, v11, 4, v2
	s_and_b32 s0, ttmp6, 15
	s_mul_i32 s1, ttmp9, s1
	s_mul_i32 s29, s28, s3
	s_bfe_u32 s30, ttmp6, 0x40004
	s_add_co_i32 s0, s0, s1
	s_add_co_i32 s30, s30, s29
	v_dual_lshrrev_b32 v7, 3, v1 :: v_dual_bitop2_b32 v6, 31, v1 bitop3:0x40
	s_wait_kmcnt 0x0
	s_ashr_i32 s3, s2, 31
	s_ashr_i32 s15, s14, 31
	s_ashr_i32 s27, s18, 31
	s_cmp_eq_u32 s26, 0
	v_dual_lshrrev_b32 v26, 5, v1 :: v_dual_bitop2_b32 v0, 7, v0 bitop3:0x40
	s_cselect_b32 s0, ttmp9, s0
	s_cselect_b32 s1, s28, s30
	s_lshl_b32 s28, s0, 5
	s_delay_alu instid0(SALU_CYCLE_1) | instskip(SKIP_2) | instid1(VALU_DEP_1)
	v_dual_mov_b32 v3, 0 :: v_dual_bitop2_b32 v4, s28, v6 bitop3:0x54
	s_lshl_b32 s0, s1, 5
	s_mov_b32 s26, s18
	v_dual_mov_b32 v1, v3 :: v_dual_add_nc_u32 v12, s0, v11
	s_delay_alu instid0(VALU_DEP_2) | instskip(SKIP_1) | instid1(VALU_DEP_3)
	v_dual_ashrrev_i32 v5, 31, v4 :: v_dual_add_nc_u32 v14, s0, v7
	v_cmp_gt_i32_e64 s0, s20, v4
	v_add_nc_u32_e32 v20, 16, v12
	s_delay_alu instid0(VALU_DEP_4) | instskip(NEXT) | instid1(VALU_DEP_4)
	v_mul_u64_e32 v[18:19], s[14:15], v[0:1]
	v_mul_u64_e32 v[16:17], s[2:3], v[4:5]
	v_dual_lshlrev_b32 v5, 2, v6 :: v_dual_lshlrev_b32 v6, 2, v0
	v_dual_add_nc_u32 v4, s28, v2 :: v_dual_ashrrev_i32 v13, 31, v12
	v_dual_ashrrev_i32 v15, 31, v14 :: v_dual_ashrrev_i32 v21, 31, v20
	v_lshlrev_b32_e32 v28, 2, v2
	s_delay_alu instid0(VALU_DEP_4)
	v_lshl_or_b32 v1, v26, 7, v5
	v_lshl_or_b32 v5, v7, 5, v6
	v_mul_u64_e32 v[6:7], s[26:27], v[12:13]
	v_mul_u64_e32 v[8:9], s[26:27], v[20:21]
	s_cmp_neq_f32 s24, 0
	v_add_nc_u32_e32 v10, 16, v4
	v_add_nc_u32_e32 v27, 0x400, v5
	v_cmp_gt_i32_e32 vcc_lo, s20, v12
	s_cselect_b32 s29, -1, 0
	s_cmp_gt_i32 s21, 0
	v_cmp_le_i32_e64 s2, v4, v12
	s_cselect_b32 s30, -1, 0
	s_cmp_neq_f32 s19, 0
	v_ashrrev_i32_e32 v5, 31, v4
	v_cmp_le_i32_e64 s3, v10, v12
	v_lshlrev_b32_e32 v2, 2, v26
	s_cselect_b32 s18, -1, 0
	s_lshl_b64 s[8:9], s[8:9], 2
	s_and_b32 s26, vcc_lo, s2
	s_and_b32 s27, vcc_lo, s3
	v_cmp_gt_i32_e32 vcc_lo, s20, v20
	v_cmp_le_i32_e64 s2, v4, v20
	v_cmp_gt_i32_e64 s1, s20, v14
	v_lshl_add_u32 v29, v11, 5, 0x400
	v_lshl_add_u64 v[12:13], v[16:17], 2, s[8:9]
	s_lshl_b64 s[8:9], s[12:13], 2
	s_and_b32 s12, vcc_lo, s2
	v_lshl_add_u64 v[16:17], v[18:19], 2, s[8:9]
	v_cmp_le_i32_e64 s2, v10, v20
	v_add_nc_u64_e32 v[12:13], v[12:13], v[2:3]
	v_ashrrev_i32_e32 v11, 31, v10
	s_and_b32 s13, s29, s30
	v_lshl_add_u64 v[14:15], v[14:15], 2, v[16:17]
	s_and_b32 s20, vcc_lo, s2
	s_lshl_b64 s[2:3], s[14:15], 5
	s_lshl_b64 s[8:9], s[22:23], 2
	s_branch .LBB295_6
.LBB295_5:                              ;   in Loop: Header=BB295_6 Depth=1
	s_wait_xcnt 0x0
	s_or_b32 exec_lo, exec_lo, s14
	s_add_co_i32 s4, s4, 0x10000
	s_delay_alu instid0(SALU_CYCLE_1)
	s_cmp_lt_u32 s4, s25
	s_cbranch_scc0 .LBB295_33
.LBB295_6:                              ; =>This Loop Header: Depth=1
                                        ;     Child Loop BB295_9 Depth 2
	v_dual_mov_b32 v2, s4 :: v_dual_mov_b32 v25, 0
	v_dual_mov_b32 v24, 0 :: v_dual_mov_b32 v17, 0
	v_mov_b32_e32 v16, 0
	global_load_b64 v[18:19], v2, s[16:17] scale_offset
	s_and_not1_b32 vcc_lo, exec_lo, s13
	s_cbranch_vccnz .LBB295_13
; %bb.7:                                ;   in Loop: Header=BB295_6 Depth=1
	s_lshl_b64 s[14:15], s[4:5], 3
	v_mov_b32_e32 v16, 0
	s_add_nc_u64 s[22:23], s[6:7], s[14:15]
	s_add_nc_u64 s[14:15], s[10:11], s[14:15]
	s_clause 0x1
	global_load_b64 v[20:21], v3, s[22:23]
	global_load_b64 v[22:23], v3, s[14:15]
	s_wait_xcnt 0x0
	s_mov_b32 s14, 0
	v_dual_mov_b32 v17, v16 :: v_dual_mov_b32 v24, v16
	v_mov_b32_e32 v25, v16
	s_wait_loadcnt 0x1
	v_add_nc_u64_e32 v[20:21], v[20:21], v[12:13]
	s_wait_loadcnt 0x0
	v_add_nc_u64_e32 v[22:23], v[22:23], v[14:15]
	s_branch .LBB295_9
.LBB295_8:                              ;   in Loop: Header=BB295_9 Depth=2
	s_wait_xcnt 0x0
	s_or_b32 exec_lo, exec_lo, s15
	s_wait_loadcnt_dscnt 0x0
	ds_store_b32 v27, v30
	s_wait_dscnt 0x0
	s_barrier_signal -1
	s_barrier_wait -1
	ds_load_b128 v[30:33], v29
	ds_load_2addr_b32 v[46:47], v28 offset1:16
	ds_load_b128 v[34:37], v29 offset:512
	ds_load_2addr_b32 v[48:49], v28 offset0:32 offset1:48
	ds_load_2addr_b32 v[50:51], v28 offset0:64 offset1:80
	;; [unrolled: 1-line block ×3, first 2 shown]
	ds_load_b128 v[38:41], v29 offset:16
	ds_load_2addr_b32 v[54:55], v28 offset0:128 offset1:144
	ds_load_b128 v[42:45], v29 offset:528
	v_add_nc_u64_e32 v[20:21], 32, v[20:21]
	v_add_nc_u64_e32 v[22:23], s[2:3], v[22:23]
	s_add_co_i32 s14, s14, 8
	s_delay_alu instid0(SALU_CYCLE_1)
	s_cmp_lt_i32 s14, s21
	s_wait_dscnt 0x8
	v_mov_b32_e32 v2, v33
	s_wait_dscnt 0x7
	v_pk_fma_f32 v[24:25], v[46:47], v[30:31], v[24:25] op_sel_hi:[1,0,1]
	s_wait_dscnt 0x6
	v_pk_fma_f32 v[16:17], v[46:47], v[34:35], v[16:17] op_sel_hi:[1,0,1]
	ds_load_2addr_b32 v[46:47], v28 offset0:160 offset1:176
	s_wait_dscnt 0x6
	v_pk_fma_f32 v[24:25], v[48:49], v[30:31], v[24:25] op_sel:[0,1,0]
	v_pk_fma_f32 v[16:17], v[48:49], v[34:35], v[16:17] op_sel:[0,1,0]
	ds_load_2addr_b32 v[30:31], v28 offset0:192 offset1:208
	v_mov_b32_e32 v34, v37
	s_wait_dscnt 0x6
	v_pk_fma_f32 v[24:25], v[50:51], v[32:33], v[24:25] op_sel_hi:[1,0,1]
	v_pk_fma_f32 v[16:17], v[50:51], v[36:37], v[16:17] op_sel_hi:[1,0,1]
	ds_load_2addr_b32 v[32:33], v28 offset0:224 offset1:240
	s_wait_dscnt 0x0
	s_barrier_signal -1
	v_pk_fma_f32 v[24:25], v[52:53], v[2:3], v[24:25] op_sel_hi:[1,0,1]
	v_pk_fma_f32 v[16:17], v[52:53], v[34:35], v[16:17] op_sel_hi:[1,0,1]
	v_dual_mov_b32 v2, v41 :: v_dual_mov_b32 v34, v45
	s_barrier_wait -1
	s_delay_alu instid0(VALU_DEP_3) | instskip(NEXT) | instid1(VALU_DEP_3)
	v_pk_fma_f32 v[24:25], v[54:55], v[38:39], v[24:25] op_sel_hi:[1,0,1]
	v_pk_fma_f32 v[16:17], v[54:55], v[42:43], v[16:17] op_sel_hi:[1,0,1]
	s_delay_alu instid0(VALU_DEP_2) | instskip(NEXT) | instid1(VALU_DEP_2)
	v_pk_fma_f32 v[24:25], v[46:47], v[38:39], v[24:25] op_sel:[0,1,0]
	v_pk_fma_f32 v[16:17], v[46:47], v[42:43], v[16:17] op_sel:[0,1,0]
	s_delay_alu instid0(VALU_DEP_2) | instskip(NEXT) | instid1(VALU_DEP_2)
	v_pk_fma_f32 v[24:25], v[30:31], v[40:41], v[24:25] op_sel_hi:[1,0,1]
	v_pk_fma_f32 v[16:17], v[30:31], v[44:45], v[16:17] op_sel_hi:[1,0,1]
	s_delay_alu instid0(VALU_DEP_2) | instskip(NEXT) | instid1(VALU_DEP_2)
	v_pk_fma_f32 v[24:25], v[32:33], v[2:3], v[24:25] op_sel_hi:[1,0,1]
	v_pk_fma_f32 v[16:17], v[32:33], v[34:35], v[16:17] op_sel_hi:[1,0,1]
	s_cbranch_scc0 .LBB295_13
.LBB295_9:                              ;   Parent Loop BB295_6 Depth=1
                                        ; =>  This Inner Loop Header: Depth=2
	v_add_nc_u32_e32 v2, s14, v26
	s_delay_alu instid0(VALU_DEP_1) | instskip(SKIP_2) | instid1(SALU_CYCLE_1)
	v_cmp_gt_i32_e32 vcc_lo, s21, v2
	v_mov_b32_e32 v2, 0
	s_and_b32 s22, s0, vcc_lo
	s_and_saveexec_b32 s15, s22
	s_cbranch_execz .LBB295_11
; %bb.10:                               ;   in Loop: Header=BB295_9 Depth=2
	flat_load_b32 v2, v[20:21]
.LBB295_11:                             ;   in Loop: Header=BB295_9 Depth=2
	s_wait_xcnt 0x0
	s_or_b32 exec_lo, exec_lo, s15
	v_add_nc_u32_e32 v30, s14, v0
	s_wait_loadcnt_dscnt 0x0
	ds_store_b32 v1, v2
	v_cmp_gt_i32_e32 vcc_lo, s21, v30
	v_mov_b32_e32 v30, 0
	s_and_b32 s22, vcc_lo, s1
	s_delay_alu instid0(SALU_CYCLE_1)
	s_and_saveexec_b32 s15, s22
	s_cbranch_execz .LBB295_8
; %bb.12:                               ;   in Loop: Header=BB295_9 Depth=2
	flat_load_b32 v30, v[22:23]
	s_branch .LBB295_8
.LBB295_13:                             ;   in Loop: Header=BB295_6 Depth=1
	s_wait_loadcnt 0x0
	v_add_nc_u64_e32 v[18:19], s[8:9], v[18:19]
	s_delay_alu instid0(VALU_DEP_1)
	v_lshl_add_u64 v[20:21], v[6:7], 2, v[18:19]
	s_wait_xcnt 0x0
	s_and_saveexec_b32 s14, s26
	s_cbranch_execz .LBB295_17
; %bb.14:                               ;   in Loop: Header=BB295_6 Depth=1
	v_mul_f32_e32 v2, s24, v24
	v_lshl_add_u64 v[22:23], v[4:5], 2, v[20:21]
	s_and_b32 vcc_lo, exec_lo, s18
	s_cbranch_vccz .LBB295_28
; %bb.15:                               ;   in Loop: Header=BB295_6 Depth=1
	flat_load_b32 v24, v[22:23]
	s_wait_loadcnt_dscnt 0x0
	v_fma_f32 v24, s19, v24, v2
	flat_store_b32 v[22:23], v24
	s_cbranch_execnz .LBB295_17
.LBB295_16:                             ;   in Loop: Header=BB295_6 Depth=1
	flat_store_b32 v[22:23], v2
.LBB295_17:                             ;   in Loop: Header=BB295_6 Depth=1
	s_wait_xcnt 0x0
	s_or_b32 exec_lo, exec_lo, s14
	s_and_saveexec_b32 s14, s27
	s_cbranch_execz .LBB295_21
; %bb.18:                               ;   in Loop: Header=BB295_6 Depth=1
	v_mul_f32_e32 v2, s24, v25
	v_lshl_add_u64 v[20:21], v[10:11], 2, v[20:21]
	s_and_not1_b32 vcc_lo, exec_lo, s18
	s_cbranch_vccnz .LBB295_29
; %bb.19:                               ;   in Loop: Header=BB295_6 Depth=1
	flat_load_b32 v22, v[20:21]
	s_wait_loadcnt_dscnt 0x0
	v_fma_f32 v22, s19, v22, v2
	flat_store_b32 v[20:21], v22
	s_cbranch_execnz .LBB295_21
.LBB295_20:                             ;   in Loop: Header=BB295_6 Depth=1
	flat_store_b32 v[20:21], v2
.LBB295_21:                             ;   in Loop: Header=BB295_6 Depth=1
	s_wait_xcnt 0x0
	s_or_b32 exec_lo, exec_lo, s14
	v_lshl_add_u64 v[18:19], v[8:9], 2, v[18:19]
	s_and_saveexec_b32 s14, s12
	s_cbranch_execz .LBB295_25
; %bb.22:                               ;   in Loop: Header=BB295_6 Depth=1
	v_mul_f32_e32 v2, s24, v16
	s_delay_alu instid0(VALU_DEP_2)
	v_lshl_add_u64 v[20:21], v[4:5], 2, v[18:19]
	s_and_not1_b32 vcc_lo, exec_lo, s18
	s_cbranch_vccnz .LBB295_30
; %bb.23:                               ;   in Loop: Header=BB295_6 Depth=1
	flat_load_b32 v16, v[20:21]
	s_wait_loadcnt_dscnt 0x0
	v_fma_f32 v16, s19, v16, v2
	flat_store_b32 v[20:21], v16
	s_cbranch_execnz .LBB295_25
.LBB295_24:                             ;   in Loop: Header=BB295_6 Depth=1
	flat_store_b32 v[20:21], v2
.LBB295_25:                             ;   in Loop: Header=BB295_6 Depth=1
	s_wait_xcnt 0x0
	s_or_b32 exec_lo, exec_lo, s14
	s_and_saveexec_b32 s14, s20
	s_cbranch_execz .LBB295_5
; %bb.26:                               ;   in Loop: Header=BB295_6 Depth=1
	v_mul_f32_e32 v2, s24, v17
	v_lshl_add_u64 v[16:17], v[10:11], 2, v[18:19]
	s_and_not1_b32 vcc_lo, exec_lo, s18
	s_cbranch_vccnz .LBB295_31
; %bb.27:                               ;   in Loop: Header=BB295_6 Depth=1
	flat_load_b32 v18, v[16:17]
	s_wait_loadcnt_dscnt 0x0
	v_fma_f32 v18, s19, v18, v2
	flat_store_b32 v[16:17], v18
	s_cbranch_execnz .LBB295_5
	s_branch .LBB295_32
.LBB295_28:                             ;   in Loop: Header=BB295_6 Depth=1
	s_branch .LBB295_16
.LBB295_29:                             ;   in Loop: Header=BB295_6 Depth=1
	s_branch .LBB295_20
.LBB295_30:                             ;   in Loop: Header=BB295_6 Depth=1
	s_branch .LBB295_24
.LBB295_31:                             ;   in Loop: Header=BB295_6 Depth=1
.LBB295_32:                             ;   in Loop: Header=BB295_6 Depth=1
	flat_store_b32 v[16:17], v2
	s_branch .LBB295_5
.LBB295_33:
	s_endpgm
	.section	.rodata,"a",@progbits
	.p2align	6, 0x0
	.amdhsa_kernel _ZL29rocblas_internal_gemmt_kernelIiLi16ELi32ELi8ELc67ELc84ELc85ELb0ELb0EfPKfPKS1_PKPfEviT_T9_T10_S7_lS9_S7_lS8_T11_S7_li
		.amdhsa_group_segment_fixed_size 2048
		.amdhsa_private_segment_fixed_size 0
		.amdhsa_kernarg_size 100
		.amdhsa_user_sgpr_count 2
		.amdhsa_user_sgpr_dispatch_ptr 0
		.amdhsa_user_sgpr_queue_ptr 0
		.amdhsa_user_sgpr_kernarg_segment_ptr 1
		.amdhsa_user_sgpr_dispatch_id 0
		.amdhsa_user_sgpr_kernarg_preload_length 0
		.amdhsa_user_sgpr_kernarg_preload_offset 0
		.amdhsa_user_sgpr_private_segment_size 0
		.amdhsa_wavefront_size32 1
		.amdhsa_uses_dynamic_stack 0
		.amdhsa_enable_private_segment 0
		.amdhsa_system_sgpr_workgroup_id_x 1
		.amdhsa_system_sgpr_workgroup_id_y 1
		.amdhsa_system_sgpr_workgroup_id_z 1
		.amdhsa_system_sgpr_workgroup_info 0
		.amdhsa_system_vgpr_workitem_id 1
		.amdhsa_next_free_vgpr 56
		.amdhsa_next_free_sgpr 31
		.amdhsa_named_barrier_count 0
		.amdhsa_reserve_vcc 1
		.amdhsa_float_round_mode_32 0
		.amdhsa_float_round_mode_16_64 0
		.amdhsa_float_denorm_mode_32 3
		.amdhsa_float_denorm_mode_16_64 3
		.amdhsa_fp16_overflow 0
		.amdhsa_memory_ordered 1
		.amdhsa_forward_progress 1
		.amdhsa_inst_pref_size 14
		.amdhsa_round_robin_scheduling 0
		.amdhsa_exception_fp_ieee_invalid_op 0
		.amdhsa_exception_fp_denorm_src 0
		.amdhsa_exception_fp_ieee_div_zero 0
		.amdhsa_exception_fp_ieee_overflow 0
		.amdhsa_exception_fp_ieee_underflow 0
		.amdhsa_exception_fp_ieee_inexact 0
		.amdhsa_exception_int_div_zero 0
	.end_amdhsa_kernel
	.section	.text._ZL29rocblas_internal_gemmt_kernelIiLi16ELi32ELi8ELc67ELc84ELc85ELb0ELb0EfPKfPKS1_PKPfEviT_T9_T10_S7_lS9_S7_lS8_T11_S7_li,"axG",@progbits,_ZL29rocblas_internal_gemmt_kernelIiLi16ELi32ELi8ELc67ELc84ELc85ELb0ELb0EfPKfPKS1_PKPfEviT_T9_T10_S7_lS9_S7_lS8_T11_S7_li,comdat
.Lfunc_end295:
	.size	_ZL29rocblas_internal_gemmt_kernelIiLi16ELi32ELi8ELc67ELc84ELc85ELb0ELb0EfPKfPKS1_PKPfEviT_T9_T10_S7_lS9_S7_lS8_T11_S7_li, .Lfunc_end295-_ZL29rocblas_internal_gemmt_kernelIiLi16ELi32ELi8ELc67ELc84ELc85ELb0ELb0EfPKfPKS1_PKPfEviT_T9_T10_S7_lS9_S7_lS8_T11_S7_li
                                        ; -- End function
	.set _ZL29rocblas_internal_gemmt_kernelIiLi16ELi32ELi8ELc67ELc84ELc85ELb0ELb0EfPKfPKS1_PKPfEviT_T9_T10_S7_lS9_S7_lS8_T11_S7_li.num_vgpr, 56
	.set _ZL29rocblas_internal_gemmt_kernelIiLi16ELi32ELi8ELc67ELc84ELc85ELb0ELb0EfPKfPKS1_PKPfEviT_T9_T10_S7_lS9_S7_lS8_T11_S7_li.num_agpr, 0
	.set _ZL29rocblas_internal_gemmt_kernelIiLi16ELi32ELi8ELc67ELc84ELc85ELb0ELb0EfPKfPKS1_PKPfEviT_T9_T10_S7_lS9_S7_lS8_T11_S7_li.numbered_sgpr, 31
	.set _ZL29rocblas_internal_gemmt_kernelIiLi16ELi32ELi8ELc67ELc84ELc85ELb0ELb0EfPKfPKS1_PKPfEviT_T9_T10_S7_lS9_S7_lS8_T11_S7_li.num_named_barrier, 0
	.set _ZL29rocblas_internal_gemmt_kernelIiLi16ELi32ELi8ELc67ELc84ELc85ELb0ELb0EfPKfPKS1_PKPfEviT_T9_T10_S7_lS9_S7_lS8_T11_S7_li.private_seg_size, 0
	.set _ZL29rocblas_internal_gemmt_kernelIiLi16ELi32ELi8ELc67ELc84ELc85ELb0ELb0EfPKfPKS1_PKPfEviT_T9_T10_S7_lS9_S7_lS8_T11_S7_li.uses_vcc, 1
	.set _ZL29rocblas_internal_gemmt_kernelIiLi16ELi32ELi8ELc67ELc84ELc85ELb0ELb0EfPKfPKS1_PKPfEviT_T9_T10_S7_lS9_S7_lS8_T11_S7_li.uses_flat_scratch, 0
	.set _ZL29rocblas_internal_gemmt_kernelIiLi16ELi32ELi8ELc67ELc84ELc85ELb0ELb0EfPKfPKS1_PKPfEviT_T9_T10_S7_lS9_S7_lS8_T11_S7_li.has_dyn_sized_stack, 0
	.set _ZL29rocblas_internal_gemmt_kernelIiLi16ELi32ELi8ELc67ELc84ELc85ELb0ELb0EfPKfPKS1_PKPfEviT_T9_T10_S7_lS9_S7_lS8_T11_S7_li.has_recursion, 0
	.set _ZL29rocblas_internal_gemmt_kernelIiLi16ELi32ELi8ELc67ELc84ELc85ELb0ELb0EfPKfPKS1_PKPfEviT_T9_T10_S7_lS9_S7_lS8_T11_S7_li.has_indirect_call, 0
	.section	.AMDGPU.csdata,"",@progbits
; Kernel info:
; codeLenInByte = 1688
; TotalNumSgprs: 33
; NumVgprs: 56
; ScratchSize: 0
; MemoryBound: 0
; FloatMode: 240
; IeeeMode: 1
; LDSByteSize: 2048 bytes/workgroup (compile time only)
; SGPRBlocks: 0
; VGPRBlocks: 3
; NumSGPRsForWavesPerEU: 33
; NumVGPRsForWavesPerEU: 56
; NamedBarCnt: 0
; Occupancy: 16
; WaveLimiterHint : 1
; COMPUTE_PGM_RSRC2:SCRATCH_EN: 0
; COMPUTE_PGM_RSRC2:USER_SGPR: 2
; COMPUTE_PGM_RSRC2:TRAP_HANDLER: 0
; COMPUTE_PGM_RSRC2:TGID_X_EN: 1
; COMPUTE_PGM_RSRC2:TGID_Y_EN: 1
; COMPUTE_PGM_RSRC2:TGID_Z_EN: 1
; COMPUTE_PGM_RSRC2:TIDIG_COMP_CNT: 1
	.section	.text._ZL29rocblas_internal_gemmt_kernelIiLi16ELi32ELi8ELc67ELc67ELc85ELb0ELb0EfPKfPKS1_PKPfEviT_T9_T10_S7_lS9_S7_lS8_T11_S7_li,"axG",@progbits,_ZL29rocblas_internal_gemmt_kernelIiLi16ELi32ELi8ELc67ELc67ELc85ELb0ELb0EfPKfPKS1_PKPfEviT_T9_T10_S7_lS9_S7_lS8_T11_S7_li,comdat
	.globl	_ZL29rocblas_internal_gemmt_kernelIiLi16ELi32ELi8ELc67ELc67ELc85ELb0ELb0EfPKfPKS1_PKPfEviT_T9_T10_S7_lS9_S7_lS8_T11_S7_li ; -- Begin function _ZL29rocblas_internal_gemmt_kernelIiLi16ELi32ELi8ELc67ELc67ELc85ELb0ELb0EfPKfPKS1_PKPfEviT_T9_T10_S7_lS9_S7_lS8_T11_S7_li
	.p2align	8
	.type	_ZL29rocblas_internal_gemmt_kernelIiLi16ELi32ELi8ELc67ELc67ELc85ELb0ELb0EfPKfPKS1_PKPfEviT_T9_T10_S7_lS9_S7_lS8_T11_S7_li,@function
_ZL29rocblas_internal_gemmt_kernelIiLi16ELi32ELi8ELc67ELc67ELc85ELb0ELb0EfPKfPKS1_PKPfEviT_T9_T10_S7_lS9_S7_lS8_T11_S7_li: ; @_ZL29rocblas_internal_gemmt_kernelIiLi16ELi32ELi8ELc67ELc67ELc85ELb0ELb0EfPKfPKS1_PKPfEviT_T9_T10_S7_lS9_S7_lS8_T11_S7_li
; %bb.0:
	s_clause 0x1
	s_load_b128 s[12:15], s[0:1], 0x38
	s_load_b128 s[4:7], s[0:1], 0x8
	s_wait_kmcnt 0x0
	s_load_b32 s19, s[14:15], 0x0
	s_load_b64 s[20:21], s[0:1], 0x0
	s_load_b32 s24, s[4:5], 0x0
	s_wait_kmcnt 0x0
	s_cmp_neq_f32 s19, 1.0
	s_cselect_b32 s2, -1, 0
	s_delay_alu instid0(SALU_CYCLE_1)
	s_and_b32 vcc_lo, exec_lo, s2
	s_cbranch_vccnz .LBB296_2
; %bb.1:
	s_cmp_lg_u32 s21, 0
	s_cselect_b32 s2, -1, 0
	s_cmp_neq_f32 s24, 0
	s_cselect_b32 s3, -1, 0
	s_delay_alu instid0(SALU_CYCLE_1)
	s_and_b32 s2, s2, s3
.LBB296_2:
	s_delay_alu instid0(SALU_CYCLE_1)
	s_and_not1_b32 vcc_lo, exec_lo, s2
	s_cbranch_vccnz .LBB296_33
; %bb.3:
	s_load_b32 s25, s[0:1], 0x60
	s_bfe_u32 s2, ttmp6, 0x40014
	s_lshr_b32 s3, ttmp7, 16
	s_add_co_i32 s2, s2, 1
	s_bfe_u32 s4, ttmp6, 0x40008
	s_mul_i32 s2, s3, s2
	s_getreg_b32 s26, hwreg(HW_REG_IB_STS2, 6, 4)
	s_add_co_i32 s4, s4, s2
	s_cmp_eq_u32 s26, 0
	s_mov_b32 s5, 0
	s_cselect_b32 s4, s3, s4
	s_wait_kmcnt 0x0
	s_cmp_ge_u32 s4, s25
	s_cbranch_scc1 .LBB296_33
; %bb.4:
	s_clause 0x3
	s_load_b32 s2, s[0:1], 0x18
	s_load_b32 s14, s[0:1], 0x30
	s_load_b96 s[16:18], s[0:1], 0x48
	s_load_b128 s[8:11], s[0:1], 0x20
	v_and_b32_e32 v2, 0x3ff, v0
	v_bfe_u32 v11, v0, 10, 10
	s_load_b64 s[22:23], s[0:1], 0x58
	s_wait_xcnt 0x0
	s_bfe_u32 s1, ttmp6, 0x4000c
	s_bfe_u32 s3, ttmp6, 0x40010
	s_and_b32 s28, ttmp7, 0xffff
	s_add_co_i32 s1, s1, 1
	s_add_co_i32 s3, s3, 1
	v_lshl_add_u32 v1, v11, 4, v2
	s_and_b32 s0, ttmp6, 15
	s_mul_i32 s1, ttmp9, s1
	s_mul_i32 s29, s28, s3
	s_bfe_u32 s30, ttmp6, 0x40004
	s_add_co_i32 s0, s0, s1
	s_add_co_i32 s30, s30, s29
	v_dual_lshrrev_b32 v7, 3, v1 :: v_dual_bitop2_b32 v6, 31, v1 bitop3:0x40
	s_wait_kmcnt 0x0
	s_ashr_i32 s3, s2, 31
	s_ashr_i32 s15, s14, 31
	;; [unrolled: 1-line block ×3, first 2 shown]
	s_cmp_eq_u32 s26, 0
	v_dual_lshrrev_b32 v26, 5, v1 :: v_dual_bitop2_b32 v0, 7, v0 bitop3:0x40
	s_cselect_b32 s0, ttmp9, s0
	s_cselect_b32 s1, s28, s30
	s_lshl_b32 s28, s0, 5
	s_delay_alu instid0(SALU_CYCLE_1) | instskip(SKIP_2) | instid1(VALU_DEP_1)
	v_dual_mov_b32 v3, 0 :: v_dual_bitop2_b32 v4, s28, v6 bitop3:0x54
	s_lshl_b32 s0, s1, 5
	s_mov_b32 s26, s18
	v_dual_mov_b32 v1, v3 :: v_dual_add_nc_u32 v12, s0, v11
	s_delay_alu instid0(VALU_DEP_2) | instskip(SKIP_1) | instid1(VALU_DEP_3)
	v_dual_ashrrev_i32 v5, 31, v4 :: v_dual_add_nc_u32 v14, s0, v7
	v_cmp_gt_i32_e64 s0, s20, v4
	v_add_nc_u32_e32 v20, 16, v12
	s_delay_alu instid0(VALU_DEP_4) | instskip(NEXT) | instid1(VALU_DEP_4)
	v_mul_u64_e32 v[18:19], s[14:15], v[0:1]
	v_mul_u64_e32 v[16:17], s[2:3], v[4:5]
	v_dual_lshlrev_b32 v5, 2, v6 :: v_dual_lshlrev_b32 v6, 2, v0
	v_dual_add_nc_u32 v4, s28, v2 :: v_dual_ashrrev_i32 v13, 31, v12
	v_dual_ashrrev_i32 v15, 31, v14 :: v_dual_ashrrev_i32 v21, 31, v20
	v_lshlrev_b32_e32 v28, 2, v2
	s_delay_alu instid0(VALU_DEP_4)
	v_lshl_or_b32 v1, v26, 7, v5
	v_lshl_or_b32 v5, v7, 5, v6
	v_mul_u64_e32 v[6:7], s[26:27], v[12:13]
	v_mul_u64_e32 v[8:9], s[26:27], v[20:21]
	s_cmp_neq_f32 s24, 0
	v_add_nc_u32_e32 v10, 16, v4
	v_add_nc_u32_e32 v27, 0x400, v5
	v_cmp_gt_i32_e32 vcc_lo, s20, v12
	s_cselect_b32 s29, -1, 0
	s_cmp_gt_i32 s21, 0
	v_cmp_le_i32_e64 s2, v4, v12
	s_cselect_b32 s30, -1, 0
	s_cmp_neq_f32 s19, 0
	v_ashrrev_i32_e32 v5, 31, v4
	v_cmp_le_i32_e64 s3, v10, v12
	v_lshlrev_b32_e32 v2, 2, v26
	s_cselect_b32 s18, -1, 0
	s_lshl_b64 s[8:9], s[8:9], 2
	s_and_b32 s26, vcc_lo, s2
	s_and_b32 s27, vcc_lo, s3
	v_cmp_gt_i32_e32 vcc_lo, s20, v20
	v_cmp_le_i32_e64 s2, v4, v20
	v_cmp_gt_i32_e64 s1, s20, v14
	v_lshl_add_u32 v29, v11, 5, 0x400
	v_lshl_add_u64 v[12:13], v[16:17], 2, s[8:9]
	s_lshl_b64 s[8:9], s[12:13], 2
	s_and_b32 s12, vcc_lo, s2
	v_lshl_add_u64 v[16:17], v[18:19], 2, s[8:9]
	v_cmp_le_i32_e64 s2, v10, v20
	v_add_nc_u64_e32 v[12:13], v[12:13], v[2:3]
	v_ashrrev_i32_e32 v11, 31, v10
	s_and_b32 s13, s29, s30
	v_lshl_add_u64 v[14:15], v[14:15], 2, v[16:17]
	s_and_b32 s20, vcc_lo, s2
	s_lshl_b64 s[2:3], s[14:15], 5
	s_lshl_b64 s[8:9], s[22:23], 2
	s_branch .LBB296_6
.LBB296_5:                              ;   in Loop: Header=BB296_6 Depth=1
	s_wait_xcnt 0x0
	s_or_b32 exec_lo, exec_lo, s14
	s_add_co_i32 s4, s4, 0x10000
	s_delay_alu instid0(SALU_CYCLE_1)
	s_cmp_lt_u32 s4, s25
	s_cbranch_scc0 .LBB296_33
.LBB296_6:                              ; =>This Loop Header: Depth=1
                                        ;     Child Loop BB296_9 Depth 2
	v_dual_mov_b32 v2, s4 :: v_dual_mov_b32 v25, 0
	v_dual_mov_b32 v24, 0 :: v_dual_mov_b32 v17, 0
	v_mov_b32_e32 v16, 0
	global_load_b64 v[18:19], v2, s[16:17] scale_offset
	s_and_not1_b32 vcc_lo, exec_lo, s13
	s_cbranch_vccnz .LBB296_13
; %bb.7:                                ;   in Loop: Header=BB296_6 Depth=1
	s_lshl_b64 s[14:15], s[4:5], 3
	v_mov_b32_e32 v16, 0
	s_add_nc_u64 s[22:23], s[6:7], s[14:15]
	s_add_nc_u64 s[14:15], s[10:11], s[14:15]
	s_clause 0x1
	global_load_b64 v[20:21], v3, s[22:23]
	global_load_b64 v[22:23], v3, s[14:15]
	s_wait_xcnt 0x0
	s_mov_b32 s14, 0
	v_dual_mov_b32 v17, v16 :: v_dual_mov_b32 v24, v16
	v_mov_b32_e32 v25, v16
	s_wait_loadcnt 0x1
	v_add_nc_u64_e32 v[20:21], v[20:21], v[12:13]
	s_wait_loadcnt 0x0
	v_add_nc_u64_e32 v[22:23], v[22:23], v[14:15]
	s_branch .LBB296_9
.LBB296_8:                              ;   in Loop: Header=BB296_9 Depth=2
	s_wait_xcnt 0x0
	s_or_b32 exec_lo, exec_lo, s15
	s_wait_loadcnt_dscnt 0x0
	ds_store_b32 v27, v30
	s_wait_dscnt 0x0
	s_barrier_signal -1
	s_barrier_wait -1
	ds_load_b128 v[30:33], v29
	ds_load_2addr_b32 v[46:47], v28 offset1:16
	ds_load_b128 v[34:37], v29 offset:512
	ds_load_2addr_b32 v[48:49], v28 offset0:32 offset1:48
	ds_load_2addr_b32 v[50:51], v28 offset0:64 offset1:80
	;; [unrolled: 1-line block ×3, first 2 shown]
	ds_load_b128 v[38:41], v29 offset:16
	ds_load_2addr_b32 v[54:55], v28 offset0:128 offset1:144
	ds_load_b128 v[42:45], v29 offset:528
	v_add_nc_u64_e32 v[20:21], 32, v[20:21]
	v_add_nc_u64_e32 v[22:23], s[2:3], v[22:23]
	s_add_co_i32 s14, s14, 8
	s_delay_alu instid0(SALU_CYCLE_1)
	s_cmp_lt_i32 s14, s21
	s_wait_dscnt 0x8
	v_mov_b32_e32 v2, v33
	s_wait_dscnt 0x7
	v_pk_fma_f32 v[24:25], v[46:47], v[30:31], v[24:25] op_sel_hi:[1,0,1]
	s_wait_dscnt 0x6
	v_pk_fma_f32 v[16:17], v[46:47], v[34:35], v[16:17] op_sel_hi:[1,0,1]
	ds_load_2addr_b32 v[46:47], v28 offset0:160 offset1:176
	s_wait_dscnt 0x6
	v_pk_fma_f32 v[24:25], v[48:49], v[30:31], v[24:25] op_sel:[0,1,0]
	v_pk_fma_f32 v[16:17], v[48:49], v[34:35], v[16:17] op_sel:[0,1,0]
	ds_load_2addr_b32 v[30:31], v28 offset0:192 offset1:208
	v_mov_b32_e32 v34, v37
	s_wait_dscnt 0x6
	v_pk_fma_f32 v[24:25], v[50:51], v[32:33], v[24:25] op_sel_hi:[1,0,1]
	v_pk_fma_f32 v[16:17], v[50:51], v[36:37], v[16:17] op_sel_hi:[1,0,1]
	ds_load_2addr_b32 v[32:33], v28 offset0:224 offset1:240
	s_wait_dscnt 0x0
	s_barrier_signal -1
	v_pk_fma_f32 v[24:25], v[52:53], v[2:3], v[24:25] op_sel_hi:[1,0,1]
	v_pk_fma_f32 v[16:17], v[52:53], v[34:35], v[16:17] op_sel_hi:[1,0,1]
	v_dual_mov_b32 v2, v41 :: v_dual_mov_b32 v34, v45
	s_barrier_wait -1
	s_delay_alu instid0(VALU_DEP_3) | instskip(NEXT) | instid1(VALU_DEP_3)
	v_pk_fma_f32 v[24:25], v[54:55], v[38:39], v[24:25] op_sel_hi:[1,0,1]
	v_pk_fma_f32 v[16:17], v[54:55], v[42:43], v[16:17] op_sel_hi:[1,0,1]
	s_delay_alu instid0(VALU_DEP_2) | instskip(NEXT) | instid1(VALU_DEP_2)
	v_pk_fma_f32 v[24:25], v[46:47], v[38:39], v[24:25] op_sel:[0,1,0]
	v_pk_fma_f32 v[16:17], v[46:47], v[42:43], v[16:17] op_sel:[0,1,0]
	s_delay_alu instid0(VALU_DEP_2) | instskip(NEXT) | instid1(VALU_DEP_2)
	v_pk_fma_f32 v[24:25], v[30:31], v[40:41], v[24:25] op_sel_hi:[1,0,1]
	v_pk_fma_f32 v[16:17], v[30:31], v[44:45], v[16:17] op_sel_hi:[1,0,1]
	s_delay_alu instid0(VALU_DEP_2) | instskip(NEXT) | instid1(VALU_DEP_2)
	v_pk_fma_f32 v[24:25], v[32:33], v[2:3], v[24:25] op_sel_hi:[1,0,1]
	v_pk_fma_f32 v[16:17], v[32:33], v[34:35], v[16:17] op_sel_hi:[1,0,1]
	s_cbranch_scc0 .LBB296_13
.LBB296_9:                              ;   Parent Loop BB296_6 Depth=1
                                        ; =>  This Inner Loop Header: Depth=2
	v_add_nc_u32_e32 v2, s14, v26
	s_delay_alu instid0(VALU_DEP_1) | instskip(SKIP_2) | instid1(SALU_CYCLE_1)
	v_cmp_gt_i32_e32 vcc_lo, s21, v2
	v_mov_b32_e32 v2, 0
	s_and_b32 s22, s0, vcc_lo
	s_and_saveexec_b32 s15, s22
	s_cbranch_execz .LBB296_11
; %bb.10:                               ;   in Loop: Header=BB296_9 Depth=2
	flat_load_b32 v2, v[20:21]
.LBB296_11:                             ;   in Loop: Header=BB296_9 Depth=2
	s_wait_xcnt 0x0
	s_or_b32 exec_lo, exec_lo, s15
	v_add_nc_u32_e32 v30, s14, v0
	s_wait_loadcnt_dscnt 0x0
	ds_store_b32 v1, v2
	v_cmp_gt_i32_e32 vcc_lo, s21, v30
	v_mov_b32_e32 v30, 0
	s_and_b32 s22, vcc_lo, s1
	s_delay_alu instid0(SALU_CYCLE_1)
	s_and_saveexec_b32 s15, s22
	s_cbranch_execz .LBB296_8
; %bb.12:                               ;   in Loop: Header=BB296_9 Depth=2
	flat_load_b32 v30, v[22:23]
	s_branch .LBB296_8
.LBB296_13:                             ;   in Loop: Header=BB296_6 Depth=1
	s_wait_loadcnt 0x0
	v_add_nc_u64_e32 v[18:19], s[8:9], v[18:19]
	s_delay_alu instid0(VALU_DEP_1)
	v_lshl_add_u64 v[20:21], v[6:7], 2, v[18:19]
	s_wait_xcnt 0x0
	s_and_saveexec_b32 s14, s26
	s_cbranch_execz .LBB296_17
; %bb.14:                               ;   in Loop: Header=BB296_6 Depth=1
	v_mul_f32_e32 v2, s24, v24
	v_lshl_add_u64 v[22:23], v[4:5], 2, v[20:21]
	s_and_b32 vcc_lo, exec_lo, s18
	s_cbranch_vccz .LBB296_28
; %bb.15:                               ;   in Loop: Header=BB296_6 Depth=1
	flat_load_b32 v24, v[22:23]
	s_wait_loadcnt_dscnt 0x0
	v_fma_f32 v24, s19, v24, v2
	flat_store_b32 v[22:23], v24
	s_cbranch_execnz .LBB296_17
.LBB296_16:                             ;   in Loop: Header=BB296_6 Depth=1
	flat_store_b32 v[22:23], v2
.LBB296_17:                             ;   in Loop: Header=BB296_6 Depth=1
	s_wait_xcnt 0x0
	s_or_b32 exec_lo, exec_lo, s14
	s_and_saveexec_b32 s14, s27
	s_cbranch_execz .LBB296_21
; %bb.18:                               ;   in Loop: Header=BB296_6 Depth=1
	v_mul_f32_e32 v2, s24, v25
	v_lshl_add_u64 v[20:21], v[10:11], 2, v[20:21]
	s_and_not1_b32 vcc_lo, exec_lo, s18
	s_cbranch_vccnz .LBB296_29
; %bb.19:                               ;   in Loop: Header=BB296_6 Depth=1
	flat_load_b32 v22, v[20:21]
	s_wait_loadcnt_dscnt 0x0
	v_fma_f32 v22, s19, v22, v2
	flat_store_b32 v[20:21], v22
	s_cbranch_execnz .LBB296_21
.LBB296_20:                             ;   in Loop: Header=BB296_6 Depth=1
	flat_store_b32 v[20:21], v2
.LBB296_21:                             ;   in Loop: Header=BB296_6 Depth=1
	s_wait_xcnt 0x0
	s_or_b32 exec_lo, exec_lo, s14
	v_lshl_add_u64 v[18:19], v[8:9], 2, v[18:19]
	s_and_saveexec_b32 s14, s12
	s_cbranch_execz .LBB296_25
; %bb.22:                               ;   in Loop: Header=BB296_6 Depth=1
	v_mul_f32_e32 v2, s24, v16
	s_delay_alu instid0(VALU_DEP_2)
	v_lshl_add_u64 v[20:21], v[4:5], 2, v[18:19]
	s_and_not1_b32 vcc_lo, exec_lo, s18
	s_cbranch_vccnz .LBB296_30
; %bb.23:                               ;   in Loop: Header=BB296_6 Depth=1
	flat_load_b32 v16, v[20:21]
	s_wait_loadcnt_dscnt 0x0
	v_fma_f32 v16, s19, v16, v2
	flat_store_b32 v[20:21], v16
	s_cbranch_execnz .LBB296_25
.LBB296_24:                             ;   in Loop: Header=BB296_6 Depth=1
	flat_store_b32 v[20:21], v2
.LBB296_25:                             ;   in Loop: Header=BB296_6 Depth=1
	s_wait_xcnt 0x0
	s_or_b32 exec_lo, exec_lo, s14
	s_and_saveexec_b32 s14, s20
	s_cbranch_execz .LBB296_5
; %bb.26:                               ;   in Loop: Header=BB296_6 Depth=1
	v_mul_f32_e32 v2, s24, v17
	v_lshl_add_u64 v[16:17], v[10:11], 2, v[18:19]
	s_and_not1_b32 vcc_lo, exec_lo, s18
	s_cbranch_vccnz .LBB296_31
; %bb.27:                               ;   in Loop: Header=BB296_6 Depth=1
	flat_load_b32 v18, v[16:17]
	s_wait_loadcnt_dscnt 0x0
	v_fma_f32 v18, s19, v18, v2
	flat_store_b32 v[16:17], v18
	s_cbranch_execnz .LBB296_5
	s_branch .LBB296_32
.LBB296_28:                             ;   in Loop: Header=BB296_6 Depth=1
	s_branch .LBB296_16
.LBB296_29:                             ;   in Loop: Header=BB296_6 Depth=1
	s_branch .LBB296_20
.LBB296_30:                             ;   in Loop: Header=BB296_6 Depth=1
	s_branch .LBB296_24
.LBB296_31:                             ;   in Loop: Header=BB296_6 Depth=1
.LBB296_32:                             ;   in Loop: Header=BB296_6 Depth=1
	flat_store_b32 v[16:17], v2
	s_branch .LBB296_5
.LBB296_33:
	s_endpgm
	.section	.rodata,"a",@progbits
	.p2align	6, 0x0
	.amdhsa_kernel _ZL29rocblas_internal_gemmt_kernelIiLi16ELi32ELi8ELc67ELc67ELc85ELb0ELb0EfPKfPKS1_PKPfEviT_T9_T10_S7_lS9_S7_lS8_T11_S7_li
		.amdhsa_group_segment_fixed_size 2048
		.amdhsa_private_segment_fixed_size 0
		.amdhsa_kernarg_size 100
		.amdhsa_user_sgpr_count 2
		.amdhsa_user_sgpr_dispatch_ptr 0
		.amdhsa_user_sgpr_queue_ptr 0
		.amdhsa_user_sgpr_kernarg_segment_ptr 1
		.amdhsa_user_sgpr_dispatch_id 0
		.amdhsa_user_sgpr_kernarg_preload_length 0
		.amdhsa_user_sgpr_kernarg_preload_offset 0
		.amdhsa_user_sgpr_private_segment_size 0
		.amdhsa_wavefront_size32 1
		.amdhsa_uses_dynamic_stack 0
		.amdhsa_enable_private_segment 0
		.amdhsa_system_sgpr_workgroup_id_x 1
		.amdhsa_system_sgpr_workgroup_id_y 1
		.amdhsa_system_sgpr_workgroup_id_z 1
		.amdhsa_system_sgpr_workgroup_info 0
		.amdhsa_system_vgpr_workitem_id 1
		.amdhsa_next_free_vgpr 56
		.amdhsa_next_free_sgpr 31
		.amdhsa_named_barrier_count 0
		.amdhsa_reserve_vcc 1
		.amdhsa_float_round_mode_32 0
		.amdhsa_float_round_mode_16_64 0
		.amdhsa_float_denorm_mode_32 3
		.amdhsa_float_denorm_mode_16_64 3
		.amdhsa_fp16_overflow 0
		.amdhsa_memory_ordered 1
		.amdhsa_forward_progress 1
		.amdhsa_inst_pref_size 14
		.amdhsa_round_robin_scheduling 0
		.amdhsa_exception_fp_ieee_invalid_op 0
		.amdhsa_exception_fp_denorm_src 0
		.amdhsa_exception_fp_ieee_div_zero 0
		.amdhsa_exception_fp_ieee_overflow 0
		.amdhsa_exception_fp_ieee_underflow 0
		.amdhsa_exception_fp_ieee_inexact 0
		.amdhsa_exception_int_div_zero 0
	.end_amdhsa_kernel
	.section	.text._ZL29rocblas_internal_gemmt_kernelIiLi16ELi32ELi8ELc67ELc67ELc85ELb0ELb0EfPKfPKS1_PKPfEviT_T9_T10_S7_lS9_S7_lS8_T11_S7_li,"axG",@progbits,_ZL29rocblas_internal_gemmt_kernelIiLi16ELi32ELi8ELc67ELc67ELc85ELb0ELb0EfPKfPKS1_PKPfEviT_T9_T10_S7_lS9_S7_lS8_T11_S7_li,comdat
.Lfunc_end296:
	.size	_ZL29rocblas_internal_gemmt_kernelIiLi16ELi32ELi8ELc67ELc67ELc85ELb0ELb0EfPKfPKS1_PKPfEviT_T9_T10_S7_lS9_S7_lS8_T11_S7_li, .Lfunc_end296-_ZL29rocblas_internal_gemmt_kernelIiLi16ELi32ELi8ELc67ELc67ELc85ELb0ELb0EfPKfPKS1_PKPfEviT_T9_T10_S7_lS9_S7_lS8_T11_S7_li
                                        ; -- End function
	.set _ZL29rocblas_internal_gemmt_kernelIiLi16ELi32ELi8ELc67ELc67ELc85ELb0ELb0EfPKfPKS1_PKPfEviT_T9_T10_S7_lS9_S7_lS8_T11_S7_li.num_vgpr, 56
	.set _ZL29rocblas_internal_gemmt_kernelIiLi16ELi32ELi8ELc67ELc67ELc85ELb0ELb0EfPKfPKS1_PKPfEviT_T9_T10_S7_lS9_S7_lS8_T11_S7_li.num_agpr, 0
	.set _ZL29rocblas_internal_gemmt_kernelIiLi16ELi32ELi8ELc67ELc67ELc85ELb0ELb0EfPKfPKS1_PKPfEviT_T9_T10_S7_lS9_S7_lS8_T11_S7_li.numbered_sgpr, 31
	.set _ZL29rocblas_internal_gemmt_kernelIiLi16ELi32ELi8ELc67ELc67ELc85ELb0ELb0EfPKfPKS1_PKPfEviT_T9_T10_S7_lS9_S7_lS8_T11_S7_li.num_named_barrier, 0
	.set _ZL29rocblas_internal_gemmt_kernelIiLi16ELi32ELi8ELc67ELc67ELc85ELb0ELb0EfPKfPKS1_PKPfEviT_T9_T10_S7_lS9_S7_lS8_T11_S7_li.private_seg_size, 0
	.set _ZL29rocblas_internal_gemmt_kernelIiLi16ELi32ELi8ELc67ELc67ELc85ELb0ELb0EfPKfPKS1_PKPfEviT_T9_T10_S7_lS9_S7_lS8_T11_S7_li.uses_vcc, 1
	.set _ZL29rocblas_internal_gemmt_kernelIiLi16ELi32ELi8ELc67ELc67ELc85ELb0ELb0EfPKfPKS1_PKPfEviT_T9_T10_S7_lS9_S7_lS8_T11_S7_li.uses_flat_scratch, 0
	.set _ZL29rocblas_internal_gemmt_kernelIiLi16ELi32ELi8ELc67ELc67ELc85ELb0ELb0EfPKfPKS1_PKPfEviT_T9_T10_S7_lS9_S7_lS8_T11_S7_li.has_dyn_sized_stack, 0
	.set _ZL29rocblas_internal_gemmt_kernelIiLi16ELi32ELi8ELc67ELc67ELc85ELb0ELb0EfPKfPKS1_PKPfEviT_T9_T10_S7_lS9_S7_lS8_T11_S7_li.has_recursion, 0
	.set _ZL29rocblas_internal_gemmt_kernelIiLi16ELi32ELi8ELc67ELc67ELc85ELb0ELb0EfPKfPKS1_PKPfEviT_T9_T10_S7_lS9_S7_lS8_T11_S7_li.has_indirect_call, 0
	.section	.AMDGPU.csdata,"",@progbits
; Kernel info:
; codeLenInByte = 1688
; TotalNumSgprs: 33
; NumVgprs: 56
; ScratchSize: 0
; MemoryBound: 0
; FloatMode: 240
; IeeeMode: 1
; LDSByteSize: 2048 bytes/workgroup (compile time only)
; SGPRBlocks: 0
; VGPRBlocks: 3
; NumSGPRsForWavesPerEU: 33
; NumVGPRsForWavesPerEU: 56
; NamedBarCnt: 0
; Occupancy: 16
; WaveLimiterHint : 1
; COMPUTE_PGM_RSRC2:SCRATCH_EN: 0
; COMPUTE_PGM_RSRC2:USER_SGPR: 2
; COMPUTE_PGM_RSRC2:TRAP_HANDLER: 0
; COMPUTE_PGM_RSRC2:TGID_X_EN: 1
; COMPUTE_PGM_RSRC2:TGID_Y_EN: 1
; COMPUTE_PGM_RSRC2:TGID_Z_EN: 1
; COMPUTE_PGM_RSRC2:TIDIG_COMP_CNT: 1
	.section	.text._ZL29rocblas_internal_gemmt_kernelIiLi16ELi32ELi8ELc78ELc78ELc76ELb0ELb0EfPKfPKS1_PKPfEviT_T9_T10_S7_lS9_S7_lS8_T11_S7_li,"axG",@progbits,_ZL29rocblas_internal_gemmt_kernelIiLi16ELi32ELi8ELc78ELc78ELc76ELb0ELb0EfPKfPKS1_PKPfEviT_T9_T10_S7_lS9_S7_lS8_T11_S7_li,comdat
	.globl	_ZL29rocblas_internal_gemmt_kernelIiLi16ELi32ELi8ELc78ELc78ELc76ELb0ELb0EfPKfPKS1_PKPfEviT_T9_T10_S7_lS9_S7_lS8_T11_S7_li ; -- Begin function _ZL29rocblas_internal_gemmt_kernelIiLi16ELi32ELi8ELc78ELc78ELc76ELb0ELb0EfPKfPKS1_PKPfEviT_T9_T10_S7_lS9_S7_lS8_T11_S7_li
	.p2align	8
	.type	_ZL29rocblas_internal_gemmt_kernelIiLi16ELi32ELi8ELc78ELc78ELc76ELb0ELb0EfPKfPKS1_PKPfEviT_T9_T10_S7_lS9_S7_lS8_T11_S7_li,@function
_ZL29rocblas_internal_gemmt_kernelIiLi16ELi32ELi8ELc78ELc78ELc76ELb0ELb0EfPKfPKS1_PKPfEviT_T9_T10_S7_lS9_S7_lS8_T11_S7_li: ; @_ZL29rocblas_internal_gemmt_kernelIiLi16ELi32ELi8ELc78ELc78ELc76ELb0ELb0EfPKfPKS1_PKPfEviT_T9_T10_S7_lS9_S7_lS8_T11_S7_li
; %bb.0:
	s_clause 0x1
	s_load_b128 s[12:15], s[0:1], 0x38
	s_load_b128 s[4:7], s[0:1], 0x8
	s_wait_kmcnt 0x0
	s_load_b32 s19, s[14:15], 0x0
	s_load_b64 s[20:21], s[0:1], 0x0
	s_load_b32 s26, s[4:5], 0x0
	s_wait_kmcnt 0x0
	s_cmp_neq_f32 s19, 1.0
	s_cselect_b32 s2, -1, 0
	s_delay_alu instid0(SALU_CYCLE_1)
	s_and_b32 vcc_lo, exec_lo, s2
	s_cbranch_vccnz .LBB297_2
; %bb.1:
	s_cmp_lg_u32 s21, 0
	s_cselect_b32 s2, -1, 0
	s_cmp_neq_f32 s26, 0
	s_cselect_b32 s3, -1, 0
	s_delay_alu instid0(SALU_CYCLE_1)
	s_and_b32 s2, s2, s3
.LBB297_2:
	s_delay_alu instid0(SALU_CYCLE_1)
	s_and_not1_b32 vcc_lo, exec_lo, s2
	s_cbranch_vccnz .LBB297_33
; %bb.3:
	s_load_b32 s27, s[0:1], 0x60
	s_bfe_u32 s2, ttmp6, 0x40014
	s_lshr_b32 s3, ttmp7, 16
	s_add_co_i32 s2, s2, 1
	s_bfe_u32 s5, ttmp6, 0x40008
	s_mul_i32 s2, s3, s2
	s_getreg_b32 s4, hwreg(HW_REG_IB_STS2, 6, 4)
	s_add_co_i32 s5, s5, s2
	s_cmp_eq_u32 s4, 0
	s_mov_b32 s15, 0
	s_cselect_b32 s14, s3, s5
	s_wait_kmcnt 0x0
	s_cmp_ge_u32 s14, s27
	s_cbranch_scc1 .LBB297_33
; %bb.4:
	s_clause 0x3
	s_load_b32 s22, s[0:1], 0x18
	s_load_b32 s2, s[0:1], 0x30
	s_load_b96 s[16:18], s[0:1], 0x48
	s_load_b128 s[8:11], s[0:1], 0x20
	v_and_b32_e32 v3, 0x3ff, v0
	v_bfe_u32 v9, v0, 10, 10
	s_load_b64 s[24:25], s[0:1], 0x58
	s_wait_xcnt 0x0
	s_bfe_u32 s1, ttmp6, 0x4000c
	s_bfe_u32 s3, ttmp6, 0x40010
	s_and_b32 s28, ttmp7, 0xffff
	s_add_co_i32 s1, s1, 1
	s_add_co_i32 s29, s3, 1
	v_lshl_add_u32 v1, v9, 4, v3
	s_and_b32 s0, ttmp6, 15
	s_mul_i32 s1, ttmp9, s1
	s_mul_i32 s29, s28, s29
	s_bfe_u32 s30, ttmp6, 0x40004
	s_add_co_i32 s0, s0, s1
	s_add_co_i32 s30, s30, s29
	v_dual_lshrrev_b32 v2, 3, v1 :: v_dual_bitop2_b32 v6, 31, v1 bitop3:0x40
	s_wait_kmcnt 0x0
	s_ashr_i32 s23, s22, 31
	s_ashr_i32 s3, s2, 31
	;; [unrolled: 1-line block ×3, first 2 shown]
	s_cmp_eq_u32 s4, 0
	v_dual_lshrrev_b32 v0, 5, v1 :: v_dual_bitop2_b32 v24, 7, v0 bitop3:0x40
	s_cselect_b32 s1, s28, s30
	s_cselect_b32 s0, ttmp9, s0
	s_lshl_b32 s1, s1, 5
	s_lshl_b32 s28, s0, 5
	v_dual_mov_b32 v1, 0 :: v_dual_add_nc_u32 v4, s1, v2
	v_dual_add_nc_u32 v14, s1, v9 :: v_dual_bitop2_b32 v10, s28, v6 bitop3:0x54
	s_mov_b32 s4, s18
	s_delay_alu instid0(VALU_DEP_2) | instskip(NEXT) | instid1(VALU_DEP_3)
	v_ashrrev_i32_e32 v5, 31, v4
	v_mul_u64_e32 v[12:13], s[22:23], v[0:1]
	v_cmp_gt_i32_e64 s1, s20, v4
	v_lshlrev_b32_e32 v20, 2, v24
	s_cmp_neq_f32 s26, 0
	v_mul_u64_e32 v[16:17], s[2:3], v[4:5]
	v_lshlrev_b32_e32 v5, 2, v6
	v_dual_add_nc_u32 v18, 16, v14 :: v_dual_ashrrev_i32 v15, 31, v14
	v_lshl_or_b32 v8, v2, 5, v20
	v_add_nc_u32_e32 v2, s28, v3
	s_delay_alu instid0(VALU_DEP_4) | instskip(NEXT) | instid1(VALU_DEP_4)
	v_lshl_or_b32 v25, v0, 7, v5
	v_dual_ashrrev_i32 v19, 31, v18 :: v_dual_lshlrev_b32 v27, 2, v3
	v_mul_u64_e32 v[4:5], s[4:5], v[14:15]
	s_cselect_b32 s29, -1, 0
	s_cmp_gt_i32 s21, 0
	s_delay_alu instid0(VALU_DEP_2)
	v_mul_u64_e32 v[6:7], s[4:5], v[18:19]
	s_cselect_b32 s30, -1, 0
	s_cmp_neq_f32 s19, 0
	v_dual_mov_b32 v21, v1 :: v_dual_add_nc_u32 v26, 0x400, v8
	v_dual_add_nc_u32 v8, 16, v2 :: v_dual_ashrrev_i32 v3, 31, v2
	v_cmp_le_i32_e32 vcc_lo, v14, v2
	v_cmp_gt_i32_e64 s2, s20, v2
	s_cselect_b32 s18, -1, 0
	s_lshl_b64 s[8:9], s[8:9], 2
	v_cmp_gt_i32_e64 s0, s20, v10
	v_cmp_le_i32_e64 s3, v14, v8
	v_cmp_gt_i32_e64 s4, s20, v8
	s_and_b32 s20, vcc_lo, s2
	v_cmp_le_i32_e32 vcc_lo, v18, v2
	v_lshl_add_u64 v[12:13], v[12:13], 2, s[8:9]
	s_lshl_b64 s[8:9], s[12:13], 2
	v_ashrrev_i32_e32 v11, 31, v10
	v_lshl_add_u32 v28, v9, 5, 0x400
	v_lshl_add_u64 v[14:15], v[16:17], 2, s[8:9]
	v_ashrrev_i32_e32 v9, 31, v8
	s_and_b32 s8, vcc_lo, s2
	v_cmp_le_i32_e32 vcc_lo, v18, v8
	v_lshl_add_u64 v[10:11], v[10:11], 2, v[12:13]
	v_add_nc_u64_e32 v[12:13], v[14:15], v[20:21]
	s_and_b32 s28, s3, s4
	s_and_b32 s9, s29, s30
	s_and_b32 s12, vcc_lo, s4
	s_lshl_b64 s[2:3], s[22:23], 5
	s_lshl_b64 s[4:5], s[24:25], 2
	s_branch .LBB297_6
.LBB297_5:                              ;   in Loop: Header=BB297_6 Depth=1
	s_wait_xcnt 0x0
	s_or_b32 exec_lo, exec_lo, s13
	s_add_co_i32 s14, s14, 0x10000
	s_delay_alu instid0(SALU_CYCLE_1)
	s_cmp_lt_u32 s14, s27
	s_cbranch_scc0 .LBB297_33
.LBB297_6:                              ; =>This Loop Header: Depth=1
                                        ;     Child Loop BB297_9 Depth 2
	v_dual_mov_b32 v14, s14 :: v_dual_mov_b32 v23, 0
	v_dual_mov_b32 v22, 0 :: v_dual_mov_b32 v15, 0
	s_and_not1_b32 vcc_lo, exec_lo, s9
	global_load_b64 v[16:17], v14, s[16:17] scale_offset
	s_wait_xcnt 0x0
	v_mov_b32_e32 v14, 0
	s_cbranch_vccnz .LBB297_13
; %bb.7:                                ;   in Loop: Header=BB297_6 Depth=1
	s_lshl_b64 s[22:23], s[14:15], 3
	v_mov_b32_e32 v14, 0
	s_add_nc_u64 s[24:25], s[6:7], s[22:23]
	s_add_nc_u64 s[22:23], s[10:11], s[22:23]
	s_clause 0x1
	global_load_b64 v[18:19], v1, s[24:25]
	global_load_b64 v[20:21], v1, s[22:23]
	s_mov_b32 s13, 0
	v_dual_mov_b32 v15, v14 :: v_dual_mov_b32 v22, v14
	v_mov_b32_e32 v23, v14
	s_wait_loadcnt 0x1
	v_add_nc_u64_e32 v[18:19], v[18:19], v[10:11]
	s_wait_loadcnt 0x0
	v_add_nc_u64_e32 v[20:21], v[20:21], v[12:13]
	s_branch .LBB297_9
.LBB297_8:                              ;   in Loop: Header=BB297_9 Depth=2
	s_wait_xcnt 0x0
	s_or_b32 exec_lo, exec_lo, s22
	s_wait_loadcnt_dscnt 0x0
	ds_store_b32 v26, v30
	s_wait_dscnt 0x0
	s_barrier_signal -1
	s_barrier_wait -1
	ds_load_b128 v[30:33], v28
	ds_load_2addr_b32 v[46:47], v27 offset1:16
	ds_load_b128 v[34:37], v28 offset:512
	ds_load_2addr_b32 v[48:49], v27 offset0:32 offset1:48
	ds_load_2addr_b32 v[50:51], v27 offset0:64 offset1:80
	ds_load_2addr_b32 v[52:53], v27 offset0:96 offset1:112
	ds_load_b128 v[38:41], v28 offset:16
	ds_load_2addr_b32 v[54:55], v27 offset0:128 offset1:144
	ds_load_b128 v[42:45], v28 offset:528
	v_add_nc_u64_e32 v[18:19], s[2:3], v[18:19]
	v_add_nc_u64_e32 v[20:21], 32, v[20:21]
	s_add_co_i32 s13, s13, 8
	s_delay_alu instid0(SALU_CYCLE_1)
	s_cmp_lt_i32 s13, s21
	s_wait_dscnt 0x7
	v_pk_fma_f32 v[22:23], v[46:47], v[30:31], v[22:23] op_sel_hi:[1,0,1]
	s_wait_dscnt 0x6
	v_pk_fma_f32 v[14:15], v[46:47], v[34:35], v[14:15] op_sel_hi:[1,0,1]
	ds_load_2addr_b32 v[46:47], v27 offset0:160 offset1:176
	s_wait_dscnt 0x6
	v_pk_fma_f32 v[22:23], v[48:49], v[30:31], v[22:23] op_sel:[0,1,0]
	v_pk_fma_f32 v[14:15], v[48:49], v[34:35], v[14:15] op_sel:[0,1,0]
	ds_load_2addr_b32 v[30:31], v27 offset0:192 offset1:208
	v_dual_mov_b32 v34, v33 :: v_dual_mov_b32 v48, v37
	s_wait_dscnt 0x6
	v_pk_fma_f32 v[22:23], v[50:51], v[32:33], v[22:23] op_sel_hi:[1,0,1]
	v_pk_fma_f32 v[14:15], v[50:51], v[36:37], v[14:15] op_sel_hi:[1,0,1]
	ds_load_2addr_b32 v[32:33], v27 offset0:224 offset1:240
	s_wait_dscnt 0x3
	v_mov_b32_e32 v36, v45
	s_wait_dscnt 0x0
	v_pk_fma_f32 v[22:23], v[52:53], v[34:35], v[22:23] op_sel_hi:[1,0,1]
	v_pk_fma_f32 v[14:15], v[52:53], v[48:49], v[14:15] op_sel_hi:[1,0,1]
	v_mov_b32_e32 v34, v41
	s_barrier_signal -1
	s_barrier_wait -1
	v_pk_fma_f32 v[22:23], v[54:55], v[38:39], v[22:23] op_sel_hi:[1,0,1]
	v_pk_fma_f32 v[14:15], v[54:55], v[42:43], v[14:15] op_sel_hi:[1,0,1]
	s_delay_alu instid0(VALU_DEP_2) | instskip(NEXT) | instid1(VALU_DEP_2)
	v_pk_fma_f32 v[22:23], v[46:47], v[38:39], v[22:23] op_sel:[0,1,0]
	v_pk_fma_f32 v[14:15], v[46:47], v[42:43], v[14:15] op_sel:[0,1,0]
	s_delay_alu instid0(VALU_DEP_2) | instskip(NEXT) | instid1(VALU_DEP_2)
	v_pk_fma_f32 v[22:23], v[30:31], v[40:41], v[22:23] op_sel_hi:[1,0,1]
	v_pk_fma_f32 v[14:15], v[30:31], v[44:45], v[14:15] op_sel_hi:[1,0,1]
	s_delay_alu instid0(VALU_DEP_2) | instskip(NEXT) | instid1(VALU_DEP_2)
	v_pk_fma_f32 v[22:23], v[32:33], v[34:35], v[22:23] op_sel_hi:[1,0,1]
	v_pk_fma_f32 v[14:15], v[32:33], v[36:37], v[14:15] op_sel_hi:[1,0,1]
	s_cbranch_scc0 .LBB297_13
.LBB297_9:                              ;   Parent Loop BB297_6 Depth=1
                                        ; =>  This Inner Loop Header: Depth=2
	v_add_nc_u32_e32 v29, s13, v0
	s_delay_alu instid0(VALU_DEP_1) | instskip(SKIP_3) | instid1(SALU_CYCLE_1)
	v_cmp_gt_i32_e32 vcc_lo, s21, v29
	v_mov_b32_e32 v29, 0
	s_wait_xcnt 0x0
	s_and_b32 s23, s0, vcc_lo
	s_and_saveexec_b32 s22, s23
	s_cbranch_execz .LBB297_11
; %bb.10:                               ;   in Loop: Header=BB297_9 Depth=2
	flat_load_b32 v29, v[18:19]
.LBB297_11:                             ;   in Loop: Header=BB297_9 Depth=2
	s_wait_xcnt 0x0
	s_or_b32 exec_lo, exec_lo, s22
	v_add_nc_u32_e32 v30, s13, v24
	s_wait_loadcnt_dscnt 0x0
	ds_store_b32 v25, v29
	v_cmp_gt_i32_e32 vcc_lo, s21, v30
	v_mov_b32_e32 v30, 0
	s_and_b32 s23, vcc_lo, s1
	s_delay_alu instid0(SALU_CYCLE_1)
	s_and_saveexec_b32 s22, s23
	s_cbranch_execz .LBB297_8
; %bb.12:                               ;   in Loop: Header=BB297_9 Depth=2
	flat_load_b32 v30, v[20:21]
	s_branch .LBB297_8
.LBB297_13:                             ;   in Loop: Header=BB297_6 Depth=1
	s_wait_loadcnt 0x0
	v_add_nc_u64_e32 v[16:17], s[4:5], v[16:17]
	s_delay_alu instid0(VALU_DEP_1)
	v_lshl_add_u64 v[18:19], v[4:5], 2, v[16:17]
	s_and_saveexec_b32 s13, s20
	s_cbranch_execz .LBB297_17
; %bb.14:                               ;   in Loop: Header=BB297_6 Depth=1
	v_mul_f32_e32 v22, s26, v22
	s_delay_alu instid0(VALU_DEP_2)
	v_lshl_add_u64 v[20:21], v[2:3], 2, v[18:19]
	s_and_b32 vcc_lo, exec_lo, s18
	s_cbranch_vccz .LBB297_28
; %bb.15:                               ;   in Loop: Header=BB297_6 Depth=1
	flat_load_b32 v29, v[20:21]
	s_wait_loadcnt_dscnt 0x0
	v_fma_f32 v29, s19, v29, v22
	flat_store_b32 v[20:21], v29
	s_cbranch_execnz .LBB297_17
.LBB297_16:                             ;   in Loop: Header=BB297_6 Depth=1
	flat_store_b32 v[20:21], v22
.LBB297_17:                             ;   in Loop: Header=BB297_6 Depth=1
	s_wait_xcnt 0x0
	s_or_b32 exec_lo, exec_lo, s13
	s_and_saveexec_b32 s13, s28
	s_cbranch_execz .LBB297_21
; %bb.18:                               ;   in Loop: Header=BB297_6 Depth=1
	v_mul_f32_e32 v20, s26, v23
	v_lshl_add_u64 v[18:19], v[8:9], 2, v[18:19]
	s_and_not1_b32 vcc_lo, exec_lo, s18
	s_cbranch_vccnz .LBB297_29
; %bb.19:                               ;   in Loop: Header=BB297_6 Depth=1
	flat_load_b32 v21, v[18:19]
	s_wait_loadcnt_dscnt 0x0
	v_fma_f32 v21, s19, v21, v20
	flat_store_b32 v[18:19], v21
	s_cbranch_execnz .LBB297_21
.LBB297_20:                             ;   in Loop: Header=BB297_6 Depth=1
	flat_store_b32 v[18:19], v20
.LBB297_21:                             ;   in Loop: Header=BB297_6 Depth=1
	s_wait_xcnt 0x0
	s_or_b32 exec_lo, exec_lo, s13
	v_lshl_add_u64 v[16:17], v[6:7], 2, v[16:17]
	s_and_saveexec_b32 s13, s8
	s_cbranch_execz .LBB297_25
; %bb.22:                               ;   in Loop: Header=BB297_6 Depth=1
	v_mul_f32_e32 v14, s26, v14
	s_delay_alu instid0(VALU_DEP_2)
	v_lshl_add_u64 v[18:19], v[2:3], 2, v[16:17]
	s_and_not1_b32 vcc_lo, exec_lo, s18
	s_cbranch_vccnz .LBB297_30
; %bb.23:                               ;   in Loop: Header=BB297_6 Depth=1
	flat_load_b32 v20, v[18:19]
	s_wait_loadcnt_dscnt 0x0
	v_fma_f32 v20, s19, v20, v14
	flat_store_b32 v[18:19], v20
	s_cbranch_execnz .LBB297_25
.LBB297_24:                             ;   in Loop: Header=BB297_6 Depth=1
	flat_store_b32 v[18:19], v14
.LBB297_25:                             ;   in Loop: Header=BB297_6 Depth=1
	s_wait_xcnt 0x0
	s_or_b32 exec_lo, exec_lo, s13
	s_and_saveexec_b32 s13, s12
	s_cbranch_execz .LBB297_5
; %bb.26:                               ;   in Loop: Header=BB297_6 Depth=1
	v_mul_f32_e32 v18, s26, v15
	v_lshl_add_u64 v[14:15], v[8:9], 2, v[16:17]
	s_and_not1_b32 vcc_lo, exec_lo, s18
	s_cbranch_vccnz .LBB297_31
; %bb.27:                               ;   in Loop: Header=BB297_6 Depth=1
	flat_load_b32 v16, v[14:15]
	s_wait_loadcnt_dscnt 0x0
	v_fma_f32 v16, s19, v16, v18
	flat_store_b32 v[14:15], v16
	s_cbranch_execnz .LBB297_5
	s_branch .LBB297_32
.LBB297_28:                             ;   in Loop: Header=BB297_6 Depth=1
	s_branch .LBB297_16
.LBB297_29:                             ;   in Loop: Header=BB297_6 Depth=1
	s_branch .LBB297_20
.LBB297_30:                             ;   in Loop: Header=BB297_6 Depth=1
	s_branch .LBB297_24
.LBB297_31:                             ;   in Loop: Header=BB297_6 Depth=1
.LBB297_32:                             ;   in Loop: Header=BB297_6 Depth=1
	flat_store_b32 v[14:15], v18
	s_branch .LBB297_5
.LBB297_33:
	s_endpgm
	.section	.rodata,"a",@progbits
	.p2align	6, 0x0
	.amdhsa_kernel _ZL29rocblas_internal_gemmt_kernelIiLi16ELi32ELi8ELc78ELc78ELc76ELb0ELb0EfPKfPKS1_PKPfEviT_T9_T10_S7_lS9_S7_lS8_T11_S7_li
		.amdhsa_group_segment_fixed_size 2048
		.amdhsa_private_segment_fixed_size 0
		.amdhsa_kernarg_size 100
		.amdhsa_user_sgpr_count 2
		.amdhsa_user_sgpr_dispatch_ptr 0
		.amdhsa_user_sgpr_queue_ptr 0
		.amdhsa_user_sgpr_kernarg_segment_ptr 1
		.amdhsa_user_sgpr_dispatch_id 0
		.amdhsa_user_sgpr_kernarg_preload_length 0
		.amdhsa_user_sgpr_kernarg_preload_offset 0
		.amdhsa_user_sgpr_private_segment_size 0
		.amdhsa_wavefront_size32 1
		.amdhsa_uses_dynamic_stack 0
		.amdhsa_enable_private_segment 0
		.amdhsa_system_sgpr_workgroup_id_x 1
		.amdhsa_system_sgpr_workgroup_id_y 1
		.amdhsa_system_sgpr_workgroup_id_z 1
		.amdhsa_system_sgpr_workgroup_info 0
		.amdhsa_system_vgpr_workitem_id 1
		.amdhsa_next_free_vgpr 56
		.amdhsa_next_free_sgpr 31
		.amdhsa_named_barrier_count 0
		.amdhsa_reserve_vcc 1
		.amdhsa_float_round_mode_32 0
		.amdhsa_float_round_mode_16_64 0
		.amdhsa_float_denorm_mode_32 3
		.amdhsa_float_denorm_mode_16_64 3
		.amdhsa_fp16_overflow 0
		.amdhsa_memory_ordered 1
		.amdhsa_forward_progress 1
		.amdhsa_inst_pref_size 14
		.amdhsa_round_robin_scheduling 0
		.amdhsa_exception_fp_ieee_invalid_op 0
		.amdhsa_exception_fp_denorm_src 0
		.amdhsa_exception_fp_ieee_div_zero 0
		.amdhsa_exception_fp_ieee_overflow 0
		.amdhsa_exception_fp_ieee_underflow 0
		.amdhsa_exception_fp_ieee_inexact 0
		.amdhsa_exception_int_div_zero 0
	.end_amdhsa_kernel
	.section	.text._ZL29rocblas_internal_gemmt_kernelIiLi16ELi32ELi8ELc78ELc78ELc76ELb0ELb0EfPKfPKS1_PKPfEviT_T9_T10_S7_lS9_S7_lS8_T11_S7_li,"axG",@progbits,_ZL29rocblas_internal_gemmt_kernelIiLi16ELi32ELi8ELc78ELc78ELc76ELb0ELb0EfPKfPKS1_PKPfEviT_T9_T10_S7_lS9_S7_lS8_T11_S7_li,comdat
.Lfunc_end297:
	.size	_ZL29rocblas_internal_gemmt_kernelIiLi16ELi32ELi8ELc78ELc78ELc76ELb0ELb0EfPKfPKS1_PKPfEviT_T9_T10_S7_lS9_S7_lS8_T11_S7_li, .Lfunc_end297-_ZL29rocblas_internal_gemmt_kernelIiLi16ELi32ELi8ELc78ELc78ELc76ELb0ELb0EfPKfPKS1_PKPfEviT_T9_T10_S7_lS9_S7_lS8_T11_S7_li
                                        ; -- End function
	.set _ZL29rocblas_internal_gemmt_kernelIiLi16ELi32ELi8ELc78ELc78ELc76ELb0ELb0EfPKfPKS1_PKPfEviT_T9_T10_S7_lS9_S7_lS8_T11_S7_li.num_vgpr, 56
	.set _ZL29rocblas_internal_gemmt_kernelIiLi16ELi32ELi8ELc78ELc78ELc76ELb0ELb0EfPKfPKS1_PKPfEviT_T9_T10_S7_lS9_S7_lS8_T11_S7_li.num_agpr, 0
	.set _ZL29rocblas_internal_gemmt_kernelIiLi16ELi32ELi8ELc78ELc78ELc76ELb0ELb0EfPKfPKS1_PKPfEviT_T9_T10_S7_lS9_S7_lS8_T11_S7_li.numbered_sgpr, 31
	.set _ZL29rocblas_internal_gemmt_kernelIiLi16ELi32ELi8ELc78ELc78ELc76ELb0ELb0EfPKfPKS1_PKPfEviT_T9_T10_S7_lS9_S7_lS8_T11_S7_li.num_named_barrier, 0
	.set _ZL29rocblas_internal_gemmt_kernelIiLi16ELi32ELi8ELc78ELc78ELc76ELb0ELb0EfPKfPKS1_PKPfEviT_T9_T10_S7_lS9_S7_lS8_T11_S7_li.private_seg_size, 0
	.set _ZL29rocblas_internal_gemmt_kernelIiLi16ELi32ELi8ELc78ELc78ELc76ELb0ELb0EfPKfPKS1_PKPfEviT_T9_T10_S7_lS9_S7_lS8_T11_S7_li.uses_vcc, 1
	.set _ZL29rocblas_internal_gemmt_kernelIiLi16ELi32ELi8ELc78ELc78ELc76ELb0ELb0EfPKfPKS1_PKPfEviT_T9_T10_S7_lS9_S7_lS8_T11_S7_li.uses_flat_scratch, 0
	.set _ZL29rocblas_internal_gemmt_kernelIiLi16ELi32ELi8ELc78ELc78ELc76ELb0ELb0EfPKfPKS1_PKPfEviT_T9_T10_S7_lS9_S7_lS8_T11_S7_li.has_dyn_sized_stack, 0
	.set _ZL29rocblas_internal_gemmt_kernelIiLi16ELi32ELi8ELc78ELc78ELc76ELb0ELb0EfPKfPKS1_PKPfEviT_T9_T10_S7_lS9_S7_lS8_T11_S7_li.has_recursion, 0
	.set _ZL29rocblas_internal_gemmt_kernelIiLi16ELi32ELi8ELc78ELc78ELc76ELb0ELb0EfPKfPKS1_PKPfEviT_T9_T10_S7_lS9_S7_lS8_T11_S7_li.has_indirect_call, 0
	.section	.AMDGPU.csdata,"",@progbits
; Kernel info:
; codeLenInByte = 1672
; TotalNumSgprs: 33
; NumVgprs: 56
; ScratchSize: 0
; MemoryBound: 0
; FloatMode: 240
; IeeeMode: 1
; LDSByteSize: 2048 bytes/workgroup (compile time only)
; SGPRBlocks: 0
; VGPRBlocks: 3
; NumSGPRsForWavesPerEU: 33
; NumVGPRsForWavesPerEU: 56
; NamedBarCnt: 0
; Occupancy: 16
; WaveLimiterHint : 1
; COMPUTE_PGM_RSRC2:SCRATCH_EN: 0
; COMPUTE_PGM_RSRC2:USER_SGPR: 2
; COMPUTE_PGM_RSRC2:TRAP_HANDLER: 0
; COMPUTE_PGM_RSRC2:TGID_X_EN: 1
; COMPUTE_PGM_RSRC2:TGID_Y_EN: 1
; COMPUTE_PGM_RSRC2:TGID_Z_EN: 1
; COMPUTE_PGM_RSRC2:TIDIG_COMP_CNT: 1
	.section	.text._ZL29rocblas_internal_gemmt_kernelIiLi16ELi32ELi8ELc78ELc84ELc76ELb0ELb0EfPKfPKS1_PKPfEviT_T9_T10_S7_lS9_S7_lS8_T11_S7_li,"axG",@progbits,_ZL29rocblas_internal_gemmt_kernelIiLi16ELi32ELi8ELc78ELc84ELc76ELb0ELb0EfPKfPKS1_PKPfEviT_T9_T10_S7_lS9_S7_lS8_T11_S7_li,comdat
	.globl	_ZL29rocblas_internal_gemmt_kernelIiLi16ELi32ELi8ELc78ELc84ELc76ELb0ELb0EfPKfPKS1_PKPfEviT_T9_T10_S7_lS9_S7_lS8_T11_S7_li ; -- Begin function _ZL29rocblas_internal_gemmt_kernelIiLi16ELi32ELi8ELc78ELc84ELc76ELb0ELb0EfPKfPKS1_PKPfEviT_T9_T10_S7_lS9_S7_lS8_T11_S7_li
	.p2align	8
	.type	_ZL29rocblas_internal_gemmt_kernelIiLi16ELi32ELi8ELc78ELc84ELc76ELb0ELb0EfPKfPKS1_PKPfEviT_T9_T10_S7_lS9_S7_lS8_T11_S7_li,@function
_ZL29rocblas_internal_gemmt_kernelIiLi16ELi32ELi8ELc78ELc84ELc76ELb0ELb0EfPKfPKS1_PKPfEviT_T9_T10_S7_lS9_S7_lS8_T11_S7_li: ; @_ZL29rocblas_internal_gemmt_kernelIiLi16ELi32ELi8ELc78ELc84ELc76ELb0ELb0EfPKfPKS1_PKPfEviT_T9_T10_S7_lS9_S7_lS8_T11_S7_li
; %bb.0:
	s_clause 0x1
	s_load_b128 s[12:15], s[0:1], 0x38
	s_load_b128 s[4:7], s[0:1], 0x8
	s_wait_kmcnt 0x0
	s_load_b32 s19, s[14:15], 0x0
	s_load_b64 s[20:21], s[0:1], 0x0
	s_load_b32 s28, s[4:5], 0x0
	s_wait_kmcnt 0x0
	s_cmp_neq_f32 s19, 1.0
	s_cselect_b32 s2, -1, 0
	s_delay_alu instid0(SALU_CYCLE_1)
	s_and_b32 vcc_lo, exec_lo, s2
	s_cbranch_vccnz .LBB298_2
; %bb.1:
	s_cmp_lg_u32 s21, 0
	s_cselect_b32 s2, -1, 0
	s_cmp_neq_f32 s28, 0
	s_cselect_b32 s3, -1, 0
	s_delay_alu instid0(SALU_CYCLE_1)
	s_and_b32 s2, s2, s3
.LBB298_2:
	s_delay_alu instid0(SALU_CYCLE_1)
	s_and_not1_b32 vcc_lo, exec_lo, s2
	s_cbranch_vccnz .LBB298_33
; %bb.3:
	s_load_b32 s29, s[0:1], 0x60
	s_bfe_u32 s2, ttmp6, 0x40014
	s_lshr_b32 s3, ttmp7, 16
	s_add_co_i32 s2, s2, 1
	s_bfe_u32 s5, ttmp6, 0x40008
	s_mul_i32 s4, s3, s2
	s_getreg_b32 s2, hwreg(HW_REG_IB_STS2, 6, 4)
	s_add_co_i32 s5, s5, s4
	s_cmp_eq_u32 s2, 0
	s_mov_b32 s15, 0
	s_cselect_b32 s14, s3, s5
	s_wait_kmcnt 0x0
	s_cmp_ge_u32 s14, s29
	s_cbranch_scc1 .LBB298_33
; %bb.4:
	s_clause 0x4
	s_load_b32 s22, s[0:1], 0x18
	s_load_b32 s24, s[0:1], 0x30
	s_load_b96 s[16:18], s[0:1], 0x48
	s_load_b128 s[8:11], s[0:1], 0x20
	s_load_b64 s[26:27], s[0:1], 0x58
	s_wait_xcnt 0x0
	s_bfe_u32 s1, ttmp6, 0x4000c
	s_bfe_u32 s4, ttmp6, 0x40010
	v_and_b32_e32 v5, 0x3ff, v0
	v_bfe_u32 v11, v0, 10, 10
	s_and_b32 s3, ttmp7, 0xffff
	s_add_co_i32 s1, s1, 1
	s_add_co_i32 s30, s4, 1
	s_and_b32 s0, ttmp6, 15
	s_mul_i32 s1, ttmp9, s1
	v_lshl_add_u32 v1, v11, 4, v5
	s_add_co_i32 s0, s0, s1
	v_and_b32_e32 v0, 7, v0
	v_lshl_add_u32 v28, v11, 5, 0x400
	v_lshlrev_b32_e32 v27, 2, v5
	v_dual_lshrrev_b32 v4, 3, v1 :: v_dual_bitop2_b32 v6, 31, v1 bitop3:0x40
	s_wait_kmcnt 0x0
	s_ashr_i32 s23, s22, 31
	s_ashr_i32 s5, s18, 31
	s_mov_b32 s4, s18
	s_mul_i32 s18, s3, s30
	s_bfe_u32 s30, ttmp6, 0x40004
	s_ashr_i32 s25, s24, 31
	s_add_co_i32 s30, s30, s18
	s_cmp_eq_u32 s2, 0
	v_lshrrev_b32_e32 v2, 5, v1
	s_cselect_b32 s0, ttmp9, s0
	s_cselect_b32 s1, s3, s30
	s_lshl_b32 s2, s0, 5
	s_delay_alu instid0(SALU_CYCLE_1) | instskip(SKIP_1) | instid1(SALU_CYCLE_1)
	v_dual_mov_b32 v3, 0 :: v_dual_bitop2_b32 v12, s2, v6 bitop3:0x54
	s_lshl_b32 s0, s1, 5
	v_dual_lshlrev_b32 v6, 2, v6 :: v_dual_add_nc_u32 v16, s0, v11
	s_delay_alu instid0(VALU_DEP_2) | instskip(SKIP_2) | instid1(VALU_DEP_3)
	v_dual_mov_b32 v1, v3 :: v_dual_add_nc_u32 v14, s0, v4
	v_mul_u64_e32 v[18:19], s[22:23], v[2:3]
	s_cmp_neq_f32 s28, 0
	v_dual_add_nc_u32 v22, 16, v16 :: v_dual_ashrrev_i32 v17, 31, v16
	v_lshlrev_b32_e32 v7, 2, v0
	v_mul_u64_e32 v[20:21], s[24:25], v[0:1]
	v_lshl_or_b32 v1, v2, 7, v6
	s_delay_alu instid0(VALU_DEP_4) | instskip(SKIP_3) | instid1(VALU_DEP_3)
	v_ashrrev_i32_e32 v23, 31, v22
	s_cselect_b32 s31, -1, 0
	v_lshl_or_b32 v6, v4, 5, v7
	v_dual_add_nc_u32 v4, s2, v5 :: v_dual_ashrrev_i32 v15, 31, v14
	v_mul_u64_e32 v[8:9], s[4:5], v[22:23]
	s_cmp_gt_i32 s21, 0
	s_delay_alu instid0(VALU_DEP_3)
	v_add_nc_u32_e32 v26, 0x400, v6
	v_mul_u64_e32 v[6:7], s[4:5], v[16:17]
	s_cselect_b32 s33, -1, 0
	s_cmp_neq_f32 s19, 0
	v_add_nc_u32_e32 v10, 16, v4
	v_cmp_le_i32_e32 vcc_lo, v16, v4
	v_cmp_gt_i32_e64 s2, s20, v4
	s_cselect_b32 s18, -1, 0
	s_lshl_b64 s[8:9], s[8:9], 2
	v_cmp_le_i32_e64 s3, v16, v10
	v_cmp_gt_i32_e64 s4, s20, v10
	v_ashrrev_i32_e32 v13, 31, v12
	v_cmp_gt_i32_e64 s0, s20, v12
	v_cmp_gt_i32_e64 s1, s20, v14
	s_and_b32 s20, vcc_lo, s2
	s_and_b32 s30, s3, s4
	v_cmp_le_i32_e32 vcc_lo, v22, v4
	v_cmp_le_i32_e64 s3, v22, v10
	v_lshl_add_u64 v[16:17], v[18:19], 2, s[8:9]
	s_lshl_b64 s[8:9], s[12:13], 2
	v_dual_ashrrev_i32 v5, 31, v4 :: v_dual_ashrrev_i32 v11, 31, v10
	s_and_b32 s12, vcc_lo, s2
	v_lshl_add_u64 v[18:19], v[20:21], 2, s[8:9]
	v_lshl_add_u64 v[12:13], v[12:13], 2, v[16:17]
	s_and_b32 s13, s3, s4
	s_and_b32 s31, s31, s33
	s_lshl_b64 s[2:3], s[22:23], 5
	v_lshl_add_u64 v[14:15], v[14:15], 2, v[18:19]
	s_lshl_b64 s[4:5], s[24:25], 5
	s_lshl_b64 s[8:9], s[26:27], 2
	s_branch .LBB298_6
.LBB298_5:                              ;   in Loop: Header=BB298_6 Depth=1
	s_wait_xcnt 0x0
	s_or_b32 exec_lo, exec_lo, s22
	s_add_co_i32 s14, s14, 0x10000
	s_delay_alu instid0(SALU_CYCLE_1)
	s_cmp_lt_u32 s14, s29
	s_cbranch_scc0 .LBB298_33
.LBB298_6:                              ; =>This Loop Header: Depth=1
                                        ;     Child Loop BB298_9 Depth 2
	v_dual_mov_b32 v16, s14 :: v_dual_mov_b32 v25, 0
	v_dual_mov_b32 v24, 0 :: v_dual_mov_b32 v17, 0
	s_and_not1_b32 vcc_lo, exec_lo, s31
	global_load_b64 v[18:19], v16, s[16:17] scale_offset
	s_wait_xcnt 0x0
	v_mov_b32_e32 v16, 0
	s_cbranch_vccnz .LBB298_13
; %bb.7:                                ;   in Loop: Header=BB298_6 Depth=1
	s_lshl_b64 s[22:23], s[14:15], 3
	v_mov_b32_e32 v16, 0
	s_add_nc_u64 s[24:25], s[6:7], s[22:23]
	s_add_nc_u64 s[22:23], s[10:11], s[22:23]
	s_clause 0x1
	global_load_b64 v[20:21], v3, s[24:25]
	global_load_b64 v[22:23], v3, s[22:23]
	s_wait_xcnt 0x0
	s_mov_b32 s22, 0
	v_dual_mov_b32 v17, v16 :: v_dual_mov_b32 v24, v16
	v_mov_b32_e32 v25, v16
	s_wait_loadcnt 0x1
	v_add_nc_u64_e32 v[20:21], v[20:21], v[12:13]
	s_wait_loadcnt 0x0
	v_add_nc_u64_e32 v[22:23], v[22:23], v[14:15]
	s_branch .LBB298_9
.LBB298_8:                              ;   in Loop: Header=BB298_9 Depth=2
	s_wait_xcnt 0x0
	s_or_b32 exec_lo, exec_lo, s23
	s_wait_loadcnt_dscnt 0x0
	ds_store_b32 v26, v30
	s_wait_dscnt 0x0
	s_barrier_signal -1
	s_barrier_wait -1
	ds_load_b128 v[30:33], v28
	ds_load_2addr_b32 v[46:47], v27 offset1:16
	ds_load_b128 v[34:37], v28 offset:512
	ds_load_2addr_b32 v[48:49], v27 offset0:32 offset1:48
	ds_load_2addr_b32 v[50:51], v27 offset0:64 offset1:80
	;; [unrolled: 1-line block ×3, first 2 shown]
	ds_load_b128 v[38:41], v28 offset:16
	ds_load_2addr_b32 v[54:55], v27 offset0:128 offset1:144
	ds_load_b128 v[42:45], v28 offset:528
	v_add_nc_u64_e32 v[20:21], s[2:3], v[20:21]
	v_add_nc_u64_e32 v[22:23], s[4:5], v[22:23]
	s_add_co_i32 s22, s22, 8
	s_delay_alu instid0(SALU_CYCLE_1)
	s_cmp_lt_i32 s22, s21
	s_wait_dscnt 0x7
	v_pk_fma_f32 v[24:25], v[46:47], v[30:31], v[24:25] op_sel_hi:[1,0,1]
	s_wait_dscnt 0x6
	v_pk_fma_f32 v[16:17], v[46:47], v[34:35], v[16:17] op_sel_hi:[1,0,1]
	ds_load_2addr_b32 v[46:47], v27 offset0:160 offset1:176
	s_wait_dscnt 0x6
	v_pk_fma_f32 v[24:25], v[48:49], v[30:31], v[24:25] op_sel:[0,1,0]
	v_pk_fma_f32 v[16:17], v[48:49], v[34:35], v[16:17] op_sel:[0,1,0]
	ds_load_2addr_b32 v[30:31], v27 offset0:192 offset1:208
	v_dual_mov_b32 v34, v33 :: v_dual_mov_b32 v48, v37
	s_wait_dscnt 0x6
	v_pk_fma_f32 v[24:25], v[50:51], v[32:33], v[24:25] op_sel_hi:[1,0,1]
	v_pk_fma_f32 v[16:17], v[50:51], v[36:37], v[16:17] op_sel_hi:[1,0,1]
	ds_load_2addr_b32 v[32:33], v27 offset0:224 offset1:240
	s_wait_dscnt 0x3
	v_mov_b32_e32 v36, v45
	s_wait_dscnt 0x0
	v_pk_fma_f32 v[24:25], v[52:53], v[34:35], v[24:25] op_sel_hi:[1,0,1]
	v_pk_fma_f32 v[16:17], v[52:53], v[48:49], v[16:17] op_sel_hi:[1,0,1]
	v_mov_b32_e32 v34, v41
	s_barrier_signal -1
	s_barrier_wait -1
	v_pk_fma_f32 v[24:25], v[54:55], v[38:39], v[24:25] op_sel_hi:[1,0,1]
	v_pk_fma_f32 v[16:17], v[54:55], v[42:43], v[16:17] op_sel_hi:[1,0,1]
	s_delay_alu instid0(VALU_DEP_2) | instskip(NEXT) | instid1(VALU_DEP_2)
	v_pk_fma_f32 v[24:25], v[46:47], v[38:39], v[24:25] op_sel:[0,1,0]
	v_pk_fma_f32 v[16:17], v[46:47], v[42:43], v[16:17] op_sel:[0,1,0]
	s_delay_alu instid0(VALU_DEP_2) | instskip(NEXT) | instid1(VALU_DEP_2)
	v_pk_fma_f32 v[24:25], v[30:31], v[40:41], v[24:25] op_sel_hi:[1,0,1]
	v_pk_fma_f32 v[16:17], v[30:31], v[44:45], v[16:17] op_sel_hi:[1,0,1]
	s_delay_alu instid0(VALU_DEP_2) | instskip(NEXT) | instid1(VALU_DEP_2)
	v_pk_fma_f32 v[24:25], v[32:33], v[34:35], v[24:25] op_sel_hi:[1,0,1]
	v_pk_fma_f32 v[16:17], v[32:33], v[36:37], v[16:17] op_sel_hi:[1,0,1]
	s_cbranch_scc0 .LBB298_13
.LBB298_9:                              ;   Parent Loop BB298_6 Depth=1
                                        ; =>  This Inner Loop Header: Depth=2
	v_add_nc_u32_e32 v29, s22, v2
	s_delay_alu instid0(VALU_DEP_1) | instskip(SKIP_2) | instid1(SALU_CYCLE_1)
	v_cmp_gt_i32_e32 vcc_lo, s21, v29
	v_mov_b32_e32 v29, 0
	s_and_b32 s24, s0, vcc_lo
	s_and_saveexec_b32 s23, s24
	s_cbranch_execz .LBB298_11
; %bb.10:                               ;   in Loop: Header=BB298_9 Depth=2
	flat_load_b32 v29, v[20:21]
.LBB298_11:                             ;   in Loop: Header=BB298_9 Depth=2
	s_wait_xcnt 0x0
	s_or_b32 exec_lo, exec_lo, s23
	v_add_nc_u32_e32 v30, s22, v0
	s_wait_loadcnt_dscnt 0x0
	ds_store_b32 v1, v29
	v_cmp_gt_i32_e32 vcc_lo, s21, v30
	v_mov_b32_e32 v30, 0
	s_and_b32 s24, vcc_lo, s1
	s_delay_alu instid0(SALU_CYCLE_1)
	s_and_saveexec_b32 s23, s24
	s_cbranch_execz .LBB298_8
; %bb.12:                               ;   in Loop: Header=BB298_9 Depth=2
	flat_load_b32 v30, v[22:23]
	s_branch .LBB298_8
.LBB298_13:                             ;   in Loop: Header=BB298_6 Depth=1
	s_wait_loadcnt 0x0
	v_add_nc_u64_e32 v[18:19], s[8:9], v[18:19]
	s_delay_alu instid0(VALU_DEP_1)
	v_lshl_add_u64 v[20:21], v[6:7], 2, v[18:19]
	s_and_saveexec_b32 s22, s20
	s_cbranch_execz .LBB298_17
; %bb.14:                               ;   in Loop: Header=BB298_6 Depth=1
	v_mul_f32_e32 v24, s28, v24
	s_delay_alu instid0(VALU_DEP_2)
	v_lshl_add_u64 v[22:23], v[4:5], 2, v[20:21]
	s_and_b32 vcc_lo, exec_lo, s18
	s_cbranch_vccz .LBB298_28
; %bb.15:                               ;   in Loop: Header=BB298_6 Depth=1
	flat_load_b32 v29, v[22:23]
	s_wait_loadcnt_dscnt 0x0
	v_fma_f32 v29, s19, v29, v24
	flat_store_b32 v[22:23], v29
	s_cbranch_execnz .LBB298_17
.LBB298_16:                             ;   in Loop: Header=BB298_6 Depth=1
	flat_store_b32 v[22:23], v24
.LBB298_17:                             ;   in Loop: Header=BB298_6 Depth=1
	s_wait_xcnt 0x0
	s_or_b32 exec_lo, exec_lo, s22
	s_and_saveexec_b32 s22, s30
	s_cbranch_execz .LBB298_21
; %bb.18:                               ;   in Loop: Header=BB298_6 Depth=1
	v_mul_f32_e32 v22, s28, v25
	v_lshl_add_u64 v[20:21], v[10:11], 2, v[20:21]
	s_and_not1_b32 vcc_lo, exec_lo, s18
	s_cbranch_vccnz .LBB298_29
; %bb.19:                               ;   in Loop: Header=BB298_6 Depth=1
	flat_load_b32 v23, v[20:21]
	s_wait_loadcnt_dscnt 0x0
	v_fma_f32 v23, s19, v23, v22
	flat_store_b32 v[20:21], v23
	s_cbranch_execnz .LBB298_21
.LBB298_20:                             ;   in Loop: Header=BB298_6 Depth=1
	flat_store_b32 v[20:21], v22
.LBB298_21:                             ;   in Loop: Header=BB298_6 Depth=1
	s_wait_xcnt 0x0
	s_or_b32 exec_lo, exec_lo, s22
	v_lshl_add_u64 v[18:19], v[8:9], 2, v[18:19]
	s_and_saveexec_b32 s22, s12
	s_cbranch_execz .LBB298_25
; %bb.22:                               ;   in Loop: Header=BB298_6 Depth=1
	v_mul_f32_e32 v16, s28, v16
	s_delay_alu instid0(VALU_DEP_2)
	v_lshl_add_u64 v[20:21], v[4:5], 2, v[18:19]
	s_and_not1_b32 vcc_lo, exec_lo, s18
	s_cbranch_vccnz .LBB298_30
; %bb.23:                               ;   in Loop: Header=BB298_6 Depth=1
	flat_load_b32 v22, v[20:21]
	s_wait_loadcnt_dscnt 0x0
	v_fma_f32 v22, s19, v22, v16
	flat_store_b32 v[20:21], v22
	s_cbranch_execnz .LBB298_25
.LBB298_24:                             ;   in Loop: Header=BB298_6 Depth=1
	flat_store_b32 v[20:21], v16
.LBB298_25:                             ;   in Loop: Header=BB298_6 Depth=1
	s_wait_xcnt 0x0
	s_or_b32 exec_lo, exec_lo, s22
	s_and_saveexec_b32 s22, s13
	s_cbranch_execz .LBB298_5
; %bb.26:                               ;   in Loop: Header=BB298_6 Depth=1
	v_mul_f32_e32 v20, s28, v17
	v_lshl_add_u64 v[16:17], v[10:11], 2, v[18:19]
	s_and_not1_b32 vcc_lo, exec_lo, s18
	s_cbranch_vccnz .LBB298_31
; %bb.27:                               ;   in Loop: Header=BB298_6 Depth=1
	flat_load_b32 v18, v[16:17]
	s_wait_loadcnt_dscnt 0x0
	v_fma_f32 v18, s19, v18, v20
	flat_store_b32 v[16:17], v18
	s_cbranch_execnz .LBB298_5
	s_branch .LBB298_32
.LBB298_28:                             ;   in Loop: Header=BB298_6 Depth=1
	s_branch .LBB298_16
.LBB298_29:                             ;   in Loop: Header=BB298_6 Depth=1
	s_branch .LBB298_20
.LBB298_30:                             ;   in Loop: Header=BB298_6 Depth=1
	s_branch .LBB298_24
.LBB298_31:                             ;   in Loop: Header=BB298_6 Depth=1
.LBB298_32:                             ;   in Loop: Header=BB298_6 Depth=1
	flat_store_b32 v[16:17], v20
	s_branch .LBB298_5
.LBB298_33:
	s_endpgm
	.section	.rodata,"a",@progbits
	.p2align	6, 0x0
	.amdhsa_kernel _ZL29rocblas_internal_gemmt_kernelIiLi16ELi32ELi8ELc78ELc84ELc76ELb0ELb0EfPKfPKS1_PKPfEviT_T9_T10_S7_lS9_S7_lS8_T11_S7_li
		.amdhsa_group_segment_fixed_size 2048
		.amdhsa_private_segment_fixed_size 0
		.amdhsa_kernarg_size 100
		.amdhsa_user_sgpr_count 2
		.amdhsa_user_sgpr_dispatch_ptr 0
		.amdhsa_user_sgpr_queue_ptr 0
		.amdhsa_user_sgpr_kernarg_segment_ptr 1
		.amdhsa_user_sgpr_dispatch_id 0
		.amdhsa_user_sgpr_kernarg_preload_length 0
		.amdhsa_user_sgpr_kernarg_preload_offset 0
		.amdhsa_user_sgpr_private_segment_size 0
		.amdhsa_wavefront_size32 1
		.amdhsa_uses_dynamic_stack 0
		.amdhsa_enable_private_segment 0
		.amdhsa_system_sgpr_workgroup_id_x 1
		.amdhsa_system_sgpr_workgroup_id_y 1
		.amdhsa_system_sgpr_workgroup_id_z 1
		.amdhsa_system_sgpr_workgroup_info 0
		.amdhsa_system_vgpr_workitem_id 1
		.amdhsa_next_free_vgpr 56
		.amdhsa_next_free_sgpr 34
		.amdhsa_named_barrier_count 0
		.amdhsa_reserve_vcc 1
		.amdhsa_float_round_mode_32 0
		.amdhsa_float_round_mode_16_64 0
		.amdhsa_float_denorm_mode_32 3
		.amdhsa_float_denorm_mode_16_64 3
		.amdhsa_fp16_overflow 0
		.amdhsa_memory_ordered 1
		.amdhsa_forward_progress 1
		.amdhsa_inst_pref_size 14
		.amdhsa_round_robin_scheduling 0
		.amdhsa_exception_fp_ieee_invalid_op 0
		.amdhsa_exception_fp_denorm_src 0
		.amdhsa_exception_fp_ieee_div_zero 0
		.amdhsa_exception_fp_ieee_overflow 0
		.amdhsa_exception_fp_ieee_underflow 0
		.amdhsa_exception_fp_ieee_inexact 0
		.amdhsa_exception_int_div_zero 0
	.end_amdhsa_kernel
	.section	.text._ZL29rocblas_internal_gemmt_kernelIiLi16ELi32ELi8ELc78ELc84ELc76ELb0ELb0EfPKfPKS1_PKPfEviT_T9_T10_S7_lS9_S7_lS8_T11_S7_li,"axG",@progbits,_ZL29rocblas_internal_gemmt_kernelIiLi16ELi32ELi8ELc78ELc84ELc76ELb0ELb0EfPKfPKS1_PKPfEviT_T9_T10_S7_lS9_S7_lS8_T11_S7_li,comdat
.Lfunc_end298:
	.size	_ZL29rocblas_internal_gemmt_kernelIiLi16ELi32ELi8ELc78ELc84ELc76ELb0ELb0EfPKfPKS1_PKPfEviT_T9_T10_S7_lS9_S7_lS8_T11_S7_li, .Lfunc_end298-_ZL29rocblas_internal_gemmt_kernelIiLi16ELi32ELi8ELc78ELc84ELc76ELb0ELb0EfPKfPKS1_PKPfEviT_T9_T10_S7_lS9_S7_lS8_T11_S7_li
                                        ; -- End function
	.set _ZL29rocblas_internal_gemmt_kernelIiLi16ELi32ELi8ELc78ELc84ELc76ELb0ELb0EfPKfPKS1_PKPfEviT_T9_T10_S7_lS9_S7_lS8_T11_S7_li.num_vgpr, 56
	.set _ZL29rocblas_internal_gemmt_kernelIiLi16ELi32ELi8ELc78ELc84ELc76ELb0ELb0EfPKfPKS1_PKPfEviT_T9_T10_S7_lS9_S7_lS8_T11_S7_li.num_agpr, 0
	.set _ZL29rocblas_internal_gemmt_kernelIiLi16ELi32ELi8ELc78ELc84ELc76ELb0ELb0EfPKfPKS1_PKPfEviT_T9_T10_S7_lS9_S7_lS8_T11_S7_li.numbered_sgpr, 34
	.set _ZL29rocblas_internal_gemmt_kernelIiLi16ELi32ELi8ELc78ELc84ELc76ELb0ELb0EfPKfPKS1_PKPfEviT_T9_T10_S7_lS9_S7_lS8_T11_S7_li.num_named_barrier, 0
	.set _ZL29rocblas_internal_gemmt_kernelIiLi16ELi32ELi8ELc78ELc84ELc76ELb0ELb0EfPKfPKS1_PKPfEviT_T9_T10_S7_lS9_S7_lS8_T11_S7_li.private_seg_size, 0
	.set _ZL29rocblas_internal_gemmt_kernelIiLi16ELi32ELi8ELc78ELc84ELc76ELb0ELb0EfPKfPKS1_PKPfEviT_T9_T10_S7_lS9_S7_lS8_T11_S7_li.uses_vcc, 1
	.set _ZL29rocblas_internal_gemmt_kernelIiLi16ELi32ELi8ELc78ELc84ELc76ELb0ELb0EfPKfPKS1_PKPfEviT_T9_T10_S7_lS9_S7_lS8_T11_S7_li.uses_flat_scratch, 0
	.set _ZL29rocblas_internal_gemmt_kernelIiLi16ELi32ELi8ELc78ELc84ELc76ELb0ELb0EfPKfPKS1_PKPfEviT_T9_T10_S7_lS9_S7_lS8_T11_S7_li.has_dyn_sized_stack, 0
	.set _ZL29rocblas_internal_gemmt_kernelIiLi16ELi32ELi8ELc78ELc84ELc76ELb0ELb0EfPKfPKS1_PKPfEviT_T9_T10_S7_lS9_S7_lS8_T11_S7_li.has_recursion, 0
	.set _ZL29rocblas_internal_gemmt_kernelIiLi16ELi32ELi8ELc78ELc84ELc76ELb0ELb0EfPKfPKS1_PKPfEviT_T9_T10_S7_lS9_S7_lS8_T11_S7_li.has_indirect_call, 0
	.section	.AMDGPU.csdata,"",@progbits
; Kernel info:
; codeLenInByte = 1688
; TotalNumSgprs: 36
; NumVgprs: 56
; ScratchSize: 0
; MemoryBound: 0
; FloatMode: 240
; IeeeMode: 1
; LDSByteSize: 2048 bytes/workgroup (compile time only)
; SGPRBlocks: 0
; VGPRBlocks: 3
; NumSGPRsForWavesPerEU: 36
; NumVGPRsForWavesPerEU: 56
; NamedBarCnt: 0
; Occupancy: 16
; WaveLimiterHint : 1
; COMPUTE_PGM_RSRC2:SCRATCH_EN: 0
; COMPUTE_PGM_RSRC2:USER_SGPR: 2
; COMPUTE_PGM_RSRC2:TRAP_HANDLER: 0
; COMPUTE_PGM_RSRC2:TGID_X_EN: 1
; COMPUTE_PGM_RSRC2:TGID_Y_EN: 1
; COMPUTE_PGM_RSRC2:TGID_Z_EN: 1
; COMPUTE_PGM_RSRC2:TIDIG_COMP_CNT: 1
	.section	.text._ZL29rocblas_internal_gemmt_kernelIiLi16ELi32ELi8ELc78ELc67ELc76ELb0ELb0EfPKfPKS1_PKPfEviT_T9_T10_S7_lS9_S7_lS8_T11_S7_li,"axG",@progbits,_ZL29rocblas_internal_gemmt_kernelIiLi16ELi32ELi8ELc78ELc67ELc76ELb0ELb0EfPKfPKS1_PKPfEviT_T9_T10_S7_lS9_S7_lS8_T11_S7_li,comdat
	.globl	_ZL29rocblas_internal_gemmt_kernelIiLi16ELi32ELi8ELc78ELc67ELc76ELb0ELb0EfPKfPKS1_PKPfEviT_T9_T10_S7_lS9_S7_lS8_T11_S7_li ; -- Begin function _ZL29rocblas_internal_gemmt_kernelIiLi16ELi32ELi8ELc78ELc67ELc76ELb0ELb0EfPKfPKS1_PKPfEviT_T9_T10_S7_lS9_S7_lS8_T11_S7_li
	.p2align	8
	.type	_ZL29rocblas_internal_gemmt_kernelIiLi16ELi32ELi8ELc78ELc67ELc76ELb0ELb0EfPKfPKS1_PKPfEviT_T9_T10_S7_lS9_S7_lS8_T11_S7_li,@function
_ZL29rocblas_internal_gemmt_kernelIiLi16ELi32ELi8ELc78ELc67ELc76ELb0ELb0EfPKfPKS1_PKPfEviT_T9_T10_S7_lS9_S7_lS8_T11_S7_li: ; @_ZL29rocblas_internal_gemmt_kernelIiLi16ELi32ELi8ELc78ELc67ELc76ELb0ELb0EfPKfPKS1_PKPfEviT_T9_T10_S7_lS9_S7_lS8_T11_S7_li
; %bb.0:
	s_clause 0x1
	s_load_b128 s[12:15], s[0:1], 0x38
	s_load_b128 s[4:7], s[0:1], 0x8
	s_wait_kmcnt 0x0
	s_load_b32 s19, s[14:15], 0x0
	s_load_b64 s[20:21], s[0:1], 0x0
	s_load_b32 s28, s[4:5], 0x0
	s_wait_kmcnt 0x0
	s_cmp_neq_f32 s19, 1.0
	s_cselect_b32 s2, -1, 0
	s_delay_alu instid0(SALU_CYCLE_1)
	s_and_b32 vcc_lo, exec_lo, s2
	s_cbranch_vccnz .LBB299_2
; %bb.1:
	s_cmp_lg_u32 s21, 0
	s_cselect_b32 s2, -1, 0
	s_cmp_neq_f32 s28, 0
	s_cselect_b32 s3, -1, 0
	s_delay_alu instid0(SALU_CYCLE_1)
	s_and_b32 s2, s2, s3
.LBB299_2:
	s_delay_alu instid0(SALU_CYCLE_1)
	s_and_not1_b32 vcc_lo, exec_lo, s2
	s_cbranch_vccnz .LBB299_33
; %bb.3:
	s_load_b32 s29, s[0:1], 0x60
	s_bfe_u32 s2, ttmp6, 0x40014
	s_lshr_b32 s3, ttmp7, 16
	s_add_co_i32 s2, s2, 1
	s_bfe_u32 s5, ttmp6, 0x40008
	s_mul_i32 s4, s3, s2
	s_getreg_b32 s2, hwreg(HW_REG_IB_STS2, 6, 4)
	s_add_co_i32 s5, s5, s4
	s_cmp_eq_u32 s2, 0
	s_mov_b32 s15, 0
	s_cselect_b32 s14, s3, s5
	s_wait_kmcnt 0x0
	s_cmp_ge_u32 s14, s29
	s_cbranch_scc1 .LBB299_33
; %bb.4:
	s_clause 0x4
	s_load_b32 s22, s[0:1], 0x18
	s_load_b32 s24, s[0:1], 0x30
	s_load_b96 s[16:18], s[0:1], 0x48
	s_load_b128 s[8:11], s[0:1], 0x20
	s_load_b64 s[26:27], s[0:1], 0x58
	s_wait_xcnt 0x0
	s_bfe_u32 s1, ttmp6, 0x4000c
	s_bfe_u32 s4, ttmp6, 0x40010
	v_and_b32_e32 v5, 0x3ff, v0
	v_bfe_u32 v11, v0, 10, 10
	s_and_b32 s3, ttmp7, 0xffff
	s_add_co_i32 s1, s1, 1
	s_add_co_i32 s30, s4, 1
	s_and_b32 s0, ttmp6, 15
	s_mul_i32 s1, ttmp9, s1
	v_lshl_add_u32 v1, v11, 4, v5
	s_add_co_i32 s0, s0, s1
	v_and_b32_e32 v0, 7, v0
	v_lshl_add_u32 v28, v11, 5, 0x400
	v_lshlrev_b32_e32 v27, 2, v5
	v_dual_lshrrev_b32 v4, 3, v1 :: v_dual_bitop2_b32 v6, 31, v1 bitop3:0x40
	s_wait_kmcnt 0x0
	s_ashr_i32 s23, s22, 31
	s_ashr_i32 s5, s18, 31
	s_mov_b32 s4, s18
	s_mul_i32 s18, s3, s30
	s_bfe_u32 s30, ttmp6, 0x40004
	s_ashr_i32 s25, s24, 31
	s_add_co_i32 s30, s30, s18
	s_cmp_eq_u32 s2, 0
	v_lshrrev_b32_e32 v2, 5, v1
	s_cselect_b32 s0, ttmp9, s0
	s_cselect_b32 s1, s3, s30
	s_lshl_b32 s2, s0, 5
	s_delay_alu instid0(SALU_CYCLE_1) | instskip(SKIP_1) | instid1(SALU_CYCLE_1)
	v_dual_mov_b32 v3, 0 :: v_dual_bitop2_b32 v12, s2, v6 bitop3:0x54
	s_lshl_b32 s0, s1, 5
	v_dual_lshlrev_b32 v6, 2, v6 :: v_dual_add_nc_u32 v16, s0, v11
	s_delay_alu instid0(VALU_DEP_2) | instskip(SKIP_2) | instid1(VALU_DEP_3)
	v_dual_mov_b32 v1, v3 :: v_dual_add_nc_u32 v14, s0, v4
	v_mul_u64_e32 v[18:19], s[22:23], v[2:3]
	s_cmp_neq_f32 s28, 0
	v_dual_add_nc_u32 v22, 16, v16 :: v_dual_ashrrev_i32 v17, 31, v16
	v_lshlrev_b32_e32 v7, 2, v0
	v_mul_u64_e32 v[20:21], s[24:25], v[0:1]
	v_lshl_or_b32 v1, v2, 7, v6
	s_delay_alu instid0(VALU_DEP_4) | instskip(SKIP_3) | instid1(VALU_DEP_3)
	v_ashrrev_i32_e32 v23, 31, v22
	s_cselect_b32 s31, -1, 0
	v_lshl_or_b32 v6, v4, 5, v7
	v_dual_add_nc_u32 v4, s2, v5 :: v_dual_ashrrev_i32 v15, 31, v14
	v_mul_u64_e32 v[8:9], s[4:5], v[22:23]
	s_cmp_gt_i32 s21, 0
	s_delay_alu instid0(VALU_DEP_3)
	v_add_nc_u32_e32 v26, 0x400, v6
	v_mul_u64_e32 v[6:7], s[4:5], v[16:17]
	s_cselect_b32 s33, -1, 0
	s_cmp_neq_f32 s19, 0
	v_add_nc_u32_e32 v10, 16, v4
	v_cmp_le_i32_e32 vcc_lo, v16, v4
	v_cmp_gt_i32_e64 s2, s20, v4
	s_cselect_b32 s18, -1, 0
	s_lshl_b64 s[8:9], s[8:9], 2
	v_cmp_le_i32_e64 s3, v16, v10
	v_cmp_gt_i32_e64 s4, s20, v10
	v_ashrrev_i32_e32 v13, 31, v12
	v_cmp_gt_i32_e64 s0, s20, v12
	v_cmp_gt_i32_e64 s1, s20, v14
	s_and_b32 s20, vcc_lo, s2
	s_and_b32 s30, s3, s4
	v_cmp_le_i32_e32 vcc_lo, v22, v4
	v_cmp_le_i32_e64 s3, v22, v10
	v_lshl_add_u64 v[16:17], v[18:19], 2, s[8:9]
	s_lshl_b64 s[8:9], s[12:13], 2
	v_dual_ashrrev_i32 v5, 31, v4 :: v_dual_ashrrev_i32 v11, 31, v10
	s_and_b32 s12, vcc_lo, s2
	v_lshl_add_u64 v[18:19], v[20:21], 2, s[8:9]
	v_lshl_add_u64 v[12:13], v[12:13], 2, v[16:17]
	s_and_b32 s13, s3, s4
	s_and_b32 s31, s31, s33
	s_lshl_b64 s[2:3], s[22:23], 5
	v_lshl_add_u64 v[14:15], v[14:15], 2, v[18:19]
	s_lshl_b64 s[4:5], s[24:25], 5
	s_lshl_b64 s[8:9], s[26:27], 2
	s_branch .LBB299_6
.LBB299_5:                              ;   in Loop: Header=BB299_6 Depth=1
	s_wait_xcnt 0x0
	s_or_b32 exec_lo, exec_lo, s22
	s_add_co_i32 s14, s14, 0x10000
	s_delay_alu instid0(SALU_CYCLE_1)
	s_cmp_lt_u32 s14, s29
	s_cbranch_scc0 .LBB299_33
.LBB299_6:                              ; =>This Loop Header: Depth=1
                                        ;     Child Loop BB299_9 Depth 2
	v_dual_mov_b32 v16, s14 :: v_dual_mov_b32 v25, 0
	v_dual_mov_b32 v24, 0 :: v_dual_mov_b32 v17, 0
	s_and_not1_b32 vcc_lo, exec_lo, s31
	global_load_b64 v[18:19], v16, s[16:17] scale_offset
	s_wait_xcnt 0x0
	v_mov_b32_e32 v16, 0
	s_cbranch_vccnz .LBB299_13
; %bb.7:                                ;   in Loop: Header=BB299_6 Depth=1
	s_lshl_b64 s[22:23], s[14:15], 3
	v_mov_b32_e32 v16, 0
	s_add_nc_u64 s[24:25], s[6:7], s[22:23]
	s_add_nc_u64 s[22:23], s[10:11], s[22:23]
	s_clause 0x1
	global_load_b64 v[20:21], v3, s[24:25]
	global_load_b64 v[22:23], v3, s[22:23]
	s_wait_xcnt 0x0
	s_mov_b32 s22, 0
	v_dual_mov_b32 v17, v16 :: v_dual_mov_b32 v24, v16
	v_mov_b32_e32 v25, v16
	s_wait_loadcnt 0x1
	v_add_nc_u64_e32 v[20:21], v[20:21], v[12:13]
	s_wait_loadcnt 0x0
	v_add_nc_u64_e32 v[22:23], v[22:23], v[14:15]
	s_branch .LBB299_9
.LBB299_8:                              ;   in Loop: Header=BB299_9 Depth=2
	s_wait_xcnt 0x0
	s_or_b32 exec_lo, exec_lo, s23
	s_wait_loadcnt_dscnt 0x0
	ds_store_b32 v26, v30
	s_wait_dscnt 0x0
	s_barrier_signal -1
	s_barrier_wait -1
	ds_load_b128 v[30:33], v28
	ds_load_2addr_b32 v[46:47], v27 offset1:16
	ds_load_b128 v[34:37], v28 offset:512
	ds_load_2addr_b32 v[48:49], v27 offset0:32 offset1:48
	ds_load_2addr_b32 v[50:51], v27 offset0:64 offset1:80
	;; [unrolled: 1-line block ×3, first 2 shown]
	ds_load_b128 v[38:41], v28 offset:16
	ds_load_2addr_b32 v[54:55], v27 offset0:128 offset1:144
	ds_load_b128 v[42:45], v28 offset:528
	v_add_nc_u64_e32 v[20:21], s[2:3], v[20:21]
	v_add_nc_u64_e32 v[22:23], s[4:5], v[22:23]
	s_add_co_i32 s22, s22, 8
	s_delay_alu instid0(SALU_CYCLE_1)
	s_cmp_lt_i32 s22, s21
	s_wait_dscnt 0x7
	v_pk_fma_f32 v[24:25], v[46:47], v[30:31], v[24:25] op_sel_hi:[1,0,1]
	s_wait_dscnt 0x6
	v_pk_fma_f32 v[16:17], v[46:47], v[34:35], v[16:17] op_sel_hi:[1,0,1]
	ds_load_2addr_b32 v[46:47], v27 offset0:160 offset1:176
	s_wait_dscnt 0x6
	v_pk_fma_f32 v[24:25], v[48:49], v[30:31], v[24:25] op_sel:[0,1,0]
	v_pk_fma_f32 v[16:17], v[48:49], v[34:35], v[16:17] op_sel:[0,1,0]
	ds_load_2addr_b32 v[30:31], v27 offset0:192 offset1:208
	v_dual_mov_b32 v34, v33 :: v_dual_mov_b32 v48, v37
	s_wait_dscnt 0x6
	v_pk_fma_f32 v[24:25], v[50:51], v[32:33], v[24:25] op_sel_hi:[1,0,1]
	v_pk_fma_f32 v[16:17], v[50:51], v[36:37], v[16:17] op_sel_hi:[1,0,1]
	ds_load_2addr_b32 v[32:33], v27 offset0:224 offset1:240
	s_wait_dscnt 0x3
	v_mov_b32_e32 v36, v45
	s_wait_dscnt 0x0
	v_pk_fma_f32 v[24:25], v[52:53], v[34:35], v[24:25] op_sel_hi:[1,0,1]
	v_pk_fma_f32 v[16:17], v[52:53], v[48:49], v[16:17] op_sel_hi:[1,0,1]
	v_mov_b32_e32 v34, v41
	s_barrier_signal -1
	s_barrier_wait -1
	v_pk_fma_f32 v[24:25], v[54:55], v[38:39], v[24:25] op_sel_hi:[1,0,1]
	v_pk_fma_f32 v[16:17], v[54:55], v[42:43], v[16:17] op_sel_hi:[1,0,1]
	s_delay_alu instid0(VALU_DEP_2) | instskip(NEXT) | instid1(VALU_DEP_2)
	v_pk_fma_f32 v[24:25], v[46:47], v[38:39], v[24:25] op_sel:[0,1,0]
	v_pk_fma_f32 v[16:17], v[46:47], v[42:43], v[16:17] op_sel:[0,1,0]
	s_delay_alu instid0(VALU_DEP_2) | instskip(NEXT) | instid1(VALU_DEP_2)
	v_pk_fma_f32 v[24:25], v[30:31], v[40:41], v[24:25] op_sel_hi:[1,0,1]
	v_pk_fma_f32 v[16:17], v[30:31], v[44:45], v[16:17] op_sel_hi:[1,0,1]
	s_delay_alu instid0(VALU_DEP_2) | instskip(NEXT) | instid1(VALU_DEP_2)
	v_pk_fma_f32 v[24:25], v[32:33], v[34:35], v[24:25] op_sel_hi:[1,0,1]
	v_pk_fma_f32 v[16:17], v[32:33], v[36:37], v[16:17] op_sel_hi:[1,0,1]
	s_cbranch_scc0 .LBB299_13
.LBB299_9:                              ;   Parent Loop BB299_6 Depth=1
                                        ; =>  This Inner Loop Header: Depth=2
	v_add_nc_u32_e32 v29, s22, v2
	s_delay_alu instid0(VALU_DEP_1) | instskip(SKIP_2) | instid1(SALU_CYCLE_1)
	v_cmp_gt_i32_e32 vcc_lo, s21, v29
	v_mov_b32_e32 v29, 0
	s_and_b32 s24, s0, vcc_lo
	s_and_saveexec_b32 s23, s24
	s_cbranch_execz .LBB299_11
; %bb.10:                               ;   in Loop: Header=BB299_9 Depth=2
	flat_load_b32 v29, v[20:21]
.LBB299_11:                             ;   in Loop: Header=BB299_9 Depth=2
	s_wait_xcnt 0x0
	s_or_b32 exec_lo, exec_lo, s23
	v_add_nc_u32_e32 v30, s22, v0
	s_wait_loadcnt_dscnt 0x0
	ds_store_b32 v1, v29
	v_cmp_gt_i32_e32 vcc_lo, s21, v30
	v_mov_b32_e32 v30, 0
	s_and_b32 s24, vcc_lo, s1
	s_delay_alu instid0(SALU_CYCLE_1)
	s_and_saveexec_b32 s23, s24
	s_cbranch_execz .LBB299_8
; %bb.12:                               ;   in Loop: Header=BB299_9 Depth=2
	flat_load_b32 v30, v[22:23]
	s_branch .LBB299_8
.LBB299_13:                             ;   in Loop: Header=BB299_6 Depth=1
	s_wait_loadcnt 0x0
	v_add_nc_u64_e32 v[18:19], s[8:9], v[18:19]
	s_delay_alu instid0(VALU_DEP_1)
	v_lshl_add_u64 v[20:21], v[6:7], 2, v[18:19]
	s_and_saveexec_b32 s22, s20
	s_cbranch_execz .LBB299_17
; %bb.14:                               ;   in Loop: Header=BB299_6 Depth=1
	v_mul_f32_e32 v24, s28, v24
	s_delay_alu instid0(VALU_DEP_2)
	v_lshl_add_u64 v[22:23], v[4:5], 2, v[20:21]
	s_and_b32 vcc_lo, exec_lo, s18
	s_cbranch_vccz .LBB299_28
; %bb.15:                               ;   in Loop: Header=BB299_6 Depth=1
	flat_load_b32 v29, v[22:23]
	s_wait_loadcnt_dscnt 0x0
	v_fma_f32 v29, s19, v29, v24
	flat_store_b32 v[22:23], v29
	s_cbranch_execnz .LBB299_17
.LBB299_16:                             ;   in Loop: Header=BB299_6 Depth=1
	flat_store_b32 v[22:23], v24
.LBB299_17:                             ;   in Loop: Header=BB299_6 Depth=1
	s_wait_xcnt 0x0
	s_or_b32 exec_lo, exec_lo, s22
	s_and_saveexec_b32 s22, s30
	s_cbranch_execz .LBB299_21
; %bb.18:                               ;   in Loop: Header=BB299_6 Depth=1
	v_mul_f32_e32 v22, s28, v25
	v_lshl_add_u64 v[20:21], v[10:11], 2, v[20:21]
	s_and_not1_b32 vcc_lo, exec_lo, s18
	s_cbranch_vccnz .LBB299_29
; %bb.19:                               ;   in Loop: Header=BB299_6 Depth=1
	flat_load_b32 v23, v[20:21]
	s_wait_loadcnt_dscnt 0x0
	v_fma_f32 v23, s19, v23, v22
	flat_store_b32 v[20:21], v23
	s_cbranch_execnz .LBB299_21
.LBB299_20:                             ;   in Loop: Header=BB299_6 Depth=1
	flat_store_b32 v[20:21], v22
.LBB299_21:                             ;   in Loop: Header=BB299_6 Depth=1
	s_wait_xcnt 0x0
	s_or_b32 exec_lo, exec_lo, s22
	v_lshl_add_u64 v[18:19], v[8:9], 2, v[18:19]
	s_and_saveexec_b32 s22, s12
	s_cbranch_execz .LBB299_25
; %bb.22:                               ;   in Loop: Header=BB299_6 Depth=1
	v_mul_f32_e32 v16, s28, v16
	s_delay_alu instid0(VALU_DEP_2)
	v_lshl_add_u64 v[20:21], v[4:5], 2, v[18:19]
	s_and_not1_b32 vcc_lo, exec_lo, s18
	s_cbranch_vccnz .LBB299_30
; %bb.23:                               ;   in Loop: Header=BB299_6 Depth=1
	flat_load_b32 v22, v[20:21]
	s_wait_loadcnt_dscnt 0x0
	v_fma_f32 v22, s19, v22, v16
	flat_store_b32 v[20:21], v22
	s_cbranch_execnz .LBB299_25
.LBB299_24:                             ;   in Loop: Header=BB299_6 Depth=1
	flat_store_b32 v[20:21], v16
.LBB299_25:                             ;   in Loop: Header=BB299_6 Depth=1
	s_wait_xcnt 0x0
	s_or_b32 exec_lo, exec_lo, s22
	s_and_saveexec_b32 s22, s13
	s_cbranch_execz .LBB299_5
; %bb.26:                               ;   in Loop: Header=BB299_6 Depth=1
	v_mul_f32_e32 v20, s28, v17
	v_lshl_add_u64 v[16:17], v[10:11], 2, v[18:19]
	s_and_not1_b32 vcc_lo, exec_lo, s18
	s_cbranch_vccnz .LBB299_31
; %bb.27:                               ;   in Loop: Header=BB299_6 Depth=1
	flat_load_b32 v18, v[16:17]
	s_wait_loadcnt_dscnt 0x0
	v_fma_f32 v18, s19, v18, v20
	flat_store_b32 v[16:17], v18
	s_cbranch_execnz .LBB299_5
	s_branch .LBB299_32
.LBB299_28:                             ;   in Loop: Header=BB299_6 Depth=1
	s_branch .LBB299_16
.LBB299_29:                             ;   in Loop: Header=BB299_6 Depth=1
	s_branch .LBB299_20
.LBB299_30:                             ;   in Loop: Header=BB299_6 Depth=1
	s_branch .LBB299_24
.LBB299_31:                             ;   in Loop: Header=BB299_6 Depth=1
.LBB299_32:                             ;   in Loop: Header=BB299_6 Depth=1
	flat_store_b32 v[16:17], v20
	s_branch .LBB299_5
.LBB299_33:
	s_endpgm
	.section	.rodata,"a",@progbits
	.p2align	6, 0x0
	.amdhsa_kernel _ZL29rocblas_internal_gemmt_kernelIiLi16ELi32ELi8ELc78ELc67ELc76ELb0ELb0EfPKfPKS1_PKPfEviT_T9_T10_S7_lS9_S7_lS8_T11_S7_li
		.amdhsa_group_segment_fixed_size 2048
		.amdhsa_private_segment_fixed_size 0
		.amdhsa_kernarg_size 100
		.amdhsa_user_sgpr_count 2
		.amdhsa_user_sgpr_dispatch_ptr 0
		.amdhsa_user_sgpr_queue_ptr 0
		.amdhsa_user_sgpr_kernarg_segment_ptr 1
		.amdhsa_user_sgpr_dispatch_id 0
		.amdhsa_user_sgpr_kernarg_preload_length 0
		.amdhsa_user_sgpr_kernarg_preload_offset 0
		.amdhsa_user_sgpr_private_segment_size 0
		.amdhsa_wavefront_size32 1
		.amdhsa_uses_dynamic_stack 0
		.amdhsa_enable_private_segment 0
		.amdhsa_system_sgpr_workgroup_id_x 1
		.amdhsa_system_sgpr_workgroup_id_y 1
		.amdhsa_system_sgpr_workgroup_id_z 1
		.amdhsa_system_sgpr_workgroup_info 0
		.amdhsa_system_vgpr_workitem_id 1
		.amdhsa_next_free_vgpr 56
		.amdhsa_next_free_sgpr 34
		.amdhsa_named_barrier_count 0
		.amdhsa_reserve_vcc 1
		.amdhsa_float_round_mode_32 0
		.amdhsa_float_round_mode_16_64 0
		.amdhsa_float_denorm_mode_32 3
		.amdhsa_float_denorm_mode_16_64 3
		.amdhsa_fp16_overflow 0
		.amdhsa_memory_ordered 1
		.amdhsa_forward_progress 1
		.amdhsa_inst_pref_size 14
		.amdhsa_round_robin_scheduling 0
		.amdhsa_exception_fp_ieee_invalid_op 0
		.amdhsa_exception_fp_denorm_src 0
		.amdhsa_exception_fp_ieee_div_zero 0
		.amdhsa_exception_fp_ieee_overflow 0
		.amdhsa_exception_fp_ieee_underflow 0
		.amdhsa_exception_fp_ieee_inexact 0
		.amdhsa_exception_int_div_zero 0
	.end_amdhsa_kernel
	.section	.text._ZL29rocblas_internal_gemmt_kernelIiLi16ELi32ELi8ELc78ELc67ELc76ELb0ELb0EfPKfPKS1_PKPfEviT_T9_T10_S7_lS9_S7_lS8_T11_S7_li,"axG",@progbits,_ZL29rocblas_internal_gemmt_kernelIiLi16ELi32ELi8ELc78ELc67ELc76ELb0ELb0EfPKfPKS1_PKPfEviT_T9_T10_S7_lS9_S7_lS8_T11_S7_li,comdat
.Lfunc_end299:
	.size	_ZL29rocblas_internal_gemmt_kernelIiLi16ELi32ELi8ELc78ELc67ELc76ELb0ELb0EfPKfPKS1_PKPfEviT_T9_T10_S7_lS9_S7_lS8_T11_S7_li, .Lfunc_end299-_ZL29rocblas_internal_gemmt_kernelIiLi16ELi32ELi8ELc78ELc67ELc76ELb0ELb0EfPKfPKS1_PKPfEviT_T9_T10_S7_lS9_S7_lS8_T11_S7_li
                                        ; -- End function
	.set _ZL29rocblas_internal_gemmt_kernelIiLi16ELi32ELi8ELc78ELc67ELc76ELb0ELb0EfPKfPKS1_PKPfEviT_T9_T10_S7_lS9_S7_lS8_T11_S7_li.num_vgpr, 56
	.set _ZL29rocblas_internal_gemmt_kernelIiLi16ELi32ELi8ELc78ELc67ELc76ELb0ELb0EfPKfPKS1_PKPfEviT_T9_T10_S7_lS9_S7_lS8_T11_S7_li.num_agpr, 0
	.set _ZL29rocblas_internal_gemmt_kernelIiLi16ELi32ELi8ELc78ELc67ELc76ELb0ELb0EfPKfPKS1_PKPfEviT_T9_T10_S7_lS9_S7_lS8_T11_S7_li.numbered_sgpr, 34
	.set _ZL29rocblas_internal_gemmt_kernelIiLi16ELi32ELi8ELc78ELc67ELc76ELb0ELb0EfPKfPKS1_PKPfEviT_T9_T10_S7_lS9_S7_lS8_T11_S7_li.num_named_barrier, 0
	.set _ZL29rocblas_internal_gemmt_kernelIiLi16ELi32ELi8ELc78ELc67ELc76ELb0ELb0EfPKfPKS1_PKPfEviT_T9_T10_S7_lS9_S7_lS8_T11_S7_li.private_seg_size, 0
	.set _ZL29rocblas_internal_gemmt_kernelIiLi16ELi32ELi8ELc78ELc67ELc76ELb0ELb0EfPKfPKS1_PKPfEviT_T9_T10_S7_lS9_S7_lS8_T11_S7_li.uses_vcc, 1
	.set _ZL29rocblas_internal_gemmt_kernelIiLi16ELi32ELi8ELc78ELc67ELc76ELb0ELb0EfPKfPKS1_PKPfEviT_T9_T10_S7_lS9_S7_lS8_T11_S7_li.uses_flat_scratch, 0
	.set _ZL29rocblas_internal_gemmt_kernelIiLi16ELi32ELi8ELc78ELc67ELc76ELb0ELb0EfPKfPKS1_PKPfEviT_T9_T10_S7_lS9_S7_lS8_T11_S7_li.has_dyn_sized_stack, 0
	.set _ZL29rocblas_internal_gemmt_kernelIiLi16ELi32ELi8ELc78ELc67ELc76ELb0ELb0EfPKfPKS1_PKPfEviT_T9_T10_S7_lS9_S7_lS8_T11_S7_li.has_recursion, 0
	.set _ZL29rocblas_internal_gemmt_kernelIiLi16ELi32ELi8ELc78ELc67ELc76ELb0ELb0EfPKfPKS1_PKPfEviT_T9_T10_S7_lS9_S7_lS8_T11_S7_li.has_indirect_call, 0
	.section	.AMDGPU.csdata,"",@progbits
; Kernel info:
; codeLenInByte = 1688
; TotalNumSgprs: 36
; NumVgprs: 56
; ScratchSize: 0
; MemoryBound: 0
; FloatMode: 240
; IeeeMode: 1
; LDSByteSize: 2048 bytes/workgroup (compile time only)
; SGPRBlocks: 0
; VGPRBlocks: 3
; NumSGPRsForWavesPerEU: 36
; NumVGPRsForWavesPerEU: 56
; NamedBarCnt: 0
; Occupancy: 16
; WaveLimiterHint : 1
; COMPUTE_PGM_RSRC2:SCRATCH_EN: 0
; COMPUTE_PGM_RSRC2:USER_SGPR: 2
; COMPUTE_PGM_RSRC2:TRAP_HANDLER: 0
; COMPUTE_PGM_RSRC2:TGID_X_EN: 1
; COMPUTE_PGM_RSRC2:TGID_Y_EN: 1
; COMPUTE_PGM_RSRC2:TGID_Z_EN: 1
; COMPUTE_PGM_RSRC2:TIDIG_COMP_CNT: 1
	.section	.text._ZL29rocblas_internal_gemmt_kernelIiLi16ELi32ELi8ELc84ELc78ELc76ELb0ELb0EfPKfPKS1_PKPfEviT_T9_T10_S7_lS9_S7_lS8_T11_S7_li,"axG",@progbits,_ZL29rocblas_internal_gemmt_kernelIiLi16ELi32ELi8ELc84ELc78ELc76ELb0ELb0EfPKfPKS1_PKPfEviT_T9_T10_S7_lS9_S7_lS8_T11_S7_li,comdat
	.globl	_ZL29rocblas_internal_gemmt_kernelIiLi16ELi32ELi8ELc84ELc78ELc76ELb0ELb0EfPKfPKS1_PKPfEviT_T9_T10_S7_lS9_S7_lS8_T11_S7_li ; -- Begin function _ZL29rocblas_internal_gemmt_kernelIiLi16ELi32ELi8ELc84ELc78ELc76ELb0ELb0EfPKfPKS1_PKPfEviT_T9_T10_S7_lS9_S7_lS8_T11_S7_li
	.p2align	8
	.type	_ZL29rocblas_internal_gemmt_kernelIiLi16ELi32ELi8ELc84ELc78ELc76ELb0ELb0EfPKfPKS1_PKPfEviT_T9_T10_S7_lS9_S7_lS8_T11_S7_li,@function
_ZL29rocblas_internal_gemmt_kernelIiLi16ELi32ELi8ELc84ELc78ELc76ELb0ELb0EfPKfPKS1_PKPfEviT_T9_T10_S7_lS9_S7_lS8_T11_S7_li: ; @_ZL29rocblas_internal_gemmt_kernelIiLi16ELi32ELi8ELc84ELc78ELc76ELb0ELb0EfPKfPKS1_PKPfEviT_T9_T10_S7_lS9_S7_lS8_T11_S7_li
; %bb.0:
	s_clause 0x1
	s_load_b128 s[12:15], s[0:1], 0x38
	s_load_b128 s[4:7], s[0:1], 0x8
	s_wait_kmcnt 0x0
	s_load_b32 s19, s[14:15], 0x0
	s_load_b64 s[20:21], s[0:1], 0x0
	s_load_b32 s24, s[4:5], 0x0
	s_wait_kmcnt 0x0
	s_cmp_neq_f32 s19, 1.0
	s_cselect_b32 s2, -1, 0
	s_delay_alu instid0(SALU_CYCLE_1)
	s_and_b32 vcc_lo, exec_lo, s2
	s_cbranch_vccnz .LBB300_2
; %bb.1:
	s_cmp_lg_u32 s21, 0
	s_cselect_b32 s2, -1, 0
	s_cmp_neq_f32 s24, 0
	s_cselect_b32 s3, -1, 0
	s_delay_alu instid0(SALU_CYCLE_1)
	s_and_b32 s2, s2, s3
.LBB300_2:
	s_delay_alu instid0(SALU_CYCLE_1)
	s_and_not1_b32 vcc_lo, exec_lo, s2
	s_cbranch_vccnz .LBB300_33
; %bb.3:
	s_load_b32 s25, s[0:1], 0x60
	s_bfe_u32 s2, ttmp6, 0x40014
	s_lshr_b32 s3, ttmp7, 16
	s_add_co_i32 s2, s2, 1
	s_bfe_u32 s4, ttmp6, 0x40008
	s_mul_i32 s2, s3, s2
	s_getreg_b32 s26, hwreg(HW_REG_IB_STS2, 6, 4)
	s_add_co_i32 s4, s4, s2
	s_cmp_eq_u32 s26, 0
	s_mov_b32 s15, 0
	s_cselect_b32 s14, s3, s4
	s_wait_kmcnt 0x0
	s_cmp_ge_u32 s14, s25
	s_cbranch_scc1 .LBB300_33
; %bb.4:
	s_clause 0x3
	s_load_b32 s4, s[0:1], 0x18
	s_load_b32 s2, s[0:1], 0x30
	s_load_b96 s[16:18], s[0:1], 0x48
	s_load_b128 s[8:11], s[0:1], 0x20
	v_and_b32_e32 v1, 0x3ff, v0
	v_bfe_u32 v7, v0, 10, 10
	s_load_b64 s[22:23], s[0:1], 0x58
	s_wait_xcnt 0x0
	s_bfe_u32 s1, ttmp6, 0x4000c
	s_bfe_u32 s3, ttmp6, 0x40010
	s_and_b32 s28, ttmp7, 0xffff
	s_add_co_i32 s1, s1, 1
	s_add_co_i32 s3, s3, 1
	v_lshl_add_u32 v3, v7, 4, v1
	s_and_b32 s0, ttmp6, 15
	s_bfe_u32 s29, ttmp6, 0x40004
	s_mul_i32 s1, ttmp9, s1
	s_mul_i32 s30, s28, s3
	s_add_co_i32 s0, s0, s1
	s_add_co_i32 s29, s29, s30
	v_dual_lshrrev_b32 v6, 3, v3 :: v_dual_bitop2_b32 v9, 31, v3 bitop3:0x40
	s_wait_kmcnt 0x0
	s_ashr_i32 s5, s4, 31
	s_ashr_i32 s3, s2, 31
	;; [unrolled: 1-line block ×3, first 2 shown]
	s_cmp_eq_u32 s26, 0
	s_mov_b32 s26, s18
	s_cselect_b32 s0, ttmp9, s0
	s_cselect_b32 s1, s28, s29
	s_lshl_b32 s28, s0, 5
	s_lshl_b32 s0, s1, 5
	v_dual_lshrrev_b32 v24, 5, v3 :: v_dual_bitop2_b32 v2, s28, v9 bitop3:0x54
	v_dual_add_nc_u32 v4, s0, v6 :: v_dual_bitop2_b32 v25, 7, v0 bitop3:0x40
	v_dual_add_nc_u32 v8, s0, v7 :: v_dual_lshlrev_b32 v0, 2, v9
	s_delay_alu instid0(VALU_DEP_2) | instskip(NEXT) | instid1(VALU_DEP_2)
	v_dual_ashrrev_i32 v3, 31, v2 :: v_dual_ashrrev_i32 v5, 31, v4
	v_dual_lshlrev_b32 v16, 2, v25 :: v_dual_add_nc_u32 v14, 16, v8
	v_ashrrev_i32_e32 v9, 31, v8
	s_delay_alu instid0(VALU_DEP_3) | instskip(NEXT) | instid1(VALU_DEP_4)
	v_mul_u64_e32 v[10:11], s[4:5], v[2:3]
	v_mul_u64_e32 v[12:13], s[2:3], v[4:5]
	v_cmp_gt_i32_e64 s0, s20, v2
	v_ashrrev_i32_e32 v15, 31, v14
	v_cmp_gt_i32_e64 s1, s20, v4
	v_mul_u64_e32 v[2:3], s[26:27], v[8:9]
	s_cmp_neq_f32 s24, 0
	v_lshl_or_b32 v26, v24, 7, v0
	v_mul_u64_e32 v[4:5], s[26:27], v[14:15]
	v_lshl_or_b32 v6, v6, 5, v16
	s_cselect_b32 s29, -1, 0
	s_cmp_gt_i32 s21, 0
	v_dual_add_nc_u32 v0, s28, v1 :: v_dual_lshlrev_b32 v28, 2, v1
	s_cselect_b32 s30, -1, 0
	s_cmp_neq_f32 s19, 0
	v_add_nc_u32_e32 v27, 0x400, v6
	s_delay_alu instid0(VALU_DEP_2)
	v_dual_add_nc_u32 v6, 16, v0 :: v_dual_ashrrev_i32 v1, 31, v0
	v_mov_b32_e32 v9, 0
	s_cselect_b32 s5, -1, 0
	s_lshl_b64 s[8:9], s[8:9], 2
	v_cmp_le_i32_e32 vcc_lo, v8, v0
	v_cmp_gt_i32_e64 s2, s20, v0
	v_cmp_le_i32_e64 s3, v8, v6
	v_cmp_gt_i32_e64 s4, s20, v6
	v_dual_mov_b32 v17, v9 :: v_dual_lshlrev_b32 v8, 2, v24
	v_lshl_add_u32 v29, v7, 5, 0x400
	s_and_b32 s18, vcc_lo, s2
	s_and_b32 s20, s3, s4
	v_ashrrev_i32_e32 v7, 31, v6
	v_lshl_add_u64 v[10:11], v[10:11], 2, s[8:9]
	s_lshl_b64 s[8:9], s[12:13], 2
	v_cmp_le_i32_e32 vcc_lo, v14, v0
	v_lshl_add_u64 v[12:13], v[12:13], 2, s[8:9]
	v_cmp_le_i32_e64 s3, v14, v6
	v_add_nc_u64_e32 v[10:11], v[10:11], v[8:9]
	s_and_b32 s8, s29, s30
	s_and_b32 s9, vcc_lo, s2
	v_add_nc_u64_e32 v[12:13], v[12:13], v[16:17]
	s_and_b32 s4, s3, s4
	s_lshl_b64 s[2:3], s[22:23], 2
	s_branch .LBB300_6
.LBB300_5:                              ;   in Loop: Header=BB300_6 Depth=1
	s_wait_xcnt 0x0
	s_or_b32 exec_lo, exec_lo, s12
	s_add_co_i32 s14, s14, 0x10000
	s_delay_alu instid0(SALU_CYCLE_1)
	s_cmp_lt_u32 s14, s25
	s_cbranch_scc0 .LBB300_33
.LBB300_6:                              ; =>This Loop Header: Depth=1
                                        ;     Child Loop BB300_9 Depth 2
	v_dual_mov_b32 v8, s14 :: v_dual_mov_b32 v23, 0
	v_dual_mov_b32 v22, 0 :: v_dual_mov_b32 v15, 0
	v_mov_b32_e32 v14, 0
	global_load_b64 v[16:17], v8, s[16:17] scale_offset
	s_and_not1_b32 vcc_lo, exec_lo, s8
	s_cbranch_vccnz .LBB300_13
; %bb.7:                                ;   in Loop: Header=BB300_6 Depth=1
	s_lshl_b64 s[12:13], s[14:15], 3
	v_mov_b32_e32 v14, 0
	s_add_nc_u64 s[22:23], s[6:7], s[12:13]
	s_add_nc_u64 s[12:13], s[10:11], s[12:13]
	s_clause 0x1
	global_load_b64 v[18:19], v9, s[22:23]
	global_load_b64 v[20:21], v9, s[12:13]
	s_wait_xcnt 0x0
	s_mov_b32 s12, 0
	v_dual_mov_b32 v15, v14 :: v_dual_mov_b32 v22, v14
	v_mov_b32_e32 v23, v14
	s_wait_loadcnt 0x1
	v_add_nc_u64_e32 v[18:19], v[18:19], v[10:11]
	s_wait_loadcnt 0x0
	v_add_nc_u64_e32 v[20:21], v[20:21], v[12:13]
	s_branch .LBB300_9
.LBB300_8:                              ;   in Loop: Header=BB300_9 Depth=2
	s_wait_xcnt 0x0
	s_or_b32 exec_lo, exec_lo, s13
	s_wait_loadcnt_dscnt 0x0
	ds_store_b32 v27, v30
	s_wait_dscnt 0x0
	s_barrier_signal -1
	s_barrier_wait -1
	ds_load_b128 v[30:33], v29
	ds_load_2addr_b32 v[46:47], v28 offset1:16
	ds_load_b128 v[34:37], v29 offset:512
	ds_load_2addr_b32 v[48:49], v28 offset0:32 offset1:48
	ds_load_2addr_b32 v[50:51], v28 offset0:64 offset1:80
	;; [unrolled: 1-line block ×3, first 2 shown]
	ds_load_b128 v[38:41], v29 offset:16
	ds_load_2addr_b32 v[54:55], v28 offset0:128 offset1:144
	ds_load_b128 v[42:45], v29 offset:528
	v_add_nc_u64_e32 v[18:19], 32, v[18:19]
	v_add_nc_u64_e32 v[20:21], 32, v[20:21]
	s_add_co_i32 s12, s12, 8
	s_delay_alu instid0(SALU_CYCLE_1)
	s_cmp_lt_i32 s12, s21
	s_wait_dscnt 0x8
	v_mov_b32_e32 v8, v33
	s_wait_dscnt 0x7
	v_pk_fma_f32 v[22:23], v[46:47], v[30:31], v[22:23] op_sel_hi:[1,0,1]
	s_wait_dscnt 0x6
	v_pk_fma_f32 v[14:15], v[46:47], v[34:35], v[14:15] op_sel_hi:[1,0,1]
	ds_load_2addr_b32 v[46:47], v28 offset0:160 offset1:176
	s_wait_dscnt 0x6
	v_pk_fma_f32 v[22:23], v[48:49], v[30:31], v[22:23] op_sel:[0,1,0]
	v_pk_fma_f32 v[14:15], v[48:49], v[34:35], v[14:15] op_sel:[0,1,0]
	ds_load_2addr_b32 v[30:31], v28 offset0:192 offset1:208
	v_mov_b32_e32 v34, v37
	s_wait_dscnt 0x6
	v_pk_fma_f32 v[22:23], v[50:51], v[32:33], v[22:23] op_sel_hi:[1,0,1]
	v_pk_fma_f32 v[14:15], v[50:51], v[36:37], v[14:15] op_sel_hi:[1,0,1]
	ds_load_2addr_b32 v[32:33], v28 offset0:224 offset1:240
	s_wait_dscnt 0x0
	s_barrier_signal -1
	v_pk_fma_f32 v[22:23], v[52:53], v[8:9], v[22:23] op_sel_hi:[1,0,1]
	v_pk_fma_f32 v[14:15], v[52:53], v[34:35], v[14:15] op_sel_hi:[1,0,1]
	v_dual_mov_b32 v8, v41 :: v_dual_mov_b32 v34, v45
	s_barrier_wait -1
	s_delay_alu instid0(VALU_DEP_3) | instskip(NEXT) | instid1(VALU_DEP_3)
	v_pk_fma_f32 v[22:23], v[54:55], v[38:39], v[22:23] op_sel_hi:[1,0,1]
	v_pk_fma_f32 v[14:15], v[54:55], v[42:43], v[14:15] op_sel_hi:[1,0,1]
	s_delay_alu instid0(VALU_DEP_2) | instskip(NEXT) | instid1(VALU_DEP_2)
	v_pk_fma_f32 v[22:23], v[46:47], v[38:39], v[22:23] op_sel:[0,1,0]
	v_pk_fma_f32 v[14:15], v[46:47], v[42:43], v[14:15] op_sel:[0,1,0]
	s_delay_alu instid0(VALU_DEP_2) | instskip(NEXT) | instid1(VALU_DEP_2)
	v_pk_fma_f32 v[22:23], v[30:31], v[40:41], v[22:23] op_sel_hi:[1,0,1]
	v_pk_fma_f32 v[14:15], v[30:31], v[44:45], v[14:15] op_sel_hi:[1,0,1]
	s_delay_alu instid0(VALU_DEP_2) | instskip(NEXT) | instid1(VALU_DEP_2)
	v_pk_fma_f32 v[22:23], v[32:33], v[8:9], v[22:23] op_sel_hi:[1,0,1]
	v_pk_fma_f32 v[14:15], v[32:33], v[34:35], v[14:15] op_sel_hi:[1,0,1]
	s_cbranch_scc0 .LBB300_13
.LBB300_9:                              ;   Parent Loop BB300_6 Depth=1
                                        ; =>  This Inner Loop Header: Depth=2
	v_add_nc_u32_e32 v8, s12, v24
	s_delay_alu instid0(VALU_DEP_1) | instskip(SKIP_2) | instid1(SALU_CYCLE_1)
	v_cmp_gt_i32_e32 vcc_lo, s21, v8
	v_mov_b32_e32 v8, 0
	s_and_b32 s22, s0, vcc_lo
	s_and_saveexec_b32 s13, s22
	s_cbranch_execz .LBB300_11
; %bb.10:                               ;   in Loop: Header=BB300_9 Depth=2
	flat_load_b32 v8, v[18:19]
.LBB300_11:                             ;   in Loop: Header=BB300_9 Depth=2
	s_wait_xcnt 0x0
	s_or_b32 exec_lo, exec_lo, s13
	v_add_nc_u32_e32 v30, s12, v25
	s_wait_loadcnt_dscnt 0x0
	ds_store_b32 v26, v8
	v_cmp_gt_i32_e32 vcc_lo, s21, v30
	v_mov_b32_e32 v30, 0
	s_and_b32 s22, vcc_lo, s1
	s_delay_alu instid0(SALU_CYCLE_1)
	s_and_saveexec_b32 s13, s22
	s_cbranch_execz .LBB300_8
; %bb.12:                               ;   in Loop: Header=BB300_9 Depth=2
	flat_load_b32 v30, v[20:21]
	s_branch .LBB300_8
.LBB300_13:                             ;   in Loop: Header=BB300_6 Depth=1
	s_wait_loadcnt 0x0
	v_add_nc_u64_e32 v[16:17], s[2:3], v[16:17]
	s_delay_alu instid0(VALU_DEP_1)
	v_lshl_add_u64 v[18:19], v[2:3], 2, v[16:17]
	s_wait_xcnt 0x0
	s_and_saveexec_b32 s12, s18
	s_cbranch_execz .LBB300_17
; %bb.14:                               ;   in Loop: Header=BB300_6 Depth=1
	v_mul_f32_e32 v8, s24, v22
	v_lshl_add_u64 v[20:21], v[0:1], 2, v[18:19]
	s_and_b32 vcc_lo, exec_lo, s5
	s_cbranch_vccz .LBB300_28
; %bb.15:                               ;   in Loop: Header=BB300_6 Depth=1
	flat_load_b32 v22, v[20:21]
	s_wait_loadcnt_dscnt 0x0
	v_fma_f32 v22, s19, v22, v8
	flat_store_b32 v[20:21], v22
	s_cbranch_execnz .LBB300_17
.LBB300_16:                             ;   in Loop: Header=BB300_6 Depth=1
	flat_store_b32 v[20:21], v8
.LBB300_17:                             ;   in Loop: Header=BB300_6 Depth=1
	s_wait_xcnt 0x0
	s_or_b32 exec_lo, exec_lo, s12
	s_and_saveexec_b32 s12, s20
	s_cbranch_execz .LBB300_21
; %bb.18:                               ;   in Loop: Header=BB300_6 Depth=1
	v_mul_f32_e32 v8, s24, v23
	v_lshl_add_u64 v[18:19], v[6:7], 2, v[18:19]
	s_and_not1_b32 vcc_lo, exec_lo, s5
	s_cbranch_vccnz .LBB300_29
; %bb.19:                               ;   in Loop: Header=BB300_6 Depth=1
	flat_load_b32 v20, v[18:19]
	s_wait_loadcnt_dscnt 0x0
	v_fma_f32 v20, s19, v20, v8
	flat_store_b32 v[18:19], v20
	s_cbranch_execnz .LBB300_21
.LBB300_20:                             ;   in Loop: Header=BB300_6 Depth=1
	flat_store_b32 v[18:19], v8
.LBB300_21:                             ;   in Loop: Header=BB300_6 Depth=1
	s_wait_xcnt 0x0
	s_or_b32 exec_lo, exec_lo, s12
	v_lshl_add_u64 v[16:17], v[4:5], 2, v[16:17]
	s_and_saveexec_b32 s12, s9
	s_cbranch_execz .LBB300_25
; %bb.22:                               ;   in Loop: Header=BB300_6 Depth=1
	v_mul_f32_e32 v8, s24, v14
	s_delay_alu instid0(VALU_DEP_2)
	v_lshl_add_u64 v[18:19], v[0:1], 2, v[16:17]
	s_and_not1_b32 vcc_lo, exec_lo, s5
	s_cbranch_vccnz .LBB300_30
; %bb.23:                               ;   in Loop: Header=BB300_6 Depth=1
	flat_load_b32 v14, v[18:19]
	s_wait_loadcnt_dscnt 0x0
	v_fma_f32 v14, s19, v14, v8
	flat_store_b32 v[18:19], v14
	s_cbranch_execnz .LBB300_25
.LBB300_24:                             ;   in Loop: Header=BB300_6 Depth=1
	flat_store_b32 v[18:19], v8
.LBB300_25:                             ;   in Loop: Header=BB300_6 Depth=1
	s_wait_xcnt 0x0
	s_or_b32 exec_lo, exec_lo, s12
	s_and_saveexec_b32 s12, s4
	s_cbranch_execz .LBB300_5
; %bb.26:                               ;   in Loop: Header=BB300_6 Depth=1
	v_mul_f32_e32 v8, s24, v15
	v_lshl_add_u64 v[14:15], v[6:7], 2, v[16:17]
	s_and_not1_b32 vcc_lo, exec_lo, s5
	s_cbranch_vccnz .LBB300_31
; %bb.27:                               ;   in Loop: Header=BB300_6 Depth=1
	flat_load_b32 v16, v[14:15]
	s_wait_loadcnt_dscnt 0x0
	v_fma_f32 v16, s19, v16, v8
	flat_store_b32 v[14:15], v16
	s_cbranch_execnz .LBB300_5
	s_branch .LBB300_32
.LBB300_28:                             ;   in Loop: Header=BB300_6 Depth=1
	s_branch .LBB300_16
.LBB300_29:                             ;   in Loop: Header=BB300_6 Depth=1
	s_branch .LBB300_20
.LBB300_30:                             ;   in Loop: Header=BB300_6 Depth=1
	s_branch .LBB300_24
.LBB300_31:                             ;   in Loop: Header=BB300_6 Depth=1
.LBB300_32:                             ;   in Loop: Header=BB300_6 Depth=1
	flat_store_b32 v[14:15], v8
	s_branch .LBB300_5
.LBB300_33:
	s_endpgm
	.section	.rodata,"a",@progbits
	.p2align	6, 0x0
	.amdhsa_kernel _ZL29rocblas_internal_gemmt_kernelIiLi16ELi32ELi8ELc84ELc78ELc76ELb0ELb0EfPKfPKS1_PKPfEviT_T9_T10_S7_lS9_S7_lS8_T11_S7_li
		.amdhsa_group_segment_fixed_size 2048
		.amdhsa_private_segment_fixed_size 0
		.amdhsa_kernarg_size 100
		.amdhsa_user_sgpr_count 2
		.amdhsa_user_sgpr_dispatch_ptr 0
		.amdhsa_user_sgpr_queue_ptr 0
		.amdhsa_user_sgpr_kernarg_segment_ptr 1
		.amdhsa_user_sgpr_dispatch_id 0
		.amdhsa_user_sgpr_kernarg_preload_length 0
		.amdhsa_user_sgpr_kernarg_preload_offset 0
		.amdhsa_user_sgpr_private_segment_size 0
		.amdhsa_wavefront_size32 1
		.amdhsa_uses_dynamic_stack 0
		.amdhsa_enable_private_segment 0
		.amdhsa_system_sgpr_workgroup_id_x 1
		.amdhsa_system_sgpr_workgroup_id_y 1
		.amdhsa_system_sgpr_workgroup_id_z 1
		.amdhsa_system_sgpr_workgroup_info 0
		.amdhsa_system_vgpr_workitem_id 1
		.amdhsa_next_free_vgpr 56
		.amdhsa_next_free_sgpr 31
		.amdhsa_named_barrier_count 0
		.amdhsa_reserve_vcc 1
		.amdhsa_float_round_mode_32 0
		.amdhsa_float_round_mode_16_64 0
		.amdhsa_float_denorm_mode_32 3
		.amdhsa_float_denorm_mode_16_64 3
		.amdhsa_fp16_overflow 0
		.amdhsa_memory_ordered 1
		.amdhsa_forward_progress 1
		.amdhsa_inst_pref_size 14
		.amdhsa_round_robin_scheduling 0
		.amdhsa_exception_fp_ieee_invalid_op 0
		.amdhsa_exception_fp_denorm_src 0
		.amdhsa_exception_fp_ieee_div_zero 0
		.amdhsa_exception_fp_ieee_overflow 0
		.amdhsa_exception_fp_ieee_underflow 0
		.amdhsa_exception_fp_ieee_inexact 0
		.amdhsa_exception_int_div_zero 0
	.end_amdhsa_kernel
	.section	.text._ZL29rocblas_internal_gemmt_kernelIiLi16ELi32ELi8ELc84ELc78ELc76ELb0ELb0EfPKfPKS1_PKPfEviT_T9_T10_S7_lS9_S7_lS8_T11_S7_li,"axG",@progbits,_ZL29rocblas_internal_gemmt_kernelIiLi16ELi32ELi8ELc84ELc78ELc76ELb0ELb0EfPKfPKS1_PKPfEviT_T9_T10_S7_lS9_S7_lS8_T11_S7_li,comdat
.Lfunc_end300:
	.size	_ZL29rocblas_internal_gemmt_kernelIiLi16ELi32ELi8ELc84ELc78ELc76ELb0ELb0EfPKfPKS1_PKPfEviT_T9_T10_S7_lS9_S7_lS8_T11_S7_li, .Lfunc_end300-_ZL29rocblas_internal_gemmt_kernelIiLi16ELi32ELi8ELc84ELc78ELc76ELb0ELb0EfPKfPKS1_PKPfEviT_T9_T10_S7_lS9_S7_lS8_T11_S7_li
                                        ; -- End function
	.set _ZL29rocblas_internal_gemmt_kernelIiLi16ELi32ELi8ELc84ELc78ELc76ELb0ELb0EfPKfPKS1_PKPfEviT_T9_T10_S7_lS9_S7_lS8_T11_S7_li.num_vgpr, 56
	.set _ZL29rocblas_internal_gemmt_kernelIiLi16ELi32ELi8ELc84ELc78ELc76ELb0ELb0EfPKfPKS1_PKPfEviT_T9_T10_S7_lS9_S7_lS8_T11_S7_li.num_agpr, 0
	.set _ZL29rocblas_internal_gemmt_kernelIiLi16ELi32ELi8ELc84ELc78ELc76ELb0ELb0EfPKfPKS1_PKPfEviT_T9_T10_S7_lS9_S7_lS8_T11_S7_li.numbered_sgpr, 31
	.set _ZL29rocblas_internal_gemmt_kernelIiLi16ELi32ELi8ELc84ELc78ELc76ELb0ELb0EfPKfPKS1_PKPfEviT_T9_T10_S7_lS9_S7_lS8_T11_S7_li.num_named_barrier, 0
	.set _ZL29rocblas_internal_gemmt_kernelIiLi16ELi32ELi8ELc84ELc78ELc76ELb0ELb0EfPKfPKS1_PKPfEviT_T9_T10_S7_lS9_S7_lS8_T11_S7_li.private_seg_size, 0
	.set _ZL29rocblas_internal_gemmt_kernelIiLi16ELi32ELi8ELc84ELc78ELc76ELb0ELb0EfPKfPKS1_PKPfEviT_T9_T10_S7_lS9_S7_lS8_T11_S7_li.uses_vcc, 1
	.set _ZL29rocblas_internal_gemmt_kernelIiLi16ELi32ELi8ELc84ELc78ELc76ELb0ELb0EfPKfPKS1_PKPfEviT_T9_T10_S7_lS9_S7_lS8_T11_S7_li.uses_flat_scratch, 0
	.set _ZL29rocblas_internal_gemmt_kernelIiLi16ELi32ELi8ELc84ELc78ELc76ELb0ELb0EfPKfPKS1_PKPfEviT_T9_T10_S7_lS9_S7_lS8_T11_S7_li.has_dyn_sized_stack, 0
	.set _ZL29rocblas_internal_gemmt_kernelIiLi16ELi32ELi8ELc84ELc78ELc76ELb0ELb0EfPKfPKS1_PKPfEviT_T9_T10_S7_lS9_S7_lS8_T11_S7_li.has_recursion, 0
	.set _ZL29rocblas_internal_gemmt_kernelIiLi16ELi32ELi8ELc84ELc78ELc76ELb0ELb0EfPKfPKS1_PKPfEviT_T9_T10_S7_lS9_S7_lS8_T11_S7_li.has_indirect_call, 0
	.section	.AMDGPU.csdata,"",@progbits
; Kernel info:
; codeLenInByte = 1680
; TotalNumSgprs: 33
; NumVgprs: 56
; ScratchSize: 0
; MemoryBound: 0
; FloatMode: 240
; IeeeMode: 1
; LDSByteSize: 2048 bytes/workgroup (compile time only)
; SGPRBlocks: 0
; VGPRBlocks: 3
; NumSGPRsForWavesPerEU: 33
; NumVGPRsForWavesPerEU: 56
; NamedBarCnt: 0
; Occupancy: 16
; WaveLimiterHint : 1
; COMPUTE_PGM_RSRC2:SCRATCH_EN: 0
; COMPUTE_PGM_RSRC2:USER_SGPR: 2
; COMPUTE_PGM_RSRC2:TRAP_HANDLER: 0
; COMPUTE_PGM_RSRC2:TGID_X_EN: 1
; COMPUTE_PGM_RSRC2:TGID_Y_EN: 1
; COMPUTE_PGM_RSRC2:TGID_Z_EN: 1
; COMPUTE_PGM_RSRC2:TIDIG_COMP_CNT: 1
	.section	.text._ZL29rocblas_internal_gemmt_kernelIiLi16ELi32ELi8ELc84ELc84ELc76ELb0ELb0EfPKfPKS1_PKPfEviT_T9_T10_S7_lS9_S7_lS8_T11_S7_li,"axG",@progbits,_ZL29rocblas_internal_gemmt_kernelIiLi16ELi32ELi8ELc84ELc84ELc76ELb0ELb0EfPKfPKS1_PKPfEviT_T9_T10_S7_lS9_S7_lS8_T11_S7_li,comdat
	.globl	_ZL29rocblas_internal_gemmt_kernelIiLi16ELi32ELi8ELc84ELc84ELc76ELb0ELb0EfPKfPKS1_PKPfEviT_T9_T10_S7_lS9_S7_lS8_T11_S7_li ; -- Begin function _ZL29rocblas_internal_gemmt_kernelIiLi16ELi32ELi8ELc84ELc84ELc76ELb0ELb0EfPKfPKS1_PKPfEviT_T9_T10_S7_lS9_S7_lS8_T11_S7_li
	.p2align	8
	.type	_ZL29rocblas_internal_gemmt_kernelIiLi16ELi32ELi8ELc84ELc84ELc76ELb0ELb0EfPKfPKS1_PKPfEviT_T9_T10_S7_lS9_S7_lS8_T11_S7_li,@function
_ZL29rocblas_internal_gemmt_kernelIiLi16ELi32ELi8ELc84ELc84ELc76ELb0ELb0EfPKfPKS1_PKPfEviT_T9_T10_S7_lS9_S7_lS8_T11_S7_li: ; @_ZL29rocblas_internal_gemmt_kernelIiLi16ELi32ELi8ELc84ELc84ELc76ELb0ELb0EfPKfPKS1_PKPfEviT_T9_T10_S7_lS9_S7_lS8_T11_S7_li
; %bb.0:
	s_clause 0x1
	s_load_b128 s[12:15], s[0:1], 0x38
	s_load_b128 s[4:7], s[0:1], 0x8
	s_wait_kmcnt 0x0
	s_load_b32 s19, s[14:15], 0x0
	s_load_b64 s[20:21], s[0:1], 0x0
	s_load_b32 s26, s[4:5], 0x0
	s_wait_kmcnt 0x0
	s_cmp_neq_f32 s19, 1.0
	s_cselect_b32 s2, -1, 0
	s_delay_alu instid0(SALU_CYCLE_1)
	s_and_b32 vcc_lo, exec_lo, s2
	s_cbranch_vccnz .LBB301_2
; %bb.1:
	s_cmp_lg_u32 s21, 0
	s_cselect_b32 s2, -1, 0
	s_cmp_neq_f32 s26, 0
	s_cselect_b32 s3, -1, 0
	s_delay_alu instid0(SALU_CYCLE_1)
	s_and_b32 s2, s2, s3
.LBB301_2:
	s_delay_alu instid0(SALU_CYCLE_1)
	s_and_not1_b32 vcc_lo, exec_lo, s2
	s_cbranch_vccnz .LBB301_33
; %bb.3:
	s_load_b32 s27, s[0:1], 0x60
	s_bfe_u32 s2, ttmp6, 0x40014
	s_lshr_b32 s3, ttmp7, 16
	s_add_co_i32 s2, s2, 1
	s_bfe_u32 s5, ttmp6, 0x40008
	s_mul_i32 s2, s3, s2
	s_getreg_b32 s4, hwreg(HW_REG_IB_STS2, 6, 4)
	s_add_co_i32 s5, s5, s2
	s_cmp_eq_u32 s4, 0
	s_mov_b32 s15, 0
	s_cselect_b32 s14, s3, s5
	s_wait_kmcnt 0x0
	s_cmp_ge_u32 s14, s27
	s_cbranch_scc1 .LBB301_33
; %bb.4:
	s_clause 0x3
	s_load_b32 s2, s[0:1], 0x18
	s_load_b32 s22, s[0:1], 0x30
	s_load_b96 s[16:18], s[0:1], 0x48
	s_load_b128 s[8:11], s[0:1], 0x20
	v_and_b32_e32 v2, 0x3ff, v0
	v_bfe_u32 v11, v0, 10, 10
	s_load_b64 s[24:25], s[0:1], 0x58
	s_wait_xcnt 0x0
	s_bfe_u32 s1, ttmp6, 0x4000c
	s_bfe_u32 s3, ttmp6, 0x40010
	s_and_b32 s28, ttmp7, 0xffff
	s_add_co_i32 s1, s1, 1
	s_add_co_i32 s3, s3, 1
	v_lshl_add_u32 v1, v11, 4, v2
	s_and_b32 s0, ttmp6, 15
	s_mul_i32 s1, ttmp9, s1
	s_mul_i32 s29, s28, s3
	s_bfe_u32 s30, ttmp6, 0x40004
	s_add_co_i32 s0, s0, s1
	s_add_co_i32 s30, s30, s29
	v_dual_lshrrev_b32 v7, 3, v1 :: v_dual_bitop2_b32 v6, 31, v1 bitop3:0x40
	s_wait_kmcnt 0x0
	s_ashr_i32 s3, s2, 31
	s_ashr_i32 s23, s22, 31
	s_ashr_i32 s5, s18, 31
	s_cmp_eq_u32 s4, 0
	v_dual_lshrrev_b32 v26, 5, v1 :: v_dual_bitop2_b32 v0, 7, v0 bitop3:0x40
	s_cselect_b32 s0, ttmp9, s0
	s_cselect_b32 s1, s28, s30
	s_lshl_b32 s28, s0, 5
	s_delay_alu instid0(SALU_CYCLE_1) | instskip(SKIP_2) | instid1(VALU_DEP_1)
	v_dual_mov_b32 v3, 0 :: v_dual_bitop2_b32 v4, s28, v6 bitop3:0x54
	s_lshl_b32 s0, s1, 5
	s_mov_b32 s4, s18
	v_dual_mov_b32 v1, v3 :: v_dual_add_nc_u32 v12, s0, v11
	s_delay_alu instid0(VALU_DEP_2) | instskip(SKIP_1) | instid1(VALU_DEP_3)
	v_dual_ashrrev_i32 v5, 31, v4 :: v_dual_add_nc_u32 v14, s0, v7
	v_cmp_gt_i32_e64 s0, s20, v4
	v_add_nc_u32_e32 v20, 16, v12
	s_delay_alu instid0(VALU_DEP_4) | instskip(NEXT) | instid1(VALU_DEP_4)
	v_mul_u64_e32 v[18:19], s[22:23], v[0:1]
	v_mul_u64_e32 v[16:17], s[2:3], v[4:5]
	v_dual_lshlrev_b32 v5, 2, v6 :: v_dual_lshlrev_b32 v6, 2, v0
	v_dual_add_nc_u32 v4, s28, v2 :: v_dual_ashrrev_i32 v13, 31, v12
	v_dual_ashrrev_i32 v15, 31, v14 :: v_dual_ashrrev_i32 v21, 31, v20
	v_lshlrev_b32_e32 v28, 2, v2
	s_delay_alu instid0(VALU_DEP_4)
	v_lshl_or_b32 v1, v26, 7, v5
	v_lshl_or_b32 v5, v7, 5, v6
	v_mul_u64_e32 v[6:7], s[4:5], v[12:13]
	v_mul_u64_e32 v[8:9], s[4:5], v[20:21]
	s_cmp_neq_f32 s26, 0
	v_add_nc_u32_e32 v10, 16, v4
	v_cmp_le_i32_e32 vcc_lo, v12, v4
	v_cmp_gt_i32_e64 s2, s20, v4
	s_cselect_b32 s29, -1, 0
	s_cmp_gt_i32 s21, 0
	v_cmp_gt_i32_e64 s1, s20, v14
	s_cselect_b32 s30, -1, 0
	s_cmp_neq_f32 s19, 0
	v_add_nc_u32_e32 v27, 0x400, v5
	v_ashrrev_i32_e32 v5, 31, v4
	v_cmp_le_i32_e64 s3, v12, v10
	s_cselect_b32 s18, -1, 0
	s_lshl_b64 s[8:9], s[8:9], 2
	v_cmp_gt_i32_e64 s4, s20, v10
	s_and_b32 s20, vcc_lo, s2
	v_cmp_le_i32_e32 vcc_lo, v20, v4
	v_lshlrev_b32_e32 v2, 2, v26
	v_lshl_add_u32 v29, v11, 5, 0x400
	v_ashrrev_i32_e32 v11, 31, v10
	v_lshl_add_u64 v[12:13], v[16:17], 2, s[8:9]
	s_lshl_b64 s[8:9], s[12:13], 2
	s_and_b32 s28, s3, s4
	v_lshl_add_u64 v[16:17], v[18:19], 2, s[8:9]
	s_and_b32 s8, vcc_lo, s2
	v_cmp_le_i32_e32 vcc_lo, v20, v10
	v_add_nc_u64_e32 v[12:13], v[12:13], v[2:3]
	s_and_b32 s9, s29, s30
	v_lshl_add_u64 v[14:15], v[14:15], 2, v[16:17]
	s_lshl_b64 s[2:3], s[22:23], 5
	s_and_b32 s12, vcc_lo, s4
	s_lshl_b64 s[4:5], s[24:25], 2
	s_branch .LBB301_6
.LBB301_5:                              ;   in Loop: Header=BB301_6 Depth=1
	s_wait_xcnt 0x0
	s_or_b32 exec_lo, exec_lo, s13
	s_add_co_i32 s14, s14, 0x10000
	s_delay_alu instid0(SALU_CYCLE_1)
	s_cmp_lt_u32 s14, s27
	s_cbranch_scc0 .LBB301_33
.LBB301_6:                              ; =>This Loop Header: Depth=1
                                        ;     Child Loop BB301_9 Depth 2
	v_dual_mov_b32 v2, s14 :: v_dual_mov_b32 v25, 0
	v_dual_mov_b32 v24, 0 :: v_dual_mov_b32 v17, 0
	v_mov_b32_e32 v16, 0
	global_load_b64 v[18:19], v2, s[16:17] scale_offset
	s_and_not1_b32 vcc_lo, exec_lo, s9
	s_cbranch_vccnz .LBB301_13
; %bb.7:                                ;   in Loop: Header=BB301_6 Depth=1
	s_lshl_b64 s[22:23], s[14:15], 3
	v_mov_b32_e32 v16, 0
	s_add_nc_u64 s[24:25], s[6:7], s[22:23]
	s_add_nc_u64 s[22:23], s[10:11], s[22:23]
	s_clause 0x1
	global_load_b64 v[20:21], v3, s[24:25]
	global_load_b64 v[22:23], v3, s[22:23]
	s_mov_b32 s13, 0
	v_dual_mov_b32 v17, v16 :: v_dual_mov_b32 v24, v16
	v_mov_b32_e32 v25, v16
	s_wait_loadcnt 0x1
	v_add_nc_u64_e32 v[20:21], v[20:21], v[12:13]
	s_wait_loadcnt 0x0
	v_add_nc_u64_e32 v[22:23], v[22:23], v[14:15]
	s_branch .LBB301_9
.LBB301_8:                              ;   in Loop: Header=BB301_9 Depth=2
	s_wait_xcnt 0x0
	s_or_b32 exec_lo, exec_lo, s22
	s_wait_loadcnt_dscnt 0x0
	ds_store_b32 v27, v30
	s_wait_dscnt 0x0
	s_barrier_signal -1
	s_barrier_wait -1
	ds_load_b128 v[30:33], v29
	ds_load_2addr_b32 v[46:47], v28 offset1:16
	ds_load_b128 v[34:37], v29 offset:512
	ds_load_2addr_b32 v[48:49], v28 offset0:32 offset1:48
	ds_load_2addr_b32 v[50:51], v28 offset0:64 offset1:80
	;; [unrolled: 1-line block ×3, first 2 shown]
	ds_load_b128 v[38:41], v29 offset:16
	ds_load_2addr_b32 v[54:55], v28 offset0:128 offset1:144
	ds_load_b128 v[42:45], v29 offset:528
	v_add_nc_u64_e32 v[20:21], 32, v[20:21]
	v_add_nc_u64_e32 v[22:23], s[2:3], v[22:23]
	s_add_co_i32 s13, s13, 8
	s_delay_alu instid0(SALU_CYCLE_1)
	s_cmp_lt_i32 s13, s21
	s_wait_dscnt 0x8
	v_mov_b32_e32 v2, v33
	s_wait_dscnt 0x7
	v_pk_fma_f32 v[24:25], v[46:47], v[30:31], v[24:25] op_sel_hi:[1,0,1]
	s_wait_dscnt 0x6
	v_pk_fma_f32 v[16:17], v[46:47], v[34:35], v[16:17] op_sel_hi:[1,0,1]
	ds_load_2addr_b32 v[46:47], v28 offset0:160 offset1:176
	s_wait_dscnt 0x6
	v_pk_fma_f32 v[24:25], v[48:49], v[30:31], v[24:25] op_sel:[0,1,0]
	v_pk_fma_f32 v[16:17], v[48:49], v[34:35], v[16:17] op_sel:[0,1,0]
	ds_load_2addr_b32 v[30:31], v28 offset0:192 offset1:208
	v_mov_b32_e32 v34, v37
	s_wait_dscnt 0x6
	v_pk_fma_f32 v[24:25], v[50:51], v[32:33], v[24:25] op_sel_hi:[1,0,1]
	v_pk_fma_f32 v[16:17], v[50:51], v[36:37], v[16:17] op_sel_hi:[1,0,1]
	ds_load_2addr_b32 v[32:33], v28 offset0:224 offset1:240
	s_wait_dscnt 0x0
	s_barrier_signal -1
	v_pk_fma_f32 v[24:25], v[52:53], v[2:3], v[24:25] op_sel_hi:[1,0,1]
	v_pk_fma_f32 v[16:17], v[52:53], v[34:35], v[16:17] op_sel_hi:[1,0,1]
	v_dual_mov_b32 v2, v41 :: v_dual_mov_b32 v34, v45
	s_barrier_wait -1
	s_delay_alu instid0(VALU_DEP_3) | instskip(NEXT) | instid1(VALU_DEP_3)
	v_pk_fma_f32 v[24:25], v[54:55], v[38:39], v[24:25] op_sel_hi:[1,0,1]
	v_pk_fma_f32 v[16:17], v[54:55], v[42:43], v[16:17] op_sel_hi:[1,0,1]
	s_delay_alu instid0(VALU_DEP_2) | instskip(NEXT) | instid1(VALU_DEP_2)
	v_pk_fma_f32 v[24:25], v[46:47], v[38:39], v[24:25] op_sel:[0,1,0]
	v_pk_fma_f32 v[16:17], v[46:47], v[42:43], v[16:17] op_sel:[0,1,0]
	s_delay_alu instid0(VALU_DEP_2) | instskip(NEXT) | instid1(VALU_DEP_2)
	v_pk_fma_f32 v[24:25], v[30:31], v[40:41], v[24:25] op_sel_hi:[1,0,1]
	v_pk_fma_f32 v[16:17], v[30:31], v[44:45], v[16:17] op_sel_hi:[1,0,1]
	s_delay_alu instid0(VALU_DEP_2) | instskip(NEXT) | instid1(VALU_DEP_2)
	v_pk_fma_f32 v[24:25], v[32:33], v[2:3], v[24:25] op_sel_hi:[1,0,1]
	v_pk_fma_f32 v[16:17], v[32:33], v[34:35], v[16:17] op_sel_hi:[1,0,1]
	s_cbranch_scc0 .LBB301_13
.LBB301_9:                              ;   Parent Loop BB301_6 Depth=1
                                        ; =>  This Inner Loop Header: Depth=2
	s_wait_xcnt 0x2
	v_add_nc_u32_e32 v2, s13, v26
	s_delay_alu instid0(VALU_DEP_1) | instskip(SKIP_3) | instid1(SALU_CYCLE_1)
	v_cmp_gt_i32_e32 vcc_lo, s21, v2
	v_mov_b32_e32 v2, 0
	s_wait_xcnt 0x0
	s_and_b32 s23, s0, vcc_lo
	s_and_saveexec_b32 s22, s23
	s_cbranch_execz .LBB301_11
; %bb.10:                               ;   in Loop: Header=BB301_9 Depth=2
	flat_load_b32 v2, v[20:21]
.LBB301_11:                             ;   in Loop: Header=BB301_9 Depth=2
	s_wait_xcnt 0x0
	s_or_b32 exec_lo, exec_lo, s22
	v_add_nc_u32_e32 v30, s13, v0
	s_wait_loadcnt_dscnt 0x0
	ds_store_b32 v1, v2
	v_cmp_gt_i32_e32 vcc_lo, s21, v30
	v_mov_b32_e32 v30, 0
	s_and_b32 s23, vcc_lo, s1
	s_delay_alu instid0(SALU_CYCLE_1)
	s_and_saveexec_b32 s22, s23
	s_cbranch_execz .LBB301_8
; %bb.12:                               ;   in Loop: Header=BB301_9 Depth=2
	flat_load_b32 v30, v[22:23]
	s_branch .LBB301_8
.LBB301_13:                             ;   in Loop: Header=BB301_6 Depth=1
	s_wait_loadcnt 0x0
	v_add_nc_u64_e32 v[18:19], s[4:5], v[18:19]
	s_delay_alu instid0(VALU_DEP_1)
	v_lshl_add_u64 v[20:21], v[6:7], 2, v[18:19]
	s_wait_xcnt 0x0
	s_and_saveexec_b32 s13, s20
	s_cbranch_execz .LBB301_17
; %bb.14:                               ;   in Loop: Header=BB301_6 Depth=1
	v_mul_f32_e32 v2, s26, v24
	v_lshl_add_u64 v[22:23], v[4:5], 2, v[20:21]
	s_and_b32 vcc_lo, exec_lo, s18
	s_cbranch_vccz .LBB301_28
; %bb.15:                               ;   in Loop: Header=BB301_6 Depth=1
	flat_load_b32 v24, v[22:23]
	s_wait_loadcnt_dscnt 0x0
	v_fma_f32 v24, s19, v24, v2
	flat_store_b32 v[22:23], v24
	s_cbranch_execnz .LBB301_17
.LBB301_16:                             ;   in Loop: Header=BB301_6 Depth=1
	flat_store_b32 v[22:23], v2
.LBB301_17:                             ;   in Loop: Header=BB301_6 Depth=1
	s_wait_xcnt 0x0
	s_or_b32 exec_lo, exec_lo, s13
	s_and_saveexec_b32 s13, s28
	s_cbranch_execz .LBB301_21
; %bb.18:                               ;   in Loop: Header=BB301_6 Depth=1
	v_mul_f32_e32 v2, s26, v25
	v_lshl_add_u64 v[20:21], v[10:11], 2, v[20:21]
	s_and_not1_b32 vcc_lo, exec_lo, s18
	s_cbranch_vccnz .LBB301_29
; %bb.19:                               ;   in Loop: Header=BB301_6 Depth=1
	flat_load_b32 v22, v[20:21]
	s_wait_loadcnt_dscnt 0x0
	v_fma_f32 v22, s19, v22, v2
	flat_store_b32 v[20:21], v22
	s_cbranch_execnz .LBB301_21
.LBB301_20:                             ;   in Loop: Header=BB301_6 Depth=1
	flat_store_b32 v[20:21], v2
.LBB301_21:                             ;   in Loop: Header=BB301_6 Depth=1
	s_wait_xcnt 0x0
	s_or_b32 exec_lo, exec_lo, s13
	v_lshl_add_u64 v[18:19], v[8:9], 2, v[18:19]
	s_and_saveexec_b32 s13, s8
	s_cbranch_execz .LBB301_25
; %bb.22:                               ;   in Loop: Header=BB301_6 Depth=1
	v_mul_f32_e32 v2, s26, v16
	s_delay_alu instid0(VALU_DEP_2)
	v_lshl_add_u64 v[20:21], v[4:5], 2, v[18:19]
	s_and_not1_b32 vcc_lo, exec_lo, s18
	s_cbranch_vccnz .LBB301_30
; %bb.23:                               ;   in Loop: Header=BB301_6 Depth=1
	flat_load_b32 v16, v[20:21]
	s_wait_loadcnt_dscnt 0x0
	v_fma_f32 v16, s19, v16, v2
	flat_store_b32 v[20:21], v16
	s_cbranch_execnz .LBB301_25
.LBB301_24:                             ;   in Loop: Header=BB301_6 Depth=1
	flat_store_b32 v[20:21], v2
.LBB301_25:                             ;   in Loop: Header=BB301_6 Depth=1
	s_wait_xcnt 0x0
	s_or_b32 exec_lo, exec_lo, s13
	s_and_saveexec_b32 s13, s12
	s_cbranch_execz .LBB301_5
; %bb.26:                               ;   in Loop: Header=BB301_6 Depth=1
	v_mul_f32_e32 v2, s26, v17
	v_lshl_add_u64 v[16:17], v[10:11], 2, v[18:19]
	s_and_not1_b32 vcc_lo, exec_lo, s18
	s_cbranch_vccnz .LBB301_31
; %bb.27:                               ;   in Loop: Header=BB301_6 Depth=1
	flat_load_b32 v18, v[16:17]
	s_wait_loadcnt_dscnt 0x0
	v_fma_f32 v18, s19, v18, v2
	flat_store_b32 v[16:17], v18
	s_cbranch_execnz .LBB301_5
	s_branch .LBB301_32
.LBB301_28:                             ;   in Loop: Header=BB301_6 Depth=1
	s_branch .LBB301_16
.LBB301_29:                             ;   in Loop: Header=BB301_6 Depth=1
	s_branch .LBB301_20
.LBB301_30:                             ;   in Loop: Header=BB301_6 Depth=1
	s_branch .LBB301_24
.LBB301_31:                             ;   in Loop: Header=BB301_6 Depth=1
.LBB301_32:                             ;   in Loop: Header=BB301_6 Depth=1
	flat_store_b32 v[16:17], v2
	s_branch .LBB301_5
.LBB301_33:
	s_endpgm
	.section	.rodata,"a",@progbits
	.p2align	6, 0x0
	.amdhsa_kernel _ZL29rocblas_internal_gemmt_kernelIiLi16ELi32ELi8ELc84ELc84ELc76ELb0ELb0EfPKfPKS1_PKPfEviT_T9_T10_S7_lS9_S7_lS8_T11_S7_li
		.amdhsa_group_segment_fixed_size 2048
		.amdhsa_private_segment_fixed_size 0
		.amdhsa_kernarg_size 100
		.amdhsa_user_sgpr_count 2
		.amdhsa_user_sgpr_dispatch_ptr 0
		.amdhsa_user_sgpr_queue_ptr 0
		.amdhsa_user_sgpr_kernarg_segment_ptr 1
		.amdhsa_user_sgpr_dispatch_id 0
		.amdhsa_user_sgpr_kernarg_preload_length 0
		.amdhsa_user_sgpr_kernarg_preload_offset 0
		.amdhsa_user_sgpr_private_segment_size 0
		.amdhsa_wavefront_size32 1
		.amdhsa_uses_dynamic_stack 0
		.amdhsa_enable_private_segment 0
		.amdhsa_system_sgpr_workgroup_id_x 1
		.amdhsa_system_sgpr_workgroup_id_y 1
		.amdhsa_system_sgpr_workgroup_id_z 1
		.amdhsa_system_sgpr_workgroup_info 0
		.amdhsa_system_vgpr_workitem_id 1
		.amdhsa_next_free_vgpr 56
		.amdhsa_next_free_sgpr 31
		.amdhsa_named_barrier_count 0
		.amdhsa_reserve_vcc 1
		.amdhsa_float_round_mode_32 0
		.amdhsa_float_round_mode_16_64 0
		.amdhsa_float_denorm_mode_32 3
		.amdhsa_float_denorm_mode_16_64 3
		.amdhsa_fp16_overflow 0
		.amdhsa_memory_ordered 1
		.amdhsa_forward_progress 1
		.amdhsa_inst_pref_size 14
		.amdhsa_round_robin_scheduling 0
		.amdhsa_exception_fp_ieee_invalid_op 0
		.amdhsa_exception_fp_denorm_src 0
		.amdhsa_exception_fp_ieee_div_zero 0
		.amdhsa_exception_fp_ieee_overflow 0
		.amdhsa_exception_fp_ieee_underflow 0
		.amdhsa_exception_fp_ieee_inexact 0
		.amdhsa_exception_int_div_zero 0
	.end_amdhsa_kernel
	.section	.text._ZL29rocblas_internal_gemmt_kernelIiLi16ELi32ELi8ELc84ELc84ELc76ELb0ELb0EfPKfPKS1_PKPfEviT_T9_T10_S7_lS9_S7_lS8_T11_S7_li,"axG",@progbits,_ZL29rocblas_internal_gemmt_kernelIiLi16ELi32ELi8ELc84ELc84ELc76ELb0ELb0EfPKfPKS1_PKPfEviT_T9_T10_S7_lS9_S7_lS8_T11_S7_li,comdat
.Lfunc_end301:
	.size	_ZL29rocblas_internal_gemmt_kernelIiLi16ELi32ELi8ELc84ELc84ELc76ELb0ELb0EfPKfPKS1_PKPfEviT_T9_T10_S7_lS9_S7_lS8_T11_S7_li, .Lfunc_end301-_ZL29rocblas_internal_gemmt_kernelIiLi16ELi32ELi8ELc84ELc84ELc76ELb0ELb0EfPKfPKS1_PKPfEviT_T9_T10_S7_lS9_S7_lS8_T11_S7_li
                                        ; -- End function
	.set _ZL29rocblas_internal_gemmt_kernelIiLi16ELi32ELi8ELc84ELc84ELc76ELb0ELb0EfPKfPKS1_PKPfEviT_T9_T10_S7_lS9_S7_lS8_T11_S7_li.num_vgpr, 56
	.set _ZL29rocblas_internal_gemmt_kernelIiLi16ELi32ELi8ELc84ELc84ELc76ELb0ELb0EfPKfPKS1_PKPfEviT_T9_T10_S7_lS9_S7_lS8_T11_S7_li.num_agpr, 0
	.set _ZL29rocblas_internal_gemmt_kernelIiLi16ELi32ELi8ELc84ELc84ELc76ELb0ELb0EfPKfPKS1_PKPfEviT_T9_T10_S7_lS9_S7_lS8_T11_S7_li.numbered_sgpr, 31
	.set _ZL29rocblas_internal_gemmt_kernelIiLi16ELi32ELi8ELc84ELc84ELc76ELb0ELb0EfPKfPKS1_PKPfEviT_T9_T10_S7_lS9_S7_lS8_T11_S7_li.num_named_barrier, 0
	.set _ZL29rocblas_internal_gemmt_kernelIiLi16ELi32ELi8ELc84ELc84ELc76ELb0ELb0EfPKfPKS1_PKPfEviT_T9_T10_S7_lS9_S7_lS8_T11_S7_li.private_seg_size, 0
	.set _ZL29rocblas_internal_gemmt_kernelIiLi16ELi32ELi8ELc84ELc84ELc76ELb0ELb0EfPKfPKS1_PKPfEviT_T9_T10_S7_lS9_S7_lS8_T11_S7_li.uses_vcc, 1
	.set _ZL29rocblas_internal_gemmt_kernelIiLi16ELi32ELi8ELc84ELc84ELc76ELb0ELb0EfPKfPKS1_PKPfEviT_T9_T10_S7_lS9_S7_lS8_T11_S7_li.uses_flat_scratch, 0
	.set _ZL29rocblas_internal_gemmt_kernelIiLi16ELi32ELi8ELc84ELc84ELc76ELb0ELb0EfPKfPKS1_PKPfEviT_T9_T10_S7_lS9_S7_lS8_T11_S7_li.has_dyn_sized_stack, 0
	.set _ZL29rocblas_internal_gemmt_kernelIiLi16ELi32ELi8ELc84ELc84ELc76ELb0ELb0EfPKfPKS1_PKPfEviT_T9_T10_S7_lS9_S7_lS8_T11_S7_li.has_recursion, 0
	.set _ZL29rocblas_internal_gemmt_kernelIiLi16ELi32ELi8ELc84ELc84ELc76ELb0ELb0EfPKfPKS1_PKPfEviT_T9_T10_S7_lS9_S7_lS8_T11_S7_li.has_indirect_call, 0
	.section	.AMDGPU.csdata,"",@progbits
; Kernel info:
; codeLenInByte = 1688
; TotalNumSgprs: 33
; NumVgprs: 56
; ScratchSize: 0
; MemoryBound: 0
; FloatMode: 240
; IeeeMode: 1
; LDSByteSize: 2048 bytes/workgroup (compile time only)
; SGPRBlocks: 0
; VGPRBlocks: 3
; NumSGPRsForWavesPerEU: 33
; NumVGPRsForWavesPerEU: 56
; NamedBarCnt: 0
; Occupancy: 16
; WaveLimiterHint : 1
; COMPUTE_PGM_RSRC2:SCRATCH_EN: 0
; COMPUTE_PGM_RSRC2:USER_SGPR: 2
; COMPUTE_PGM_RSRC2:TRAP_HANDLER: 0
; COMPUTE_PGM_RSRC2:TGID_X_EN: 1
; COMPUTE_PGM_RSRC2:TGID_Y_EN: 1
; COMPUTE_PGM_RSRC2:TGID_Z_EN: 1
; COMPUTE_PGM_RSRC2:TIDIG_COMP_CNT: 1
	.section	.text._ZL29rocblas_internal_gemmt_kernelIiLi16ELi32ELi8ELc84ELc67ELc76ELb0ELb0EfPKfPKS1_PKPfEviT_T9_T10_S7_lS9_S7_lS8_T11_S7_li,"axG",@progbits,_ZL29rocblas_internal_gemmt_kernelIiLi16ELi32ELi8ELc84ELc67ELc76ELb0ELb0EfPKfPKS1_PKPfEviT_T9_T10_S7_lS9_S7_lS8_T11_S7_li,comdat
	.globl	_ZL29rocblas_internal_gemmt_kernelIiLi16ELi32ELi8ELc84ELc67ELc76ELb0ELb0EfPKfPKS1_PKPfEviT_T9_T10_S7_lS9_S7_lS8_T11_S7_li ; -- Begin function _ZL29rocblas_internal_gemmt_kernelIiLi16ELi32ELi8ELc84ELc67ELc76ELb0ELb0EfPKfPKS1_PKPfEviT_T9_T10_S7_lS9_S7_lS8_T11_S7_li
	.p2align	8
	.type	_ZL29rocblas_internal_gemmt_kernelIiLi16ELi32ELi8ELc84ELc67ELc76ELb0ELb0EfPKfPKS1_PKPfEviT_T9_T10_S7_lS9_S7_lS8_T11_S7_li,@function
_ZL29rocblas_internal_gemmt_kernelIiLi16ELi32ELi8ELc84ELc67ELc76ELb0ELb0EfPKfPKS1_PKPfEviT_T9_T10_S7_lS9_S7_lS8_T11_S7_li: ; @_ZL29rocblas_internal_gemmt_kernelIiLi16ELi32ELi8ELc84ELc67ELc76ELb0ELb0EfPKfPKS1_PKPfEviT_T9_T10_S7_lS9_S7_lS8_T11_S7_li
; %bb.0:
	s_clause 0x1
	s_load_b128 s[12:15], s[0:1], 0x38
	s_load_b128 s[4:7], s[0:1], 0x8
	s_wait_kmcnt 0x0
	s_load_b32 s19, s[14:15], 0x0
	s_load_b64 s[20:21], s[0:1], 0x0
	s_load_b32 s26, s[4:5], 0x0
	s_wait_kmcnt 0x0
	s_cmp_neq_f32 s19, 1.0
	s_cselect_b32 s2, -1, 0
	s_delay_alu instid0(SALU_CYCLE_1)
	s_and_b32 vcc_lo, exec_lo, s2
	s_cbranch_vccnz .LBB302_2
; %bb.1:
	s_cmp_lg_u32 s21, 0
	s_cselect_b32 s2, -1, 0
	s_cmp_neq_f32 s26, 0
	s_cselect_b32 s3, -1, 0
	s_delay_alu instid0(SALU_CYCLE_1)
	s_and_b32 s2, s2, s3
.LBB302_2:
	s_delay_alu instid0(SALU_CYCLE_1)
	s_and_not1_b32 vcc_lo, exec_lo, s2
	s_cbranch_vccnz .LBB302_33
; %bb.3:
	s_load_b32 s27, s[0:1], 0x60
	s_bfe_u32 s2, ttmp6, 0x40014
	s_lshr_b32 s3, ttmp7, 16
	s_add_co_i32 s2, s2, 1
	s_bfe_u32 s5, ttmp6, 0x40008
	s_mul_i32 s2, s3, s2
	s_getreg_b32 s4, hwreg(HW_REG_IB_STS2, 6, 4)
	s_add_co_i32 s5, s5, s2
	s_cmp_eq_u32 s4, 0
	s_mov_b32 s15, 0
	s_cselect_b32 s14, s3, s5
	s_wait_kmcnt 0x0
	s_cmp_ge_u32 s14, s27
	s_cbranch_scc1 .LBB302_33
; %bb.4:
	s_clause 0x3
	s_load_b32 s2, s[0:1], 0x18
	s_load_b32 s22, s[0:1], 0x30
	s_load_b96 s[16:18], s[0:1], 0x48
	s_load_b128 s[8:11], s[0:1], 0x20
	v_and_b32_e32 v2, 0x3ff, v0
	v_bfe_u32 v11, v0, 10, 10
	s_load_b64 s[24:25], s[0:1], 0x58
	s_wait_xcnt 0x0
	s_bfe_u32 s1, ttmp6, 0x4000c
	s_bfe_u32 s3, ttmp6, 0x40010
	s_and_b32 s28, ttmp7, 0xffff
	s_add_co_i32 s1, s1, 1
	s_add_co_i32 s3, s3, 1
	v_lshl_add_u32 v1, v11, 4, v2
	s_and_b32 s0, ttmp6, 15
	s_mul_i32 s1, ttmp9, s1
	s_mul_i32 s29, s28, s3
	s_bfe_u32 s30, ttmp6, 0x40004
	s_add_co_i32 s0, s0, s1
	s_add_co_i32 s30, s30, s29
	v_dual_lshrrev_b32 v7, 3, v1 :: v_dual_bitop2_b32 v6, 31, v1 bitop3:0x40
	s_wait_kmcnt 0x0
	s_ashr_i32 s3, s2, 31
	s_ashr_i32 s23, s22, 31
	;; [unrolled: 1-line block ×3, first 2 shown]
	s_cmp_eq_u32 s4, 0
	v_dual_lshrrev_b32 v26, 5, v1 :: v_dual_bitop2_b32 v0, 7, v0 bitop3:0x40
	s_cselect_b32 s0, ttmp9, s0
	s_cselect_b32 s1, s28, s30
	s_lshl_b32 s28, s0, 5
	s_delay_alu instid0(SALU_CYCLE_1) | instskip(SKIP_2) | instid1(VALU_DEP_1)
	v_dual_mov_b32 v3, 0 :: v_dual_bitop2_b32 v4, s28, v6 bitop3:0x54
	s_lshl_b32 s0, s1, 5
	s_mov_b32 s4, s18
	v_dual_mov_b32 v1, v3 :: v_dual_add_nc_u32 v12, s0, v11
	s_delay_alu instid0(VALU_DEP_2) | instskip(SKIP_1) | instid1(VALU_DEP_3)
	v_dual_ashrrev_i32 v5, 31, v4 :: v_dual_add_nc_u32 v14, s0, v7
	v_cmp_gt_i32_e64 s0, s20, v4
	v_add_nc_u32_e32 v20, 16, v12
	s_delay_alu instid0(VALU_DEP_4) | instskip(NEXT) | instid1(VALU_DEP_4)
	v_mul_u64_e32 v[18:19], s[22:23], v[0:1]
	v_mul_u64_e32 v[16:17], s[2:3], v[4:5]
	v_dual_lshlrev_b32 v5, 2, v6 :: v_dual_lshlrev_b32 v6, 2, v0
	v_dual_add_nc_u32 v4, s28, v2 :: v_dual_ashrrev_i32 v13, 31, v12
	v_dual_ashrrev_i32 v15, 31, v14 :: v_dual_ashrrev_i32 v21, 31, v20
	v_lshlrev_b32_e32 v28, 2, v2
	s_delay_alu instid0(VALU_DEP_4)
	v_lshl_or_b32 v1, v26, 7, v5
	v_lshl_or_b32 v5, v7, 5, v6
	v_mul_u64_e32 v[6:7], s[4:5], v[12:13]
	v_mul_u64_e32 v[8:9], s[4:5], v[20:21]
	s_cmp_neq_f32 s26, 0
	v_add_nc_u32_e32 v10, 16, v4
	v_cmp_le_i32_e32 vcc_lo, v12, v4
	v_cmp_gt_i32_e64 s2, s20, v4
	s_cselect_b32 s29, -1, 0
	s_cmp_gt_i32 s21, 0
	v_cmp_gt_i32_e64 s1, s20, v14
	s_cselect_b32 s30, -1, 0
	s_cmp_neq_f32 s19, 0
	v_add_nc_u32_e32 v27, 0x400, v5
	v_ashrrev_i32_e32 v5, 31, v4
	v_cmp_le_i32_e64 s3, v12, v10
	s_cselect_b32 s18, -1, 0
	s_lshl_b64 s[8:9], s[8:9], 2
	v_cmp_gt_i32_e64 s4, s20, v10
	s_and_b32 s20, vcc_lo, s2
	v_cmp_le_i32_e32 vcc_lo, v20, v4
	v_lshlrev_b32_e32 v2, 2, v26
	v_lshl_add_u32 v29, v11, 5, 0x400
	v_ashrrev_i32_e32 v11, 31, v10
	v_lshl_add_u64 v[12:13], v[16:17], 2, s[8:9]
	s_lshl_b64 s[8:9], s[12:13], 2
	s_and_b32 s28, s3, s4
	v_lshl_add_u64 v[16:17], v[18:19], 2, s[8:9]
	s_and_b32 s8, vcc_lo, s2
	v_cmp_le_i32_e32 vcc_lo, v20, v10
	v_add_nc_u64_e32 v[12:13], v[12:13], v[2:3]
	s_and_b32 s9, s29, s30
	v_lshl_add_u64 v[14:15], v[14:15], 2, v[16:17]
	s_lshl_b64 s[2:3], s[22:23], 5
	s_and_b32 s12, vcc_lo, s4
	s_lshl_b64 s[4:5], s[24:25], 2
	s_branch .LBB302_6
.LBB302_5:                              ;   in Loop: Header=BB302_6 Depth=1
	s_wait_xcnt 0x0
	s_or_b32 exec_lo, exec_lo, s13
	s_add_co_i32 s14, s14, 0x10000
	s_delay_alu instid0(SALU_CYCLE_1)
	s_cmp_lt_u32 s14, s27
	s_cbranch_scc0 .LBB302_33
.LBB302_6:                              ; =>This Loop Header: Depth=1
                                        ;     Child Loop BB302_9 Depth 2
	v_dual_mov_b32 v2, s14 :: v_dual_mov_b32 v25, 0
	v_dual_mov_b32 v24, 0 :: v_dual_mov_b32 v17, 0
	v_mov_b32_e32 v16, 0
	global_load_b64 v[18:19], v2, s[16:17] scale_offset
	s_and_not1_b32 vcc_lo, exec_lo, s9
	s_cbranch_vccnz .LBB302_13
; %bb.7:                                ;   in Loop: Header=BB302_6 Depth=1
	s_lshl_b64 s[22:23], s[14:15], 3
	v_mov_b32_e32 v16, 0
	s_add_nc_u64 s[24:25], s[6:7], s[22:23]
	s_add_nc_u64 s[22:23], s[10:11], s[22:23]
	s_clause 0x1
	global_load_b64 v[20:21], v3, s[24:25]
	global_load_b64 v[22:23], v3, s[22:23]
	s_mov_b32 s13, 0
	v_dual_mov_b32 v17, v16 :: v_dual_mov_b32 v24, v16
	v_mov_b32_e32 v25, v16
	s_wait_loadcnt 0x1
	v_add_nc_u64_e32 v[20:21], v[20:21], v[12:13]
	s_wait_loadcnt 0x0
	v_add_nc_u64_e32 v[22:23], v[22:23], v[14:15]
	s_branch .LBB302_9
.LBB302_8:                              ;   in Loop: Header=BB302_9 Depth=2
	s_wait_xcnt 0x0
	s_or_b32 exec_lo, exec_lo, s22
	s_wait_loadcnt_dscnt 0x0
	ds_store_b32 v27, v30
	s_wait_dscnt 0x0
	s_barrier_signal -1
	s_barrier_wait -1
	ds_load_b128 v[30:33], v29
	ds_load_2addr_b32 v[46:47], v28 offset1:16
	ds_load_b128 v[34:37], v29 offset:512
	ds_load_2addr_b32 v[48:49], v28 offset0:32 offset1:48
	ds_load_2addr_b32 v[50:51], v28 offset0:64 offset1:80
	;; [unrolled: 1-line block ×3, first 2 shown]
	ds_load_b128 v[38:41], v29 offset:16
	ds_load_2addr_b32 v[54:55], v28 offset0:128 offset1:144
	ds_load_b128 v[42:45], v29 offset:528
	v_add_nc_u64_e32 v[20:21], 32, v[20:21]
	v_add_nc_u64_e32 v[22:23], s[2:3], v[22:23]
	s_add_co_i32 s13, s13, 8
	s_delay_alu instid0(SALU_CYCLE_1)
	s_cmp_lt_i32 s13, s21
	s_wait_dscnt 0x8
	v_mov_b32_e32 v2, v33
	s_wait_dscnt 0x7
	v_pk_fma_f32 v[24:25], v[46:47], v[30:31], v[24:25] op_sel_hi:[1,0,1]
	s_wait_dscnt 0x6
	v_pk_fma_f32 v[16:17], v[46:47], v[34:35], v[16:17] op_sel_hi:[1,0,1]
	ds_load_2addr_b32 v[46:47], v28 offset0:160 offset1:176
	s_wait_dscnt 0x6
	v_pk_fma_f32 v[24:25], v[48:49], v[30:31], v[24:25] op_sel:[0,1,0]
	v_pk_fma_f32 v[16:17], v[48:49], v[34:35], v[16:17] op_sel:[0,1,0]
	ds_load_2addr_b32 v[30:31], v28 offset0:192 offset1:208
	v_mov_b32_e32 v34, v37
	s_wait_dscnt 0x6
	v_pk_fma_f32 v[24:25], v[50:51], v[32:33], v[24:25] op_sel_hi:[1,0,1]
	v_pk_fma_f32 v[16:17], v[50:51], v[36:37], v[16:17] op_sel_hi:[1,0,1]
	ds_load_2addr_b32 v[32:33], v28 offset0:224 offset1:240
	s_wait_dscnt 0x0
	s_barrier_signal -1
	v_pk_fma_f32 v[24:25], v[52:53], v[2:3], v[24:25] op_sel_hi:[1,0,1]
	v_pk_fma_f32 v[16:17], v[52:53], v[34:35], v[16:17] op_sel_hi:[1,0,1]
	v_dual_mov_b32 v2, v41 :: v_dual_mov_b32 v34, v45
	s_barrier_wait -1
	s_delay_alu instid0(VALU_DEP_3) | instskip(NEXT) | instid1(VALU_DEP_3)
	v_pk_fma_f32 v[24:25], v[54:55], v[38:39], v[24:25] op_sel_hi:[1,0,1]
	v_pk_fma_f32 v[16:17], v[54:55], v[42:43], v[16:17] op_sel_hi:[1,0,1]
	s_delay_alu instid0(VALU_DEP_2) | instskip(NEXT) | instid1(VALU_DEP_2)
	v_pk_fma_f32 v[24:25], v[46:47], v[38:39], v[24:25] op_sel:[0,1,0]
	v_pk_fma_f32 v[16:17], v[46:47], v[42:43], v[16:17] op_sel:[0,1,0]
	s_delay_alu instid0(VALU_DEP_2) | instskip(NEXT) | instid1(VALU_DEP_2)
	v_pk_fma_f32 v[24:25], v[30:31], v[40:41], v[24:25] op_sel_hi:[1,0,1]
	v_pk_fma_f32 v[16:17], v[30:31], v[44:45], v[16:17] op_sel_hi:[1,0,1]
	s_delay_alu instid0(VALU_DEP_2) | instskip(NEXT) | instid1(VALU_DEP_2)
	v_pk_fma_f32 v[24:25], v[32:33], v[2:3], v[24:25] op_sel_hi:[1,0,1]
	v_pk_fma_f32 v[16:17], v[32:33], v[34:35], v[16:17] op_sel_hi:[1,0,1]
	s_cbranch_scc0 .LBB302_13
.LBB302_9:                              ;   Parent Loop BB302_6 Depth=1
                                        ; =>  This Inner Loop Header: Depth=2
	s_wait_xcnt 0x2
	v_add_nc_u32_e32 v2, s13, v26
	s_delay_alu instid0(VALU_DEP_1) | instskip(SKIP_3) | instid1(SALU_CYCLE_1)
	v_cmp_gt_i32_e32 vcc_lo, s21, v2
	v_mov_b32_e32 v2, 0
	s_wait_xcnt 0x0
	s_and_b32 s23, s0, vcc_lo
	s_and_saveexec_b32 s22, s23
	s_cbranch_execz .LBB302_11
; %bb.10:                               ;   in Loop: Header=BB302_9 Depth=2
	flat_load_b32 v2, v[20:21]
.LBB302_11:                             ;   in Loop: Header=BB302_9 Depth=2
	s_wait_xcnt 0x0
	s_or_b32 exec_lo, exec_lo, s22
	v_add_nc_u32_e32 v30, s13, v0
	s_wait_loadcnt_dscnt 0x0
	ds_store_b32 v1, v2
	v_cmp_gt_i32_e32 vcc_lo, s21, v30
	v_mov_b32_e32 v30, 0
	s_and_b32 s23, vcc_lo, s1
	s_delay_alu instid0(SALU_CYCLE_1)
	s_and_saveexec_b32 s22, s23
	s_cbranch_execz .LBB302_8
; %bb.12:                               ;   in Loop: Header=BB302_9 Depth=2
	flat_load_b32 v30, v[22:23]
	s_branch .LBB302_8
.LBB302_13:                             ;   in Loop: Header=BB302_6 Depth=1
	s_wait_loadcnt 0x0
	v_add_nc_u64_e32 v[18:19], s[4:5], v[18:19]
	s_delay_alu instid0(VALU_DEP_1)
	v_lshl_add_u64 v[20:21], v[6:7], 2, v[18:19]
	s_wait_xcnt 0x0
	s_and_saveexec_b32 s13, s20
	s_cbranch_execz .LBB302_17
; %bb.14:                               ;   in Loop: Header=BB302_6 Depth=1
	v_mul_f32_e32 v2, s26, v24
	v_lshl_add_u64 v[22:23], v[4:5], 2, v[20:21]
	s_and_b32 vcc_lo, exec_lo, s18
	s_cbranch_vccz .LBB302_28
; %bb.15:                               ;   in Loop: Header=BB302_6 Depth=1
	flat_load_b32 v24, v[22:23]
	s_wait_loadcnt_dscnt 0x0
	v_fma_f32 v24, s19, v24, v2
	flat_store_b32 v[22:23], v24
	s_cbranch_execnz .LBB302_17
.LBB302_16:                             ;   in Loop: Header=BB302_6 Depth=1
	flat_store_b32 v[22:23], v2
.LBB302_17:                             ;   in Loop: Header=BB302_6 Depth=1
	s_wait_xcnt 0x0
	s_or_b32 exec_lo, exec_lo, s13
	s_and_saveexec_b32 s13, s28
	s_cbranch_execz .LBB302_21
; %bb.18:                               ;   in Loop: Header=BB302_6 Depth=1
	v_mul_f32_e32 v2, s26, v25
	v_lshl_add_u64 v[20:21], v[10:11], 2, v[20:21]
	s_and_not1_b32 vcc_lo, exec_lo, s18
	s_cbranch_vccnz .LBB302_29
; %bb.19:                               ;   in Loop: Header=BB302_6 Depth=1
	flat_load_b32 v22, v[20:21]
	s_wait_loadcnt_dscnt 0x0
	v_fma_f32 v22, s19, v22, v2
	flat_store_b32 v[20:21], v22
	s_cbranch_execnz .LBB302_21
.LBB302_20:                             ;   in Loop: Header=BB302_6 Depth=1
	flat_store_b32 v[20:21], v2
.LBB302_21:                             ;   in Loop: Header=BB302_6 Depth=1
	s_wait_xcnt 0x0
	s_or_b32 exec_lo, exec_lo, s13
	v_lshl_add_u64 v[18:19], v[8:9], 2, v[18:19]
	s_and_saveexec_b32 s13, s8
	s_cbranch_execz .LBB302_25
; %bb.22:                               ;   in Loop: Header=BB302_6 Depth=1
	v_mul_f32_e32 v2, s26, v16
	s_delay_alu instid0(VALU_DEP_2)
	v_lshl_add_u64 v[20:21], v[4:5], 2, v[18:19]
	s_and_not1_b32 vcc_lo, exec_lo, s18
	s_cbranch_vccnz .LBB302_30
; %bb.23:                               ;   in Loop: Header=BB302_6 Depth=1
	flat_load_b32 v16, v[20:21]
	s_wait_loadcnt_dscnt 0x0
	v_fma_f32 v16, s19, v16, v2
	flat_store_b32 v[20:21], v16
	s_cbranch_execnz .LBB302_25
.LBB302_24:                             ;   in Loop: Header=BB302_6 Depth=1
	flat_store_b32 v[20:21], v2
.LBB302_25:                             ;   in Loop: Header=BB302_6 Depth=1
	s_wait_xcnt 0x0
	s_or_b32 exec_lo, exec_lo, s13
	s_and_saveexec_b32 s13, s12
	s_cbranch_execz .LBB302_5
; %bb.26:                               ;   in Loop: Header=BB302_6 Depth=1
	v_mul_f32_e32 v2, s26, v17
	v_lshl_add_u64 v[16:17], v[10:11], 2, v[18:19]
	s_and_not1_b32 vcc_lo, exec_lo, s18
	s_cbranch_vccnz .LBB302_31
; %bb.27:                               ;   in Loop: Header=BB302_6 Depth=1
	flat_load_b32 v18, v[16:17]
	s_wait_loadcnt_dscnt 0x0
	v_fma_f32 v18, s19, v18, v2
	flat_store_b32 v[16:17], v18
	s_cbranch_execnz .LBB302_5
	s_branch .LBB302_32
.LBB302_28:                             ;   in Loop: Header=BB302_6 Depth=1
	s_branch .LBB302_16
.LBB302_29:                             ;   in Loop: Header=BB302_6 Depth=1
	s_branch .LBB302_20
.LBB302_30:                             ;   in Loop: Header=BB302_6 Depth=1
	s_branch .LBB302_24
.LBB302_31:                             ;   in Loop: Header=BB302_6 Depth=1
.LBB302_32:                             ;   in Loop: Header=BB302_6 Depth=1
	flat_store_b32 v[16:17], v2
	s_branch .LBB302_5
.LBB302_33:
	s_endpgm
	.section	.rodata,"a",@progbits
	.p2align	6, 0x0
	.amdhsa_kernel _ZL29rocblas_internal_gemmt_kernelIiLi16ELi32ELi8ELc84ELc67ELc76ELb0ELb0EfPKfPKS1_PKPfEviT_T9_T10_S7_lS9_S7_lS8_T11_S7_li
		.amdhsa_group_segment_fixed_size 2048
		.amdhsa_private_segment_fixed_size 0
		.amdhsa_kernarg_size 100
		.amdhsa_user_sgpr_count 2
		.amdhsa_user_sgpr_dispatch_ptr 0
		.amdhsa_user_sgpr_queue_ptr 0
		.amdhsa_user_sgpr_kernarg_segment_ptr 1
		.amdhsa_user_sgpr_dispatch_id 0
		.amdhsa_user_sgpr_kernarg_preload_length 0
		.amdhsa_user_sgpr_kernarg_preload_offset 0
		.amdhsa_user_sgpr_private_segment_size 0
		.amdhsa_wavefront_size32 1
		.amdhsa_uses_dynamic_stack 0
		.amdhsa_enable_private_segment 0
		.amdhsa_system_sgpr_workgroup_id_x 1
		.amdhsa_system_sgpr_workgroup_id_y 1
		.amdhsa_system_sgpr_workgroup_id_z 1
		.amdhsa_system_sgpr_workgroup_info 0
		.amdhsa_system_vgpr_workitem_id 1
		.amdhsa_next_free_vgpr 56
		.amdhsa_next_free_sgpr 31
		.amdhsa_named_barrier_count 0
		.amdhsa_reserve_vcc 1
		.amdhsa_float_round_mode_32 0
		.amdhsa_float_round_mode_16_64 0
		.amdhsa_float_denorm_mode_32 3
		.amdhsa_float_denorm_mode_16_64 3
		.amdhsa_fp16_overflow 0
		.amdhsa_memory_ordered 1
		.amdhsa_forward_progress 1
		.amdhsa_inst_pref_size 14
		.amdhsa_round_robin_scheduling 0
		.amdhsa_exception_fp_ieee_invalid_op 0
		.amdhsa_exception_fp_denorm_src 0
		.amdhsa_exception_fp_ieee_div_zero 0
		.amdhsa_exception_fp_ieee_overflow 0
		.amdhsa_exception_fp_ieee_underflow 0
		.amdhsa_exception_fp_ieee_inexact 0
		.amdhsa_exception_int_div_zero 0
	.end_amdhsa_kernel
	.section	.text._ZL29rocblas_internal_gemmt_kernelIiLi16ELi32ELi8ELc84ELc67ELc76ELb0ELb0EfPKfPKS1_PKPfEviT_T9_T10_S7_lS9_S7_lS8_T11_S7_li,"axG",@progbits,_ZL29rocblas_internal_gemmt_kernelIiLi16ELi32ELi8ELc84ELc67ELc76ELb0ELb0EfPKfPKS1_PKPfEviT_T9_T10_S7_lS9_S7_lS8_T11_S7_li,comdat
.Lfunc_end302:
	.size	_ZL29rocblas_internal_gemmt_kernelIiLi16ELi32ELi8ELc84ELc67ELc76ELb0ELb0EfPKfPKS1_PKPfEviT_T9_T10_S7_lS9_S7_lS8_T11_S7_li, .Lfunc_end302-_ZL29rocblas_internal_gemmt_kernelIiLi16ELi32ELi8ELc84ELc67ELc76ELb0ELb0EfPKfPKS1_PKPfEviT_T9_T10_S7_lS9_S7_lS8_T11_S7_li
                                        ; -- End function
	.set _ZL29rocblas_internal_gemmt_kernelIiLi16ELi32ELi8ELc84ELc67ELc76ELb0ELb0EfPKfPKS1_PKPfEviT_T9_T10_S7_lS9_S7_lS8_T11_S7_li.num_vgpr, 56
	.set _ZL29rocblas_internal_gemmt_kernelIiLi16ELi32ELi8ELc84ELc67ELc76ELb0ELb0EfPKfPKS1_PKPfEviT_T9_T10_S7_lS9_S7_lS8_T11_S7_li.num_agpr, 0
	.set _ZL29rocblas_internal_gemmt_kernelIiLi16ELi32ELi8ELc84ELc67ELc76ELb0ELb0EfPKfPKS1_PKPfEviT_T9_T10_S7_lS9_S7_lS8_T11_S7_li.numbered_sgpr, 31
	.set _ZL29rocblas_internal_gemmt_kernelIiLi16ELi32ELi8ELc84ELc67ELc76ELb0ELb0EfPKfPKS1_PKPfEviT_T9_T10_S7_lS9_S7_lS8_T11_S7_li.num_named_barrier, 0
	.set _ZL29rocblas_internal_gemmt_kernelIiLi16ELi32ELi8ELc84ELc67ELc76ELb0ELb0EfPKfPKS1_PKPfEviT_T9_T10_S7_lS9_S7_lS8_T11_S7_li.private_seg_size, 0
	.set _ZL29rocblas_internal_gemmt_kernelIiLi16ELi32ELi8ELc84ELc67ELc76ELb0ELb0EfPKfPKS1_PKPfEviT_T9_T10_S7_lS9_S7_lS8_T11_S7_li.uses_vcc, 1
	.set _ZL29rocblas_internal_gemmt_kernelIiLi16ELi32ELi8ELc84ELc67ELc76ELb0ELb0EfPKfPKS1_PKPfEviT_T9_T10_S7_lS9_S7_lS8_T11_S7_li.uses_flat_scratch, 0
	.set _ZL29rocblas_internal_gemmt_kernelIiLi16ELi32ELi8ELc84ELc67ELc76ELb0ELb0EfPKfPKS1_PKPfEviT_T9_T10_S7_lS9_S7_lS8_T11_S7_li.has_dyn_sized_stack, 0
	.set _ZL29rocblas_internal_gemmt_kernelIiLi16ELi32ELi8ELc84ELc67ELc76ELb0ELb0EfPKfPKS1_PKPfEviT_T9_T10_S7_lS9_S7_lS8_T11_S7_li.has_recursion, 0
	.set _ZL29rocblas_internal_gemmt_kernelIiLi16ELi32ELi8ELc84ELc67ELc76ELb0ELb0EfPKfPKS1_PKPfEviT_T9_T10_S7_lS9_S7_lS8_T11_S7_li.has_indirect_call, 0
	.section	.AMDGPU.csdata,"",@progbits
; Kernel info:
; codeLenInByte = 1688
; TotalNumSgprs: 33
; NumVgprs: 56
; ScratchSize: 0
; MemoryBound: 0
; FloatMode: 240
; IeeeMode: 1
; LDSByteSize: 2048 bytes/workgroup (compile time only)
; SGPRBlocks: 0
; VGPRBlocks: 3
; NumSGPRsForWavesPerEU: 33
; NumVGPRsForWavesPerEU: 56
; NamedBarCnt: 0
; Occupancy: 16
; WaveLimiterHint : 1
; COMPUTE_PGM_RSRC2:SCRATCH_EN: 0
; COMPUTE_PGM_RSRC2:USER_SGPR: 2
; COMPUTE_PGM_RSRC2:TRAP_HANDLER: 0
; COMPUTE_PGM_RSRC2:TGID_X_EN: 1
; COMPUTE_PGM_RSRC2:TGID_Y_EN: 1
; COMPUTE_PGM_RSRC2:TGID_Z_EN: 1
; COMPUTE_PGM_RSRC2:TIDIG_COMP_CNT: 1
	.section	.text._ZL29rocblas_internal_gemmt_kernelIiLi16ELi32ELi8ELc67ELc78ELc76ELb0ELb0EfPKfPKS1_PKPfEviT_T9_T10_S7_lS9_S7_lS8_T11_S7_li,"axG",@progbits,_ZL29rocblas_internal_gemmt_kernelIiLi16ELi32ELi8ELc67ELc78ELc76ELb0ELb0EfPKfPKS1_PKPfEviT_T9_T10_S7_lS9_S7_lS8_T11_S7_li,comdat
	.globl	_ZL29rocblas_internal_gemmt_kernelIiLi16ELi32ELi8ELc67ELc78ELc76ELb0ELb0EfPKfPKS1_PKPfEviT_T9_T10_S7_lS9_S7_lS8_T11_S7_li ; -- Begin function _ZL29rocblas_internal_gemmt_kernelIiLi16ELi32ELi8ELc67ELc78ELc76ELb0ELb0EfPKfPKS1_PKPfEviT_T9_T10_S7_lS9_S7_lS8_T11_S7_li
	.p2align	8
	.type	_ZL29rocblas_internal_gemmt_kernelIiLi16ELi32ELi8ELc67ELc78ELc76ELb0ELb0EfPKfPKS1_PKPfEviT_T9_T10_S7_lS9_S7_lS8_T11_S7_li,@function
_ZL29rocblas_internal_gemmt_kernelIiLi16ELi32ELi8ELc67ELc78ELc76ELb0ELb0EfPKfPKS1_PKPfEviT_T9_T10_S7_lS9_S7_lS8_T11_S7_li: ; @_ZL29rocblas_internal_gemmt_kernelIiLi16ELi32ELi8ELc67ELc78ELc76ELb0ELb0EfPKfPKS1_PKPfEviT_T9_T10_S7_lS9_S7_lS8_T11_S7_li
; %bb.0:
	s_clause 0x1
	s_load_b128 s[12:15], s[0:1], 0x38
	s_load_b128 s[4:7], s[0:1], 0x8
	s_wait_kmcnt 0x0
	s_load_b32 s19, s[14:15], 0x0
	s_load_b64 s[20:21], s[0:1], 0x0
	s_load_b32 s24, s[4:5], 0x0
	s_wait_kmcnt 0x0
	s_cmp_neq_f32 s19, 1.0
	s_cselect_b32 s2, -1, 0
	s_delay_alu instid0(SALU_CYCLE_1)
	s_and_b32 vcc_lo, exec_lo, s2
	s_cbranch_vccnz .LBB303_2
; %bb.1:
	s_cmp_lg_u32 s21, 0
	s_cselect_b32 s2, -1, 0
	s_cmp_neq_f32 s24, 0
	s_cselect_b32 s3, -1, 0
	s_delay_alu instid0(SALU_CYCLE_1)
	s_and_b32 s2, s2, s3
.LBB303_2:
	s_delay_alu instid0(SALU_CYCLE_1)
	s_and_not1_b32 vcc_lo, exec_lo, s2
	s_cbranch_vccnz .LBB303_33
; %bb.3:
	s_load_b32 s25, s[0:1], 0x60
	s_bfe_u32 s2, ttmp6, 0x40014
	s_lshr_b32 s3, ttmp7, 16
	s_add_co_i32 s2, s2, 1
	s_bfe_u32 s4, ttmp6, 0x40008
	s_mul_i32 s2, s3, s2
	s_getreg_b32 s26, hwreg(HW_REG_IB_STS2, 6, 4)
	s_add_co_i32 s4, s4, s2
	s_cmp_eq_u32 s26, 0
	s_mov_b32 s15, 0
	s_cselect_b32 s14, s3, s4
	s_wait_kmcnt 0x0
	s_cmp_ge_u32 s14, s25
	s_cbranch_scc1 .LBB303_33
; %bb.4:
	s_clause 0x3
	s_load_b32 s4, s[0:1], 0x18
	s_load_b32 s2, s[0:1], 0x30
	s_load_b96 s[16:18], s[0:1], 0x48
	s_load_b128 s[8:11], s[0:1], 0x20
	v_and_b32_e32 v1, 0x3ff, v0
	v_bfe_u32 v7, v0, 10, 10
	s_load_b64 s[22:23], s[0:1], 0x58
	s_wait_xcnt 0x0
	s_bfe_u32 s1, ttmp6, 0x4000c
	s_bfe_u32 s3, ttmp6, 0x40010
	s_and_b32 s28, ttmp7, 0xffff
	s_add_co_i32 s1, s1, 1
	s_add_co_i32 s3, s3, 1
	v_lshl_add_u32 v3, v7, 4, v1
	s_and_b32 s0, ttmp6, 15
	s_bfe_u32 s29, ttmp6, 0x40004
	s_mul_i32 s1, ttmp9, s1
	s_mul_i32 s30, s28, s3
	s_add_co_i32 s0, s0, s1
	s_add_co_i32 s29, s29, s30
	v_dual_lshrrev_b32 v6, 3, v3 :: v_dual_bitop2_b32 v9, 31, v3 bitop3:0x40
	s_wait_kmcnt 0x0
	s_ashr_i32 s5, s4, 31
	s_ashr_i32 s3, s2, 31
	;; [unrolled: 1-line block ×3, first 2 shown]
	s_cmp_eq_u32 s26, 0
	s_mov_b32 s26, s18
	s_cselect_b32 s0, ttmp9, s0
	s_cselect_b32 s1, s28, s29
	s_lshl_b32 s28, s0, 5
	s_lshl_b32 s0, s1, 5
	v_dual_lshrrev_b32 v24, 5, v3 :: v_dual_bitop2_b32 v2, s28, v9 bitop3:0x54
	v_dual_add_nc_u32 v4, s0, v6 :: v_dual_bitop2_b32 v25, 7, v0 bitop3:0x40
	v_dual_add_nc_u32 v8, s0, v7 :: v_dual_lshlrev_b32 v0, 2, v9
	s_delay_alu instid0(VALU_DEP_2) | instskip(NEXT) | instid1(VALU_DEP_2)
	v_dual_ashrrev_i32 v3, 31, v2 :: v_dual_ashrrev_i32 v5, 31, v4
	v_dual_lshlrev_b32 v16, 2, v25 :: v_dual_add_nc_u32 v14, 16, v8
	v_ashrrev_i32_e32 v9, 31, v8
	s_delay_alu instid0(VALU_DEP_3) | instskip(NEXT) | instid1(VALU_DEP_4)
	v_mul_u64_e32 v[10:11], s[4:5], v[2:3]
	v_mul_u64_e32 v[12:13], s[2:3], v[4:5]
	v_cmp_gt_i32_e64 s0, s20, v2
	v_ashrrev_i32_e32 v15, 31, v14
	v_cmp_gt_i32_e64 s1, s20, v4
	v_mul_u64_e32 v[2:3], s[26:27], v[8:9]
	s_cmp_neq_f32 s24, 0
	v_lshl_or_b32 v26, v24, 7, v0
	v_mul_u64_e32 v[4:5], s[26:27], v[14:15]
	v_lshl_or_b32 v6, v6, 5, v16
	s_cselect_b32 s29, -1, 0
	s_cmp_gt_i32 s21, 0
	v_dual_add_nc_u32 v0, s28, v1 :: v_dual_lshlrev_b32 v28, 2, v1
	s_cselect_b32 s30, -1, 0
	s_cmp_neq_f32 s19, 0
	v_add_nc_u32_e32 v27, 0x400, v6
	s_delay_alu instid0(VALU_DEP_2)
	v_dual_add_nc_u32 v6, 16, v0 :: v_dual_ashrrev_i32 v1, 31, v0
	v_mov_b32_e32 v9, 0
	s_cselect_b32 s5, -1, 0
	s_lshl_b64 s[8:9], s[8:9], 2
	v_cmp_le_i32_e32 vcc_lo, v8, v0
	v_cmp_gt_i32_e64 s2, s20, v0
	v_cmp_le_i32_e64 s3, v8, v6
	v_cmp_gt_i32_e64 s4, s20, v6
	v_dual_mov_b32 v17, v9 :: v_dual_lshlrev_b32 v8, 2, v24
	v_lshl_add_u32 v29, v7, 5, 0x400
	s_and_b32 s18, vcc_lo, s2
	s_and_b32 s20, s3, s4
	v_ashrrev_i32_e32 v7, 31, v6
	v_lshl_add_u64 v[10:11], v[10:11], 2, s[8:9]
	s_lshl_b64 s[8:9], s[12:13], 2
	v_cmp_le_i32_e32 vcc_lo, v14, v0
	v_lshl_add_u64 v[12:13], v[12:13], 2, s[8:9]
	v_cmp_le_i32_e64 s3, v14, v6
	v_add_nc_u64_e32 v[10:11], v[10:11], v[8:9]
	s_and_b32 s8, s29, s30
	s_and_b32 s9, vcc_lo, s2
	v_add_nc_u64_e32 v[12:13], v[12:13], v[16:17]
	s_and_b32 s4, s3, s4
	s_lshl_b64 s[2:3], s[22:23], 2
	s_branch .LBB303_6
.LBB303_5:                              ;   in Loop: Header=BB303_6 Depth=1
	s_wait_xcnt 0x0
	s_or_b32 exec_lo, exec_lo, s12
	s_add_co_i32 s14, s14, 0x10000
	s_delay_alu instid0(SALU_CYCLE_1)
	s_cmp_lt_u32 s14, s25
	s_cbranch_scc0 .LBB303_33
.LBB303_6:                              ; =>This Loop Header: Depth=1
                                        ;     Child Loop BB303_9 Depth 2
	v_dual_mov_b32 v8, s14 :: v_dual_mov_b32 v23, 0
	v_dual_mov_b32 v22, 0 :: v_dual_mov_b32 v15, 0
	v_mov_b32_e32 v14, 0
	global_load_b64 v[16:17], v8, s[16:17] scale_offset
	s_and_not1_b32 vcc_lo, exec_lo, s8
	s_cbranch_vccnz .LBB303_13
; %bb.7:                                ;   in Loop: Header=BB303_6 Depth=1
	s_lshl_b64 s[12:13], s[14:15], 3
	v_mov_b32_e32 v14, 0
	s_add_nc_u64 s[22:23], s[6:7], s[12:13]
	s_add_nc_u64 s[12:13], s[10:11], s[12:13]
	s_clause 0x1
	global_load_b64 v[18:19], v9, s[22:23]
	global_load_b64 v[20:21], v9, s[12:13]
	s_wait_xcnt 0x0
	s_mov_b32 s12, 0
	v_dual_mov_b32 v15, v14 :: v_dual_mov_b32 v22, v14
	v_mov_b32_e32 v23, v14
	s_wait_loadcnt 0x1
	v_add_nc_u64_e32 v[18:19], v[18:19], v[10:11]
	s_wait_loadcnt 0x0
	v_add_nc_u64_e32 v[20:21], v[20:21], v[12:13]
	s_branch .LBB303_9
.LBB303_8:                              ;   in Loop: Header=BB303_9 Depth=2
	s_wait_xcnt 0x0
	s_or_b32 exec_lo, exec_lo, s13
	s_wait_loadcnt_dscnt 0x0
	ds_store_b32 v27, v30
	s_wait_dscnt 0x0
	s_barrier_signal -1
	s_barrier_wait -1
	ds_load_b128 v[30:33], v29
	ds_load_2addr_b32 v[46:47], v28 offset1:16
	ds_load_b128 v[34:37], v29 offset:512
	ds_load_2addr_b32 v[48:49], v28 offset0:32 offset1:48
	ds_load_2addr_b32 v[50:51], v28 offset0:64 offset1:80
	;; [unrolled: 1-line block ×3, first 2 shown]
	ds_load_b128 v[38:41], v29 offset:16
	ds_load_2addr_b32 v[54:55], v28 offset0:128 offset1:144
	ds_load_b128 v[42:45], v29 offset:528
	v_add_nc_u64_e32 v[18:19], 32, v[18:19]
	v_add_nc_u64_e32 v[20:21], 32, v[20:21]
	s_add_co_i32 s12, s12, 8
	s_delay_alu instid0(SALU_CYCLE_1)
	s_cmp_lt_i32 s12, s21
	s_wait_dscnt 0x8
	v_mov_b32_e32 v8, v33
	s_wait_dscnt 0x7
	v_pk_fma_f32 v[22:23], v[46:47], v[30:31], v[22:23] op_sel_hi:[1,0,1]
	s_wait_dscnt 0x6
	v_pk_fma_f32 v[14:15], v[46:47], v[34:35], v[14:15] op_sel_hi:[1,0,1]
	ds_load_2addr_b32 v[46:47], v28 offset0:160 offset1:176
	s_wait_dscnt 0x6
	v_pk_fma_f32 v[22:23], v[48:49], v[30:31], v[22:23] op_sel:[0,1,0]
	v_pk_fma_f32 v[14:15], v[48:49], v[34:35], v[14:15] op_sel:[0,1,0]
	ds_load_2addr_b32 v[30:31], v28 offset0:192 offset1:208
	v_mov_b32_e32 v34, v37
	s_wait_dscnt 0x6
	v_pk_fma_f32 v[22:23], v[50:51], v[32:33], v[22:23] op_sel_hi:[1,0,1]
	v_pk_fma_f32 v[14:15], v[50:51], v[36:37], v[14:15] op_sel_hi:[1,0,1]
	ds_load_2addr_b32 v[32:33], v28 offset0:224 offset1:240
	s_wait_dscnt 0x0
	s_barrier_signal -1
	v_pk_fma_f32 v[22:23], v[52:53], v[8:9], v[22:23] op_sel_hi:[1,0,1]
	v_pk_fma_f32 v[14:15], v[52:53], v[34:35], v[14:15] op_sel_hi:[1,0,1]
	v_dual_mov_b32 v8, v41 :: v_dual_mov_b32 v34, v45
	s_barrier_wait -1
	s_delay_alu instid0(VALU_DEP_3) | instskip(NEXT) | instid1(VALU_DEP_3)
	v_pk_fma_f32 v[22:23], v[54:55], v[38:39], v[22:23] op_sel_hi:[1,0,1]
	v_pk_fma_f32 v[14:15], v[54:55], v[42:43], v[14:15] op_sel_hi:[1,0,1]
	s_delay_alu instid0(VALU_DEP_2) | instskip(NEXT) | instid1(VALU_DEP_2)
	v_pk_fma_f32 v[22:23], v[46:47], v[38:39], v[22:23] op_sel:[0,1,0]
	v_pk_fma_f32 v[14:15], v[46:47], v[42:43], v[14:15] op_sel:[0,1,0]
	s_delay_alu instid0(VALU_DEP_2) | instskip(NEXT) | instid1(VALU_DEP_2)
	v_pk_fma_f32 v[22:23], v[30:31], v[40:41], v[22:23] op_sel_hi:[1,0,1]
	v_pk_fma_f32 v[14:15], v[30:31], v[44:45], v[14:15] op_sel_hi:[1,0,1]
	s_delay_alu instid0(VALU_DEP_2) | instskip(NEXT) | instid1(VALU_DEP_2)
	v_pk_fma_f32 v[22:23], v[32:33], v[8:9], v[22:23] op_sel_hi:[1,0,1]
	v_pk_fma_f32 v[14:15], v[32:33], v[34:35], v[14:15] op_sel_hi:[1,0,1]
	s_cbranch_scc0 .LBB303_13
.LBB303_9:                              ;   Parent Loop BB303_6 Depth=1
                                        ; =>  This Inner Loop Header: Depth=2
	v_add_nc_u32_e32 v8, s12, v24
	s_delay_alu instid0(VALU_DEP_1) | instskip(SKIP_2) | instid1(SALU_CYCLE_1)
	v_cmp_gt_i32_e32 vcc_lo, s21, v8
	v_mov_b32_e32 v8, 0
	s_and_b32 s22, s0, vcc_lo
	s_and_saveexec_b32 s13, s22
	s_cbranch_execz .LBB303_11
; %bb.10:                               ;   in Loop: Header=BB303_9 Depth=2
	flat_load_b32 v8, v[18:19]
.LBB303_11:                             ;   in Loop: Header=BB303_9 Depth=2
	s_wait_xcnt 0x0
	s_or_b32 exec_lo, exec_lo, s13
	v_add_nc_u32_e32 v30, s12, v25
	s_wait_loadcnt_dscnt 0x0
	ds_store_b32 v26, v8
	v_cmp_gt_i32_e32 vcc_lo, s21, v30
	v_mov_b32_e32 v30, 0
	s_and_b32 s22, vcc_lo, s1
	s_delay_alu instid0(SALU_CYCLE_1)
	s_and_saveexec_b32 s13, s22
	s_cbranch_execz .LBB303_8
; %bb.12:                               ;   in Loop: Header=BB303_9 Depth=2
	flat_load_b32 v30, v[20:21]
	s_branch .LBB303_8
.LBB303_13:                             ;   in Loop: Header=BB303_6 Depth=1
	s_wait_loadcnt 0x0
	v_add_nc_u64_e32 v[16:17], s[2:3], v[16:17]
	s_delay_alu instid0(VALU_DEP_1)
	v_lshl_add_u64 v[18:19], v[2:3], 2, v[16:17]
	s_wait_xcnt 0x0
	s_and_saveexec_b32 s12, s18
	s_cbranch_execz .LBB303_17
; %bb.14:                               ;   in Loop: Header=BB303_6 Depth=1
	v_mul_f32_e32 v8, s24, v22
	v_lshl_add_u64 v[20:21], v[0:1], 2, v[18:19]
	s_and_b32 vcc_lo, exec_lo, s5
	s_cbranch_vccz .LBB303_28
; %bb.15:                               ;   in Loop: Header=BB303_6 Depth=1
	flat_load_b32 v22, v[20:21]
	s_wait_loadcnt_dscnt 0x0
	v_fma_f32 v22, s19, v22, v8
	flat_store_b32 v[20:21], v22
	s_cbranch_execnz .LBB303_17
.LBB303_16:                             ;   in Loop: Header=BB303_6 Depth=1
	flat_store_b32 v[20:21], v8
.LBB303_17:                             ;   in Loop: Header=BB303_6 Depth=1
	s_wait_xcnt 0x0
	s_or_b32 exec_lo, exec_lo, s12
	s_and_saveexec_b32 s12, s20
	s_cbranch_execz .LBB303_21
; %bb.18:                               ;   in Loop: Header=BB303_6 Depth=1
	v_mul_f32_e32 v8, s24, v23
	v_lshl_add_u64 v[18:19], v[6:7], 2, v[18:19]
	s_and_not1_b32 vcc_lo, exec_lo, s5
	s_cbranch_vccnz .LBB303_29
; %bb.19:                               ;   in Loop: Header=BB303_6 Depth=1
	flat_load_b32 v20, v[18:19]
	s_wait_loadcnt_dscnt 0x0
	v_fma_f32 v20, s19, v20, v8
	flat_store_b32 v[18:19], v20
	s_cbranch_execnz .LBB303_21
.LBB303_20:                             ;   in Loop: Header=BB303_6 Depth=1
	flat_store_b32 v[18:19], v8
.LBB303_21:                             ;   in Loop: Header=BB303_6 Depth=1
	s_wait_xcnt 0x0
	s_or_b32 exec_lo, exec_lo, s12
	v_lshl_add_u64 v[16:17], v[4:5], 2, v[16:17]
	s_and_saveexec_b32 s12, s9
	s_cbranch_execz .LBB303_25
; %bb.22:                               ;   in Loop: Header=BB303_6 Depth=1
	v_mul_f32_e32 v8, s24, v14
	s_delay_alu instid0(VALU_DEP_2)
	v_lshl_add_u64 v[18:19], v[0:1], 2, v[16:17]
	s_and_not1_b32 vcc_lo, exec_lo, s5
	s_cbranch_vccnz .LBB303_30
; %bb.23:                               ;   in Loop: Header=BB303_6 Depth=1
	flat_load_b32 v14, v[18:19]
	s_wait_loadcnt_dscnt 0x0
	v_fma_f32 v14, s19, v14, v8
	flat_store_b32 v[18:19], v14
	s_cbranch_execnz .LBB303_25
.LBB303_24:                             ;   in Loop: Header=BB303_6 Depth=1
	flat_store_b32 v[18:19], v8
.LBB303_25:                             ;   in Loop: Header=BB303_6 Depth=1
	s_wait_xcnt 0x0
	s_or_b32 exec_lo, exec_lo, s12
	s_and_saveexec_b32 s12, s4
	s_cbranch_execz .LBB303_5
; %bb.26:                               ;   in Loop: Header=BB303_6 Depth=1
	v_mul_f32_e32 v8, s24, v15
	v_lshl_add_u64 v[14:15], v[6:7], 2, v[16:17]
	s_and_not1_b32 vcc_lo, exec_lo, s5
	s_cbranch_vccnz .LBB303_31
; %bb.27:                               ;   in Loop: Header=BB303_6 Depth=1
	flat_load_b32 v16, v[14:15]
	s_wait_loadcnt_dscnt 0x0
	v_fma_f32 v16, s19, v16, v8
	flat_store_b32 v[14:15], v16
	s_cbranch_execnz .LBB303_5
	s_branch .LBB303_32
.LBB303_28:                             ;   in Loop: Header=BB303_6 Depth=1
	s_branch .LBB303_16
.LBB303_29:                             ;   in Loop: Header=BB303_6 Depth=1
	s_branch .LBB303_20
.LBB303_30:                             ;   in Loop: Header=BB303_6 Depth=1
	s_branch .LBB303_24
.LBB303_31:                             ;   in Loop: Header=BB303_6 Depth=1
.LBB303_32:                             ;   in Loop: Header=BB303_6 Depth=1
	flat_store_b32 v[14:15], v8
	s_branch .LBB303_5
.LBB303_33:
	s_endpgm
	.section	.rodata,"a",@progbits
	.p2align	6, 0x0
	.amdhsa_kernel _ZL29rocblas_internal_gemmt_kernelIiLi16ELi32ELi8ELc67ELc78ELc76ELb0ELb0EfPKfPKS1_PKPfEviT_T9_T10_S7_lS9_S7_lS8_T11_S7_li
		.amdhsa_group_segment_fixed_size 2048
		.amdhsa_private_segment_fixed_size 0
		.amdhsa_kernarg_size 100
		.amdhsa_user_sgpr_count 2
		.amdhsa_user_sgpr_dispatch_ptr 0
		.amdhsa_user_sgpr_queue_ptr 0
		.amdhsa_user_sgpr_kernarg_segment_ptr 1
		.amdhsa_user_sgpr_dispatch_id 0
		.amdhsa_user_sgpr_kernarg_preload_length 0
		.amdhsa_user_sgpr_kernarg_preload_offset 0
		.amdhsa_user_sgpr_private_segment_size 0
		.amdhsa_wavefront_size32 1
		.amdhsa_uses_dynamic_stack 0
		.amdhsa_enable_private_segment 0
		.amdhsa_system_sgpr_workgroup_id_x 1
		.amdhsa_system_sgpr_workgroup_id_y 1
		.amdhsa_system_sgpr_workgroup_id_z 1
		.amdhsa_system_sgpr_workgroup_info 0
		.amdhsa_system_vgpr_workitem_id 1
		.amdhsa_next_free_vgpr 56
		.amdhsa_next_free_sgpr 31
		.amdhsa_named_barrier_count 0
		.amdhsa_reserve_vcc 1
		.amdhsa_float_round_mode_32 0
		.amdhsa_float_round_mode_16_64 0
		.amdhsa_float_denorm_mode_32 3
		.amdhsa_float_denorm_mode_16_64 3
		.amdhsa_fp16_overflow 0
		.amdhsa_memory_ordered 1
		.amdhsa_forward_progress 1
		.amdhsa_inst_pref_size 14
		.amdhsa_round_robin_scheduling 0
		.amdhsa_exception_fp_ieee_invalid_op 0
		.amdhsa_exception_fp_denorm_src 0
		.amdhsa_exception_fp_ieee_div_zero 0
		.amdhsa_exception_fp_ieee_overflow 0
		.amdhsa_exception_fp_ieee_underflow 0
		.amdhsa_exception_fp_ieee_inexact 0
		.amdhsa_exception_int_div_zero 0
	.end_amdhsa_kernel
	.section	.text._ZL29rocblas_internal_gemmt_kernelIiLi16ELi32ELi8ELc67ELc78ELc76ELb0ELb0EfPKfPKS1_PKPfEviT_T9_T10_S7_lS9_S7_lS8_T11_S7_li,"axG",@progbits,_ZL29rocblas_internal_gemmt_kernelIiLi16ELi32ELi8ELc67ELc78ELc76ELb0ELb0EfPKfPKS1_PKPfEviT_T9_T10_S7_lS9_S7_lS8_T11_S7_li,comdat
.Lfunc_end303:
	.size	_ZL29rocblas_internal_gemmt_kernelIiLi16ELi32ELi8ELc67ELc78ELc76ELb0ELb0EfPKfPKS1_PKPfEviT_T9_T10_S7_lS9_S7_lS8_T11_S7_li, .Lfunc_end303-_ZL29rocblas_internal_gemmt_kernelIiLi16ELi32ELi8ELc67ELc78ELc76ELb0ELb0EfPKfPKS1_PKPfEviT_T9_T10_S7_lS9_S7_lS8_T11_S7_li
                                        ; -- End function
	.set _ZL29rocblas_internal_gemmt_kernelIiLi16ELi32ELi8ELc67ELc78ELc76ELb0ELb0EfPKfPKS1_PKPfEviT_T9_T10_S7_lS9_S7_lS8_T11_S7_li.num_vgpr, 56
	.set _ZL29rocblas_internal_gemmt_kernelIiLi16ELi32ELi8ELc67ELc78ELc76ELb0ELb0EfPKfPKS1_PKPfEviT_T9_T10_S7_lS9_S7_lS8_T11_S7_li.num_agpr, 0
	.set _ZL29rocblas_internal_gemmt_kernelIiLi16ELi32ELi8ELc67ELc78ELc76ELb0ELb0EfPKfPKS1_PKPfEviT_T9_T10_S7_lS9_S7_lS8_T11_S7_li.numbered_sgpr, 31
	.set _ZL29rocblas_internal_gemmt_kernelIiLi16ELi32ELi8ELc67ELc78ELc76ELb0ELb0EfPKfPKS1_PKPfEviT_T9_T10_S7_lS9_S7_lS8_T11_S7_li.num_named_barrier, 0
	.set _ZL29rocblas_internal_gemmt_kernelIiLi16ELi32ELi8ELc67ELc78ELc76ELb0ELb0EfPKfPKS1_PKPfEviT_T9_T10_S7_lS9_S7_lS8_T11_S7_li.private_seg_size, 0
	.set _ZL29rocblas_internal_gemmt_kernelIiLi16ELi32ELi8ELc67ELc78ELc76ELb0ELb0EfPKfPKS1_PKPfEviT_T9_T10_S7_lS9_S7_lS8_T11_S7_li.uses_vcc, 1
	.set _ZL29rocblas_internal_gemmt_kernelIiLi16ELi32ELi8ELc67ELc78ELc76ELb0ELb0EfPKfPKS1_PKPfEviT_T9_T10_S7_lS9_S7_lS8_T11_S7_li.uses_flat_scratch, 0
	.set _ZL29rocblas_internal_gemmt_kernelIiLi16ELi32ELi8ELc67ELc78ELc76ELb0ELb0EfPKfPKS1_PKPfEviT_T9_T10_S7_lS9_S7_lS8_T11_S7_li.has_dyn_sized_stack, 0
	.set _ZL29rocblas_internal_gemmt_kernelIiLi16ELi32ELi8ELc67ELc78ELc76ELb0ELb0EfPKfPKS1_PKPfEviT_T9_T10_S7_lS9_S7_lS8_T11_S7_li.has_recursion, 0
	.set _ZL29rocblas_internal_gemmt_kernelIiLi16ELi32ELi8ELc67ELc78ELc76ELb0ELb0EfPKfPKS1_PKPfEviT_T9_T10_S7_lS9_S7_lS8_T11_S7_li.has_indirect_call, 0
	.section	.AMDGPU.csdata,"",@progbits
; Kernel info:
; codeLenInByte = 1680
; TotalNumSgprs: 33
; NumVgprs: 56
; ScratchSize: 0
; MemoryBound: 0
; FloatMode: 240
; IeeeMode: 1
; LDSByteSize: 2048 bytes/workgroup (compile time only)
; SGPRBlocks: 0
; VGPRBlocks: 3
; NumSGPRsForWavesPerEU: 33
; NumVGPRsForWavesPerEU: 56
; NamedBarCnt: 0
; Occupancy: 16
; WaveLimiterHint : 1
; COMPUTE_PGM_RSRC2:SCRATCH_EN: 0
; COMPUTE_PGM_RSRC2:USER_SGPR: 2
; COMPUTE_PGM_RSRC2:TRAP_HANDLER: 0
; COMPUTE_PGM_RSRC2:TGID_X_EN: 1
; COMPUTE_PGM_RSRC2:TGID_Y_EN: 1
; COMPUTE_PGM_RSRC2:TGID_Z_EN: 1
; COMPUTE_PGM_RSRC2:TIDIG_COMP_CNT: 1
	.section	.text._ZL29rocblas_internal_gemmt_kernelIiLi16ELi32ELi8ELc67ELc84ELc76ELb0ELb0EfPKfPKS1_PKPfEviT_T9_T10_S7_lS9_S7_lS8_T11_S7_li,"axG",@progbits,_ZL29rocblas_internal_gemmt_kernelIiLi16ELi32ELi8ELc67ELc84ELc76ELb0ELb0EfPKfPKS1_PKPfEviT_T9_T10_S7_lS9_S7_lS8_T11_S7_li,comdat
	.globl	_ZL29rocblas_internal_gemmt_kernelIiLi16ELi32ELi8ELc67ELc84ELc76ELb0ELb0EfPKfPKS1_PKPfEviT_T9_T10_S7_lS9_S7_lS8_T11_S7_li ; -- Begin function _ZL29rocblas_internal_gemmt_kernelIiLi16ELi32ELi8ELc67ELc84ELc76ELb0ELb0EfPKfPKS1_PKPfEviT_T9_T10_S7_lS9_S7_lS8_T11_S7_li
	.p2align	8
	.type	_ZL29rocblas_internal_gemmt_kernelIiLi16ELi32ELi8ELc67ELc84ELc76ELb0ELb0EfPKfPKS1_PKPfEviT_T9_T10_S7_lS9_S7_lS8_T11_S7_li,@function
_ZL29rocblas_internal_gemmt_kernelIiLi16ELi32ELi8ELc67ELc84ELc76ELb0ELb0EfPKfPKS1_PKPfEviT_T9_T10_S7_lS9_S7_lS8_T11_S7_li: ; @_ZL29rocblas_internal_gemmt_kernelIiLi16ELi32ELi8ELc67ELc84ELc76ELb0ELb0EfPKfPKS1_PKPfEviT_T9_T10_S7_lS9_S7_lS8_T11_S7_li
; %bb.0:
	s_clause 0x1
	s_load_b128 s[12:15], s[0:1], 0x38
	s_load_b128 s[4:7], s[0:1], 0x8
	s_wait_kmcnt 0x0
	s_load_b32 s19, s[14:15], 0x0
	s_load_b64 s[20:21], s[0:1], 0x0
	s_load_b32 s26, s[4:5], 0x0
	s_wait_kmcnt 0x0
	s_cmp_neq_f32 s19, 1.0
	s_cselect_b32 s2, -1, 0
	s_delay_alu instid0(SALU_CYCLE_1)
	s_and_b32 vcc_lo, exec_lo, s2
	s_cbranch_vccnz .LBB304_2
; %bb.1:
	s_cmp_lg_u32 s21, 0
	s_cselect_b32 s2, -1, 0
	s_cmp_neq_f32 s26, 0
	s_cselect_b32 s3, -1, 0
	s_delay_alu instid0(SALU_CYCLE_1)
	s_and_b32 s2, s2, s3
.LBB304_2:
	s_delay_alu instid0(SALU_CYCLE_1)
	s_and_not1_b32 vcc_lo, exec_lo, s2
	s_cbranch_vccnz .LBB304_33
; %bb.3:
	s_load_b32 s27, s[0:1], 0x60
	s_bfe_u32 s2, ttmp6, 0x40014
	s_lshr_b32 s3, ttmp7, 16
	s_add_co_i32 s2, s2, 1
	s_bfe_u32 s5, ttmp6, 0x40008
	s_mul_i32 s2, s3, s2
	s_getreg_b32 s4, hwreg(HW_REG_IB_STS2, 6, 4)
	s_add_co_i32 s5, s5, s2
	s_cmp_eq_u32 s4, 0
	s_mov_b32 s15, 0
	s_cselect_b32 s14, s3, s5
	s_wait_kmcnt 0x0
	s_cmp_ge_u32 s14, s27
	s_cbranch_scc1 .LBB304_33
; %bb.4:
	s_clause 0x3
	s_load_b32 s2, s[0:1], 0x18
	s_load_b32 s22, s[0:1], 0x30
	s_load_b96 s[16:18], s[0:1], 0x48
	s_load_b128 s[8:11], s[0:1], 0x20
	v_and_b32_e32 v2, 0x3ff, v0
	v_bfe_u32 v11, v0, 10, 10
	s_load_b64 s[24:25], s[0:1], 0x58
	s_wait_xcnt 0x0
	s_bfe_u32 s1, ttmp6, 0x4000c
	s_bfe_u32 s3, ttmp6, 0x40010
	s_and_b32 s28, ttmp7, 0xffff
	s_add_co_i32 s1, s1, 1
	s_add_co_i32 s3, s3, 1
	v_lshl_add_u32 v1, v11, 4, v2
	s_and_b32 s0, ttmp6, 15
	s_mul_i32 s1, ttmp9, s1
	s_mul_i32 s29, s28, s3
	s_bfe_u32 s30, ttmp6, 0x40004
	s_add_co_i32 s0, s0, s1
	s_add_co_i32 s30, s30, s29
	v_dual_lshrrev_b32 v7, 3, v1 :: v_dual_bitop2_b32 v6, 31, v1 bitop3:0x40
	s_wait_kmcnt 0x0
	s_ashr_i32 s3, s2, 31
	s_ashr_i32 s23, s22, 31
	;; [unrolled: 1-line block ×3, first 2 shown]
	s_cmp_eq_u32 s4, 0
	v_dual_lshrrev_b32 v26, 5, v1 :: v_dual_bitop2_b32 v0, 7, v0 bitop3:0x40
	s_cselect_b32 s0, ttmp9, s0
	s_cselect_b32 s1, s28, s30
	s_lshl_b32 s28, s0, 5
	s_delay_alu instid0(SALU_CYCLE_1) | instskip(SKIP_2) | instid1(VALU_DEP_1)
	v_dual_mov_b32 v3, 0 :: v_dual_bitop2_b32 v4, s28, v6 bitop3:0x54
	s_lshl_b32 s0, s1, 5
	s_mov_b32 s4, s18
	v_dual_mov_b32 v1, v3 :: v_dual_add_nc_u32 v12, s0, v11
	s_delay_alu instid0(VALU_DEP_2) | instskip(SKIP_1) | instid1(VALU_DEP_3)
	v_dual_ashrrev_i32 v5, 31, v4 :: v_dual_add_nc_u32 v14, s0, v7
	v_cmp_gt_i32_e64 s0, s20, v4
	v_add_nc_u32_e32 v20, 16, v12
	s_delay_alu instid0(VALU_DEP_4) | instskip(NEXT) | instid1(VALU_DEP_4)
	v_mul_u64_e32 v[18:19], s[22:23], v[0:1]
	v_mul_u64_e32 v[16:17], s[2:3], v[4:5]
	v_dual_lshlrev_b32 v5, 2, v6 :: v_dual_lshlrev_b32 v6, 2, v0
	v_dual_add_nc_u32 v4, s28, v2 :: v_dual_ashrrev_i32 v13, 31, v12
	v_dual_ashrrev_i32 v15, 31, v14 :: v_dual_ashrrev_i32 v21, 31, v20
	v_lshlrev_b32_e32 v28, 2, v2
	s_delay_alu instid0(VALU_DEP_4)
	v_lshl_or_b32 v1, v26, 7, v5
	v_lshl_or_b32 v5, v7, 5, v6
	v_mul_u64_e32 v[6:7], s[4:5], v[12:13]
	v_mul_u64_e32 v[8:9], s[4:5], v[20:21]
	s_cmp_neq_f32 s26, 0
	v_add_nc_u32_e32 v10, 16, v4
	v_cmp_le_i32_e32 vcc_lo, v12, v4
	v_cmp_gt_i32_e64 s2, s20, v4
	s_cselect_b32 s29, -1, 0
	s_cmp_gt_i32 s21, 0
	v_cmp_gt_i32_e64 s1, s20, v14
	s_cselect_b32 s30, -1, 0
	s_cmp_neq_f32 s19, 0
	v_add_nc_u32_e32 v27, 0x400, v5
	v_ashrrev_i32_e32 v5, 31, v4
	v_cmp_le_i32_e64 s3, v12, v10
	s_cselect_b32 s18, -1, 0
	s_lshl_b64 s[8:9], s[8:9], 2
	v_cmp_gt_i32_e64 s4, s20, v10
	s_and_b32 s20, vcc_lo, s2
	v_cmp_le_i32_e32 vcc_lo, v20, v4
	v_lshlrev_b32_e32 v2, 2, v26
	v_lshl_add_u32 v29, v11, 5, 0x400
	v_ashrrev_i32_e32 v11, 31, v10
	v_lshl_add_u64 v[12:13], v[16:17], 2, s[8:9]
	s_lshl_b64 s[8:9], s[12:13], 2
	s_and_b32 s28, s3, s4
	v_lshl_add_u64 v[16:17], v[18:19], 2, s[8:9]
	s_and_b32 s8, vcc_lo, s2
	v_cmp_le_i32_e32 vcc_lo, v20, v10
	v_add_nc_u64_e32 v[12:13], v[12:13], v[2:3]
	s_and_b32 s9, s29, s30
	v_lshl_add_u64 v[14:15], v[14:15], 2, v[16:17]
	s_lshl_b64 s[2:3], s[22:23], 5
	s_and_b32 s12, vcc_lo, s4
	s_lshl_b64 s[4:5], s[24:25], 2
	s_branch .LBB304_6
.LBB304_5:                              ;   in Loop: Header=BB304_6 Depth=1
	s_wait_xcnt 0x0
	s_or_b32 exec_lo, exec_lo, s13
	s_add_co_i32 s14, s14, 0x10000
	s_delay_alu instid0(SALU_CYCLE_1)
	s_cmp_lt_u32 s14, s27
	s_cbranch_scc0 .LBB304_33
.LBB304_6:                              ; =>This Loop Header: Depth=1
                                        ;     Child Loop BB304_9 Depth 2
	v_dual_mov_b32 v2, s14 :: v_dual_mov_b32 v25, 0
	v_dual_mov_b32 v24, 0 :: v_dual_mov_b32 v17, 0
	v_mov_b32_e32 v16, 0
	global_load_b64 v[18:19], v2, s[16:17] scale_offset
	s_and_not1_b32 vcc_lo, exec_lo, s9
	s_cbranch_vccnz .LBB304_13
; %bb.7:                                ;   in Loop: Header=BB304_6 Depth=1
	s_lshl_b64 s[22:23], s[14:15], 3
	v_mov_b32_e32 v16, 0
	s_add_nc_u64 s[24:25], s[6:7], s[22:23]
	s_add_nc_u64 s[22:23], s[10:11], s[22:23]
	s_clause 0x1
	global_load_b64 v[20:21], v3, s[24:25]
	global_load_b64 v[22:23], v3, s[22:23]
	s_mov_b32 s13, 0
	v_dual_mov_b32 v17, v16 :: v_dual_mov_b32 v24, v16
	v_mov_b32_e32 v25, v16
	s_wait_loadcnt 0x1
	v_add_nc_u64_e32 v[20:21], v[20:21], v[12:13]
	s_wait_loadcnt 0x0
	v_add_nc_u64_e32 v[22:23], v[22:23], v[14:15]
	s_branch .LBB304_9
.LBB304_8:                              ;   in Loop: Header=BB304_9 Depth=2
	s_wait_xcnt 0x0
	s_or_b32 exec_lo, exec_lo, s22
	s_wait_loadcnt_dscnt 0x0
	ds_store_b32 v27, v30
	s_wait_dscnt 0x0
	s_barrier_signal -1
	s_barrier_wait -1
	ds_load_b128 v[30:33], v29
	ds_load_2addr_b32 v[46:47], v28 offset1:16
	ds_load_b128 v[34:37], v29 offset:512
	ds_load_2addr_b32 v[48:49], v28 offset0:32 offset1:48
	ds_load_2addr_b32 v[50:51], v28 offset0:64 offset1:80
	;; [unrolled: 1-line block ×3, first 2 shown]
	ds_load_b128 v[38:41], v29 offset:16
	ds_load_2addr_b32 v[54:55], v28 offset0:128 offset1:144
	ds_load_b128 v[42:45], v29 offset:528
	v_add_nc_u64_e32 v[20:21], 32, v[20:21]
	v_add_nc_u64_e32 v[22:23], s[2:3], v[22:23]
	s_add_co_i32 s13, s13, 8
	s_delay_alu instid0(SALU_CYCLE_1)
	s_cmp_lt_i32 s13, s21
	s_wait_dscnt 0x8
	v_mov_b32_e32 v2, v33
	s_wait_dscnt 0x7
	v_pk_fma_f32 v[24:25], v[46:47], v[30:31], v[24:25] op_sel_hi:[1,0,1]
	s_wait_dscnt 0x6
	v_pk_fma_f32 v[16:17], v[46:47], v[34:35], v[16:17] op_sel_hi:[1,0,1]
	ds_load_2addr_b32 v[46:47], v28 offset0:160 offset1:176
	s_wait_dscnt 0x6
	v_pk_fma_f32 v[24:25], v[48:49], v[30:31], v[24:25] op_sel:[0,1,0]
	v_pk_fma_f32 v[16:17], v[48:49], v[34:35], v[16:17] op_sel:[0,1,0]
	ds_load_2addr_b32 v[30:31], v28 offset0:192 offset1:208
	v_mov_b32_e32 v34, v37
	s_wait_dscnt 0x6
	v_pk_fma_f32 v[24:25], v[50:51], v[32:33], v[24:25] op_sel_hi:[1,0,1]
	v_pk_fma_f32 v[16:17], v[50:51], v[36:37], v[16:17] op_sel_hi:[1,0,1]
	ds_load_2addr_b32 v[32:33], v28 offset0:224 offset1:240
	s_wait_dscnt 0x0
	s_barrier_signal -1
	v_pk_fma_f32 v[24:25], v[52:53], v[2:3], v[24:25] op_sel_hi:[1,0,1]
	v_pk_fma_f32 v[16:17], v[52:53], v[34:35], v[16:17] op_sel_hi:[1,0,1]
	v_dual_mov_b32 v2, v41 :: v_dual_mov_b32 v34, v45
	s_barrier_wait -1
	s_delay_alu instid0(VALU_DEP_3) | instskip(NEXT) | instid1(VALU_DEP_3)
	v_pk_fma_f32 v[24:25], v[54:55], v[38:39], v[24:25] op_sel_hi:[1,0,1]
	v_pk_fma_f32 v[16:17], v[54:55], v[42:43], v[16:17] op_sel_hi:[1,0,1]
	s_delay_alu instid0(VALU_DEP_2) | instskip(NEXT) | instid1(VALU_DEP_2)
	v_pk_fma_f32 v[24:25], v[46:47], v[38:39], v[24:25] op_sel:[0,1,0]
	v_pk_fma_f32 v[16:17], v[46:47], v[42:43], v[16:17] op_sel:[0,1,0]
	s_delay_alu instid0(VALU_DEP_2) | instskip(NEXT) | instid1(VALU_DEP_2)
	v_pk_fma_f32 v[24:25], v[30:31], v[40:41], v[24:25] op_sel_hi:[1,0,1]
	v_pk_fma_f32 v[16:17], v[30:31], v[44:45], v[16:17] op_sel_hi:[1,0,1]
	s_delay_alu instid0(VALU_DEP_2) | instskip(NEXT) | instid1(VALU_DEP_2)
	v_pk_fma_f32 v[24:25], v[32:33], v[2:3], v[24:25] op_sel_hi:[1,0,1]
	v_pk_fma_f32 v[16:17], v[32:33], v[34:35], v[16:17] op_sel_hi:[1,0,1]
	s_cbranch_scc0 .LBB304_13
.LBB304_9:                              ;   Parent Loop BB304_6 Depth=1
                                        ; =>  This Inner Loop Header: Depth=2
	s_wait_xcnt 0x2
	v_add_nc_u32_e32 v2, s13, v26
	s_delay_alu instid0(VALU_DEP_1) | instskip(SKIP_3) | instid1(SALU_CYCLE_1)
	v_cmp_gt_i32_e32 vcc_lo, s21, v2
	v_mov_b32_e32 v2, 0
	s_wait_xcnt 0x0
	s_and_b32 s23, s0, vcc_lo
	s_and_saveexec_b32 s22, s23
	s_cbranch_execz .LBB304_11
; %bb.10:                               ;   in Loop: Header=BB304_9 Depth=2
	flat_load_b32 v2, v[20:21]
.LBB304_11:                             ;   in Loop: Header=BB304_9 Depth=2
	s_wait_xcnt 0x0
	s_or_b32 exec_lo, exec_lo, s22
	v_add_nc_u32_e32 v30, s13, v0
	s_wait_loadcnt_dscnt 0x0
	ds_store_b32 v1, v2
	v_cmp_gt_i32_e32 vcc_lo, s21, v30
	v_mov_b32_e32 v30, 0
	s_and_b32 s23, vcc_lo, s1
	s_delay_alu instid0(SALU_CYCLE_1)
	s_and_saveexec_b32 s22, s23
	s_cbranch_execz .LBB304_8
; %bb.12:                               ;   in Loop: Header=BB304_9 Depth=2
	flat_load_b32 v30, v[22:23]
	s_branch .LBB304_8
.LBB304_13:                             ;   in Loop: Header=BB304_6 Depth=1
	s_wait_loadcnt 0x0
	v_add_nc_u64_e32 v[18:19], s[4:5], v[18:19]
	s_delay_alu instid0(VALU_DEP_1)
	v_lshl_add_u64 v[20:21], v[6:7], 2, v[18:19]
	s_wait_xcnt 0x0
	s_and_saveexec_b32 s13, s20
	s_cbranch_execz .LBB304_17
; %bb.14:                               ;   in Loop: Header=BB304_6 Depth=1
	v_mul_f32_e32 v2, s26, v24
	v_lshl_add_u64 v[22:23], v[4:5], 2, v[20:21]
	s_and_b32 vcc_lo, exec_lo, s18
	s_cbranch_vccz .LBB304_28
; %bb.15:                               ;   in Loop: Header=BB304_6 Depth=1
	flat_load_b32 v24, v[22:23]
	s_wait_loadcnt_dscnt 0x0
	v_fma_f32 v24, s19, v24, v2
	flat_store_b32 v[22:23], v24
	s_cbranch_execnz .LBB304_17
.LBB304_16:                             ;   in Loop: Header=BB304_6 Depth=1
	flat_store_b32 v[22:23], v2
.LBB304_17:                             ;   in Loop: Header=BB304_6 Depth=1
	s_wait_xcnt 0x0
	s_or_b32 exec_lo, exec_lo, s13
	s_and_saveexec_b32 s13, s28
	s_cbranch_execz .LBB304_21
; %bb.18:                               ;   in Loop: Header=BB304_6 Depth=1
	v_mul_f32_e32 v2, s26, v25
	v_lshl_add_u64 v[20:21], v[10:11], 2, v[20:21]
	s_and_not1_b32 vcc_lo, exec_lo, s18
	s_cbranch_vccnz .LBB304_29
; %bb.19:                               ;   in Loop: Header=BB304_6 Depth=1
	flat_load_b32 v22, v[20:21]
	s_wait_loadcnt_dscnt 0x0
	v_fma_f32 v22, s19, v22, v2
	flat_store_b32 v[20:21], v22
	s_cbranch_execnz .LBB304_21
.LBB304_20:                             ;   in Loop: Header=BB304_6 Depth=1
	flat_store_b32 v[20:21], v2
.LBB304_21:                             ;   in Loop: Header=BB304_6 Depth=1
	s_wait_xcnt 0x0
	s_or_b32 exec_lo, exec_lo, s13
	v_lshl_add_u64 v[18:19], v[8:9], 2, v[18:19]
	s_and_saveexec_b32 s13, s8
	s_cbranch_execz .LBB304_25
; %bb.22:                               ;   in Loop: Header=BB304_6 Depth=1
	v_mul_f32_e32 v2, s26, v16
	s_delay_alu instid0(VALU_DEP_2)
	v_lshl_add_u64 v[20:21], v[4:5], 2, v[18:19]
	s_and_not1_b32 vcc_lo, exec_lo, s18
	s_cbranch_vccnz .LBB304_30
; %bb.23:                               ;   in Loop: Header=BB304_6 Depth=1
	flat_load_b32 v16, v[20:21]
	s_wait_loadcnt_dscnt 0x0
	v_fma_f32 v16, s19, v16, v2
	flat_store_b32 v[20:21], v16
	s_cbranch_execnz .LBB304_25
.LBB304_24:                             ;   in Loop: Header=BB304_6 Depth=1
	flat_store_b32 v[20:21], v2
.LBB304_25:                             ;   in Loop: Header=BB304_6 Depth=1
	s_wait_xcnt 0x0
	s_or_b32 exec_lo, exec_lo, s13
	s_and_saveexec_b32 s13, s12
	s_cbranch_execz .LBB304_5
; %bb.26:                               ;   in Loop: Header=BB304_6 Depth=1
	v_mul_f32_e32 v2, s26, v17
	v_lshl_add_u64 v[16:17], v[10:11], 2, v[18:19]
	s_and_not1_b32 vcc_lo, exec_lo, s18
	s_cbranch_vccnz .LBB304_31
; %bb.27:                               ;   in Loop: Header=BB304_6 Depth=1
	flat_load_b32 v18, v[16:17]
	s_wait_loadcnt_dscnt 0x0
	v_fma_f32 v18, s19, v18, v2
	flat_store_b32 v[16:17], v18
	s_cbranch_execnz .LBB304_5
	s_branch .LBB304_32
.LBB304_28:                             ;   in Loop: Header=BB304_6 Depth=1
	s_branch .LBB304_16
.LBB304_29:                             ;   in Loop: Header=BB304_6 Depth=1
	s_branch .LBB304_20
.LBB304_30:                             ;   in Loop: Header=BB304_6 Depth=1
	s_branch .LBB304_24
.LBB304_31:                             ;   in Loop: Header=BB304_6 Depth=1
.LBB304_32:                             ;   in Loop: Header=BB304_6 Depth=1
	flat_store_b32 v[16:17], v2
	s_branch .LBB304_5
.LBB304_33:
	s_endpgm
	.section	.rodata,"a",@progbits
	.p2align	6, 0x0
	.amdhsa_kernel _ZL29rocblas_internal_gemmt_kernelIiLi16ELi32ELi8ELc67ELc84ELc76ELb0ELb0EfPKfPKS1_PKPfEviT_T9_T10_S7_lS9_S7_lS8_T11_S7_li
		.amdhsa_group_segment_fixed_size 2048
		.amdhsa_private_segment_fixed_size 0
		.amdhsa_kernarg_size 100
		.amdhsa_user_sgpr_count 2
		.amdhsa_user_sgpr_dispatch_ptr 0
		.amdhsa_user_sgpr_queue_ptr 0
		.amdhsa_user_sgpr_kernarg_segment_ptr 1
		.amdhsa_user_sgpr_dispatch_id 0
		.amdhsa_user_sgpr_kernarg_preload_length 0
		.amdhsa_user_sgpr_kernarg_preload_offset 0
		.amdhsa_user_sgpr_private_segment_size 0
		.amdhsa_wavefront_size32 1
		.amdhsa_uses_dynamic_stack 0
		.amdhsa_enable_private_segment 0
		.amdhsa_system_sgpr_workgroup_id_x 1
		.amdhsa_system_sgpr_workgroup_id_y 1
		.amdhsa_system_sgpr_workgroup_id_z 1
		.amdhsa_system_sgpr_workgroup_info 0
		.amdhsa_system_vgpr_workitem_id 1
		.amdhsa_next_free_vgpr 56
		.amdhsa_next_free_sgpr 31
		.amdhsa_named_barrier_count 0
		.amdhsa_reserve_vcc 1
		.amdhsa_float_round_mode_32 0
		.amdhsa_float_round_mode_16_64 0
		.amdhsa_float_denorm_mode_32 3
		.amdhsa_float_denorm_mode_16_64 3
		.amdhsa_fp16_overflow 0
		.amdhsa_memory_ordered 1
		.amdhsa_forward_progress 1
		.amdhsa_inst_pref_size 14
		.amdhsa_round_robin_scheduling 0
		.amdhsa_exception_fp_ieee_invalid_op 0
		.amdhsa_exception_fp_denorm_src 0
		.amdhsa_exception_fp_ieee_div_zero 0
		.amdhsa_exception_fp_ieee_overflow 0
		.amdhsa_exception_fp_ieee_underflow 0
		.amdhsa_exception_fp_ieee_inexact 0
		.amdhsa_exception_int_div_zero 0
	.end_amdhsa_kernel
	.section	.text._ZL29rocblas_internal_gemmt_kernelIiLi16ELi32ELi8ELc67ELc84ELc76ELb0ELb0EfPKfPKS1_PKPfEviT_T9_T10_S7_lS9_S7_lS8_T11_S7_li,"axG",@progbits,_ZL29rocblas_internal_gemmt_kernelIiLi16ELi32ELi8ELc67ELc84ELc76ELb0ELb0EfPKfPKS1_PKPfEviT_T9_T10_S7_lS9_S7_lS8_T11_S7_li,comdat
.Lfunc_end304:
	.size	_ZL29rocblas_internal_gemmt_kernelIiLi16ELi32ELi8ELc67ELc84ELc76ELb0ELb0EfPKfPKS1_PKPfEviT_T9_T10_S7_lS9_S7_lS8_T11_S7_li, .Lfunc_end304-_ZL29rocblas_internal_gemmt_kernelIiLi16ELi32ELi8ELc67ELc84ELc76ELb0ELb0EfPKfPKS1_PKPfEviT_T9_T10_S7_lS9_S7_lS8_T11_S7_li
                                        ; -- End function
	.set _ZL29rocblas_internal_gemmt_kernelIiLi16ELi32ELi8ELc67ELc84ELc76ELb0ELb0EfPKfPKS1_PKPfEviT_T9_T10_S7_lS9_S7_lS8_T11_S7_li.num_vgpr, 56
	.set _ZL29rocblas_internal_gemmt_kernelIiLi16ELi32ELi8ELc67ELc84ELc76ELb0ELb0EfPKfPKS1_PKPfEviT_T9_T10_S7_lS9_S7_lS8_T11_S7_li.num_agpr, 0
	.set _ZL29rocblas_internal_gemmt_kernelIiLi16ELi32ELi8ELc67ELc84ELc76ELb0ELb0EfPKfPKS1_PKPfEviT_T9_T10_S7_lS9_S7_lS8_T11_S7_li.numbered_sgpr, 31
	.set _ZL29rocblas_internal_gemmt_kernelIiLi16ELi32ELi8ELc67ELc84ELc76ELb0ELb0EfPKfPKS1_PKPfEviT_T9_T10_S7_lS9_S7_lS8_T11_S7_li.num_named_barrier, 0
	.set _ZL29rocblas_internal_gemmt_kernelIiLi16ELi32ELi8ELc67ELc84ELc76ELb0ELb0EfPKfPKS1_PKPfEviT_T9_T10_S7_lS9_S7_lS8_T11_S7_li.private_seg_size, 0
	.set _ZL29rocblas_internal_gemmt_kernelIiLi16ELi32ELi8ELc67ELc84ELc76ELb0ELb0EfPKfPKS1_PKPfEviT_T9_T10_S7_lS9_S7_lS8_T11_S7_li.uses_vcc, 1
	.set _ZL29rocblas_internal_gemmt_kernelIiLi16ELi32ELi8ELc67ELc84ELc76ELb0ELb0EfPKfPKS1_PKPfEviT_T9_T10_S7_lS9_S7_lS8_T11_S7_li.uses_flat_scratch, 0
	.set _ZL29rocblas_internal_gemmt_kernelIiLi16ELi32ELi8ELc67ELc84ELc76ELb0ELb0EfPKfPKS1_PKPfEviT_T9_T10_S7_lS9_S7_lS8_T11_S7_li.has_dyn_sized_stack, 0
	.set _ZL29rocblas_internal_gemmt_kernelIiLi16ELi32ELi8ELc67ELc84ELc76ELb0ELb0EfPKfPKS1_PKPfEviT_T9_T10_S7_lS9_S7_lS8_T11_S7_li.has_recursion, 0
	.set _ZL29rocblas_internal_gemmt_kernelIiLi16ELi32ELi8ELc67ELc84ELc76ELb0ELb0EfPKfPKS1_PKPfEviT_T9_T10_S7_lS9_S7_lS8_T11_S7_li.has_indirect_call, 0
	.section	.AMDGPU.csdata,"",@progbits
; Kernel info:
; codeLenInByte = 1688
; TotalNumSgprs: 33
; NumVgprs: 56
; ScratchSize: 0
; MemoryBound: 0
; FloatMode: 240
; IeeeMode: 1
; LDSByteSize: 2048 bytes/workgroup (compile time only)
; SGPRBlocks: 0
; VGPRBlocks: 3
; NumSGPRsForWavesPerEU: 33
; NumVGPRsForWavesPerEU: 56
; NamedBarCnt: 0
; Occupancy: 16
; WaveLimiterHint : 1
; COMPUTE_PGM_RSRC2:SCRATCH_EN: 0
; COMPUTE_PGM_RSRC2:USER_SGPR: 2
; COMPUTE_PGM_RSRC2:TRAP_HANDLER: 0
; COMPUTE_PGM_RSRC2:TGID_X_EN: 1
; COMPUTE_PGM_RSRC2:TGID_Y_EN: 1
; COMPUTE_PGM_RSRC2:TGID_Z_EN: 1
; COMPUTE_PGM_RSRC2:TIDIG_COMP_CNT: 1
	.section	.text._ZL29rocblas_internal_gemmt_kernelIiLi16ELi32ELi8ELc67ELc67ELc76ELb0ELb0EfPKfPKS1_PKPfEviT_T9_T10_S7_lS9_S7_lS8_T11_S7_li,"axG",@progbits,_ZL29rocblas_internal_gemmt_kernelIiLi16ELi32ELi8ELc67ELc67ELc76ELb0ELb0EfPKfPKS1_PKPfEviT_T9_T10_S7_lS9_S7_lS8_T11_S7_li,comdat
	.globl	_ZL29rocblas_internal_gemmt_kernelIiLi16ELi32ELi8ELc67ELc67ELc76ELb0ELb0EfPKfPKS1_PKPfEviT_T9_T10_S7_lS9_S7_lS8_T11_S7_li ; -- Begin function _ZL29rocblas_internal_gemmt_kernelIiLi16ELi32ELi8ELc67ELc67ELc76ELb0ELb0EfPKfPKS1_PKPfEviT_T9_T10_S7_lS9_S7_lS8_T11_S7_li
	.p2align	8
	.type	_ZL29rocblas_internal_gemmt_kernelIiLi16ELi32ELi8ELc67ELc67ELc76ELb0ELb0EfPKfPKS1_PKPfEviT_T9_T10_S7_lS9_S7_lS8_T11_S7_li,@function
_ZL29rocblas_internal_gemmt_kernelIiLi16ELi32ELi8ELc67ELc67ELc76ELb0ELb0EfPKfPKS1_PKPfEviT_T9_T10_S7_lS9_S7_lS8_T11_S7_li: ; @_ZL29rocblas_internal_gemmt_kernelIiLi16ELi32ELi8ELc67ELc67ELc76ELb0ELb0EfPKfPKS1_PKPfEviT_T9_T10_S7_lS9_S7_lS8_T11_S7_li
; %bb.0:
	s_clause 0x1
	s_load_b128 s[12:15], s[0:1], 0x38
	s_load_b128 s[4:7], s[0:1], 0x8
	s_wait_kmcnt 0x0
	s_load_b32 s19, s[14:15], 0x0
	s_load_b64 s[20:21], s[0:1], 0x0
	s_load_b32 s26, s[4:5], 0x0
	s_wait_kmcnt 0x0
	s_cmp_neq_f32 s19, 1.0
	s_cselect_b32 s2, -1, 0
	s_delay_alu instid0(SALU_CYCLE_1)
	s_and_b32 vcc_lo, exec_lo, s2
	s_cbranch_vccnz .LBB305_2
; %bb.1:
	s_cmp_lg_u32 s21, 0
	s_cselect_b32 s2, -1, 0
	s_cmp_neq_f32 s26, 0
	s_cselect_b32 s3, -1, 0
	s_delay_alu instid0(SALU_CYCLE_1)
	s_and_b32 s2, s2, s3
.LBB305_2:
	s_delay_alu instid0(SALU_CYCLE_1)
	s_and_not1_b32 vcc_lo, exec_lo, s2
	s_cbranch_vccnz .LBB305_33
; %bb.3:
	s_load_b32 s27, s[0:1], 0x60
	s_bfe_u32 s2, ttmp6, 0x40014
	s_lshr_b32 s3, ttmp7, 16
	s_add_co_i32 s2, s2, 1
	s_bfe_u32 s5, ttmp6, 0x40008
	s_mul_i32 s2, s3, s2
	s_getreg_b32 s4, hwreg(HW_REG_IB_STS2, 6, 4)
	s_add_co_i32 s5, s5, s2
	s_cmp_eq_u32 s4, 0
	s_mov_b32 s15, 0
	s_cselect_b32 s14, s3, s5
	s_wait_kmcnt 0x0
	s_cmp_ge_u32 s14, s27
	s_cbranch_scc1 .LBB305_33
; %bb.4:
	s_clause 0x3
	s_load_b32 s2, s[0:1], 0x18
	s_load_b32 s22, s[0:1], 0x30
	s_load_b96 s[16:18], s[0:1], 0x48
	s_load_b128 s[8:11], s[0:1], 0x20
	v_and_b32_e32 v2, 0x3ff, v0
	v_bfe_u32 v11, v0, 10, 10
	s_load_b64 s[24:25], s[0:1], 0x58
	s_wait_xcnt 0x0
	s_bfe_u32 s1, ttmp6, 0x4000c
	s_bfe_u32 s3, ttmp6, 0x40010
	s_and_b32 s28, ttmp7, 0xffff
	s_add_co_i32 s1, s1, 1
	s_add_co_i32 s3, s3, 1
	v_lshl_add_u32 v1, v11, 4, v2
	s_and_b32 s0, ttmp6, 15
	s_mul_i32 s1, ttmp9, s1
	s_mul_i32 s29, s28, s3
	s_bfe_u32 s30, ttmp6, 0x40004
	s_add_co_i32 s0, s0, s1
	s_add_co_i32 s30, s30, s29
	v_dual_lshrrev_b32 v7, 3, v1 :: v_dual_bitop2_b32 v6, 31, v1 bitop3:0x40
	s_wait_kmcnt 0x0
	s_ashr_i32 s3, s2, 31
	s_ashr_i32 s23, s22, 31
	;; [unrolled: 1-line block ×3, first 2 shown]
	s_cmp_eq_u32 s4, 0
	v_dual_lshrrev_b32 v26, 5, v1 :: v_dual_bitop2_b32 v0, 7, v0 bitop3:0x40
	s_cselect_b32 s0, ttmp9, s0
	s_cselect_b32 s1, s28, s30
	s_lshl_b32 s28, s0, 5
	s_delay_alu instid0(SALU_CYCLE_1) | instskip(SKIP_2) | instid1(VALU_DEP_1)
	v_dual_mov_b32 v3, 0 :: v_dual_bitop2_b32 v4, s28, v6 bitop3:0x54
	s_lshl_b32 s0, s1, 5
	s_mov_b32 s4, s18
	v_dual_mov_b32 v1, v3 :: v_dual_add_nc_u32 v12, s0, v11
	s_delay_alu instid0(VALU_DEP_2) | instskip(SKIP_1) | instid1(VALU_DEP_3)
	v_dual_ashrrev_i32 v5, 31, v4 :: v_dual_add_nc_u32 v14, s0, v7
	v_cmp_gt_i32_e64 s0, s20, v4
	v_add_nc_u32_e32 v20, 16, v12
	s_delay_alu instid0(VALU_DEP_4) | instskip(NEXT) | instid1(VALU_DEP_4)
	v_mul_u64_e32 v[18:19], s[22:23], v[0:1]
	v_mul_u64_e32 v[16:17], s[2:3], v[4:5]
	v_dual_lshlrev_b32 v5, 2, v6 :: v_dual_lshlrev_b32 v6, 2, v0
	v_dual_add_nc_u32 v4, s28, v2 :: v_dual_ashrrev_i32 v13, 31, v12
	v_dual_ashrrev_i32 v15, 31, v14 :: v_dual_ashrrev_i32 v21, 31, v20
	v_lshlrev_b32_e32 v28, 2, v2
	s_delay_alu instid0(VALU_DEP_4)
	v_lshl_or_b32 v1, v26, 7, v5
	v_lshl_or_b32 v5, v7, 5, v6
	v_mul_u64_e32 v[6:7], s[4:5], v[12:13]
	v_mul_u64_e32 v[8:9], s[4:5], v[20:21]
	s_cmp_neq_f32 s26, 0
	v_add_nc_u32_e32 v10, 16, v4
	v_cmp_le_i32_e32 vcc_lo, v12, v4
	v_cmp_gt_i32_e64 s2, s20, v4
	s_cselect_b32 s29, -1, 0
	s_cmp_gt_i32 s21, 0
	v_cmp_gt_i32_e64 s1, s20, v14
	s_cselect_b32 s30, -1, 0
	s_cmp_neq_f32 s19, 0
	v_add_nc_u32_e32 v27, 0x400, v5
	v_ashrrev_i32_e32 v5, 31, v4
	v_cmp_le_i32_e64 s3, v12, v10
	s_cselect_b32 s18, -1, 0
	s_lshl_b64 s[8:9], s[8:9], 2
	v_cmp_gt_i32_e64 s4, s20, v10
	s_and_b32 s20, vcc_lo, s2
	v_cmp_le_i32_e32 vcc_lo, v20, v4
	v_lshlrev_b32_e32 v2, 2, v26
	v_lshl_add_u32 v29, v11, 5, 0x400
	v_ashrrev_i32_e32 v11, 31, v10
	v_lshl_add_u64 v[12:13], v[16:17], 2, s[8:9]
	s_lshl_b64 s[8:9], s[12:13], 2
	s_and_b32 s28, s3, s4
	v_lshl_add_u64 v[16:17], v[18:19], 2, s[8:9]
	s_and_b32 s8, vcc_lo, s2
	v_cmp_le_i32_e32 vcc_lo, v20, v10
	v_add_nc_u64_e32 v[12:13], v[12:13], v[2:3]
	s_and_b32 s9, s29, s30
	v_lshl_add_u64 v[14:15], v[14:15], 2, v[16:17]
	s_lshl_b64 s[2:3], s[22:23], 5
	s_and_b32 s12, vcc_lo, s4
	s_lshl_b64 s[4:5], s[24:25], 2
	s_branch .LBB305_6
.LBB305_5:                              ;   in Loop: Header=BB305_6 Depth=1
	s_wait_xcnt 0x0
	s_or_b32 exec_lo, exec_lo, s13
	s_add_co_i32 s14, s14, 0x10000
	s_delay_alu instid0(SALU_CYCLE_1)
	s_cmp_lt_u32 s14, s27
	s_cbranch_scc0 .LBB305_33
.LBB305_6:                              ; =>This Loop Header: Depth=1
                                        ;     Child Loop BB305_9 Depth 2
	v_dual_mov_b32 v2, s14 :: v_dual_mov_b32 v25, 0
	v_dual_mov_b32 v24, 0 :: v_dual_mov_b32 v17, 0
	v_mov_b32_e32 v16, 0
	global_load_b64 v[18:19], v2, s[16:17] scale_offset
	s_and_not1_b32 vcc_lo, exec_lo, s9
	s_cbranch_vccnz .LBB305_13
; %bb.7:                                ;   in Loop: Header=BB305_6 Depth=1
	s_lshl_b64 s[22:23], s[14:15], 3
	v_mov_b32_e32 v16, 0
	s_add_nc_u64 s[24:25], s[6:7], s[22:23]
	s_add_nc_u64 s[22:23], s[10:11], s[22:23]
	s_clause 0x1
	global_load_b64 v[20:21], v3, s[24:25]
	global_load_b64 v[22:23], v3, s[22:23]
	s_mov_b32 s13, 0
	v_dual_mov_b32 v17, v16 :: v_dual_mov_b32 v24, v16
	v_mov_b32_e32 v25, v16
	s_wait_loadcnt 0x1
	v_add_nc_u64_e32 v[20:21], v[20:21], v[12:13]
	s_wait_loadcnt 0x0
	v_add_nc_u64_e32 v[22:23], v[22:23], v[14:15]
	s_branch .LBB305_9
.LBB305_8:                              ;   in Loop: Header=BB305_9 Depth=2
	s_wait_xcnt 0x0
	s_or_b32 exec_lo, exec_lo, s22
	s_wait_loadcnt_dscnt 0x0
	ds_store_b32 v27, v30
	s_wait_dscnt 0x0
	s_barrier_signal -1
	s_barrier_wait -1
	ds_load_b128 v[30:33], v29
	ds_load_2addr_b32 v[46:47], v28 offset1:16
	ds_load_b128 v[34:37], v29 offset:512
	ds_load_2addr_b32 v[48:49], v28 offset0:32 offset1:48
	ds_load_2addr_b32 v[50:51], v28 offset0:64 offset1:80
	;; [unrolled: 1-line block ×3, first 2 shown]
	ds_load_b128 v[38:41], v29 offset:16
	ds_load_2addr_b32 v[54:55], v28 offset0:128 offset1:144
	ds_load_b128 v[42:45], v29 offset:528
	v_add_nc_u64_e32 v[20:21], 32, v[20:21]
	v_add_nc_u64_e32 v[22:23], s[2:3], v[22:23]
	s_add_co_i32 s13, s13, 8
	s_delay_alu instid0(SALU_CYCLE_1)
	s_cmp_lt_i32 s13, s21
	s_wait_dscnt 0x8
	v_mov_b32_e32 v2, v33
	s_wait_dscnt 0x7
	v_pk_fma_f32 v[24:25], v[46:47], v[30:31], v[24:25] op_sel_hi:[1,0,1]
	s_wait_dscnt 0x6
	v_pk_fma_f32 v[16:17], v[46:47], v[34:35], v[16:17] op_sel_hi:[1,0,1]
	ds_load_2addr_b32 v[46:47], v28 offset0:160 offset1:176
	s_wait_dscnt 0x6
	v_pk_fma_f32 v[24:25], v[48:49], v[30:31], v[24:25] op_sel:[0,1,0]
	v_pk_fma_f32 v[16:17], v[48:49], v[34:35], v[16:17] op_sel:[0,1,0]
	ds_load_2addr_b32 v[30:31], v28 offset0:192 offset1:208
	v_mov_b32_e32 v34, v37
	s_wait_dscnt 0x6
	v_pk_fma_f32 v[24:25], v[50:51], v[32:33], v[24:25] op_sel_hi:[1,0,1]
	v_pk_fma_f32 v[16:17], v[50:51], v[36:37], v[16:17] op_sel_hi:[1,0,1]
	ds_load_2addr_b32 v[32:33], v28 offset0:224 offset1:240
	s_wait_dscnt 0x0
	s_barrier_signal -1
	v_pk_fma_f32 v[24:25], v[52:53], v[2:3], v[24:25] op_sel_hi:[1,0,1]
	v_pk_fma_f32 v[16:17], v[52:53], v[34:35], v[16:17] op_sel_hi:[1,0,1]
	v_dual_mov_b32 v2, v41 :: v_dual_mov_b32 v34, v45
	s_barrier_wait -1
	s_delay_alu instid0(VALU_DEP_3) | instskip(NEXT) | instid1(VALU_DEP_3)
	v_pk_fma_f32 v[24:25], v[54:55], v[38:39], v[24:25] op_sel_hi:[1,0,1]
	v_pk_fma_f32 v[16:17], v[54:55], v[42:43], v[16:17] op_sel_hi:[1,0,1]
	s_delay_alu instid0(VALU_DEP_2) | instskip(NEXT) | instid1(VALU_DEP_2)
	v_pk_fma_f32 v[24:25], v[46:47], v[38:39], v[24:25] op_sel:[0,1,0]
	v_pk_fma_f32 v[16:17], v[46:47], v[42:43], v[16:17] op_sel:[0,1,0]
	s_delay_alu instid0(VALU_DEP_2) | instskip(NEXT) | instid1(VALU_DEP_2)
	v_pk_fma_f32 v[24:25], v[30:31], v[40:41], v[24:25] op_sel_hi:[1,0,1]
	v_pk_fma_f32 v[16:17], v[30:31], v[44:45], v[16:17] op_sel_hi:[1,0,1]
	s_delay_alu instid0(VALU_DEP_2) | instskip(NEXT) | instid1(VALU_DEP_2)
	v_pk_fma_f32 v[24:25], v[32:33], v[2:3], v[24:25] op_sel_hi:[1,0,1]
	v_pk_fma_f32 v[16:17], v[32:33], v[34:35], v[16:17] op_sel_hi:[1,0,1]
	s_cbranch_scc0 .LBB305_13
.LBB305_9:                              ;   Parent Loop BB305_6 Depth=1
                                        ; =>  This Inner Loop Header: Depth=2
	s_wait_xcnt 0x2
	v_add_nc_u32_e32 v2, s13, v26
	s_delay_alu instid0(VALU_DEP_1) | instskip(SKIP_3) | instid1(SALU_CYCLE_1)
	v_cmp_gt_i32_e32 vcc_lo, s21, v2
	v_mov_b32_e32 v2, 0
	s_wait_xcnt 0x0
	s_and_b32 s23, s0, vcc_lo
	s_and_saveexec_b32 s22, s23
	s_cbranch_execz .LBB305_11
; %bb.10:                               ;   in Loop: Header=BB305_9 Depth=2
	flat_load_b32 v2, v[20:21]
.LBB305_11:                             ;   in Loop: Header=BB305_9 Depth=2
	s_wait_xcnt 0x0
	s_or_b32 exec_lo, exec_lo, s22
	v_add_nc_u32_e32 v30, s13, v0
	s_wait_loadcnt_dscnt 0x0
	ds_store_b32 v1, v2
	v_cmp_gt_i32_e32 vcc_lo, s21, v30
	v_mov_b32_e32 v30, 0
	s_and_b32 s23, vcc_lo, s1
	s_delay_alu instid0(SALU_CYCLE_1)
	s_and_saveexec_b32 s22, s23
	s_cbranch_execz .LBB305_8
; %bb.12:                               ;   in Loop: Header=BB305_9 Depth=2
	flat_load_b32 v30, v[22:23]
	s_branch .LBB305_8
.LBB305_13:                             ;   in Loop: Header=BB305_6 Depth=1
	s_wait_loadcnt 0x0
	v_add_nc_u64_e32 v[18:19], s[4:5], v[18:19]
	s_delay_alu instid0(VALU_DEP_1)
	v_lshl_add_u64 v[20:21], v[6:7], 2, v[18:19]
	s_wait_xcnt 0x0
	s_and_saveexec_b32 s13, s20
	s_cbranch_execz .LBB305_17
; %bb.14:                               ;   in Loop: Header=BB305_6 Depth=1
	v_mul_f32_e32 v2, s26, v24
	v_lshl_add_u64 v[22:23], v[4:5], 2, v[20:21]
	s_and_b32 vcc_lo, exec_lo, s18
	s_cbranch_vccz .LBB305_28
; %bb.15:                               ;   in Loop: Header=BB305_6 Depth=1
	flat_load_b32 v24, v[22:23]
	s_wait_loadcnt_dscnt 0x0
	v_fma_f32 v24, s19, v24, v2
	flat_store_b32 v[22:23], v24
	s_cbranch_execnz .LBB305_17
.LBB305_16:                             ;   in Loop: Header=BB305_6 Depth=1
	flat_store_b32 v[22:23], v2
.LBB305_17:                             ;   in Loop: Header=BB305_6 Depth=1
	s_wait_xcnt 0x0
	s_or_b32 exec_lo, exec_lo, s13
	s_and_saveexec_b32 s13, s28
	s_cbranch_execz .LBB305_21
; %bb.18:                               ;   in Loop: Header=BB305_6 Depth=1
	v_mul_f32_e32 v2, s26, v25
	v_lshl_add_u64 v[20:21], v[10:11], 2, v[20:21]
	s_and_not1_b32 vcc_lo, exec_lo, s18
	s_cbranch_vccnz .LBB305_29
; %bb.19:                               ;   in Loop: Header=BB305_6 Depth=1
	flat_load_b32 v22, v[20:21]
	s_wait_loadcnt_dscnt 0x0
	v_fma_f32 v22, s19, v22, v2
	flat_store_b32 v[20:21], v22
	s_cbranch_execnz .LBB305_21
.LBB305_20:                             ;   in Loop: Header=BB305_6 Depth=1
	flat_store_b32 v[20:21], v2
.LBB305_21:                             ;   in Loop: Header=BB305_6 Depth=1
	s_wait_xcnt 0x0
	s_or_b32 exec_lo, exec_lo, s13
	v_lshl_add_u64 v[18:19], v[8:9], 2, v[18:19]
	s_and_saveexec_b32 s13, s8
	s_cbranch_execz .LBB305_25
; %bb.22:                               ;   in Loop: Header=BB305_6 Depth=1
	v_mul_f32_e32 v2, s26, v16
	s_delay_alu instid0(VALU_DEP_2)
	v_lshl_add_u64 v[20:21], v[4:5], 2, v[18:19]
	s_and_not1_b32 vcc_lo, exec_lo, s18
	s_cbranch_vccnz .LBB305_30
; %bb.23:                               ;   in Loop: Header=BB305_6 Depth=1
	flat_load_b32 v16, v[20:21]
	s_wait_loadcnt_dscnt 0x0
	v_fma_f32 v16, s19, v16, v2
	flat_store_b32 v[20:21], v16
	s_cbranch_execnz .LBB305_25
.LBB305_24:                             ;   in Loop: Header=BB305_6 Depth=1
	flat_store_b32 v[20:21], v2
.LBB305_25:                             ;   in Loop: Header=BB305_6 Depth=1
	s_wait_xcnt 0x0
	s_or_b32 exec_lo, exec_lo, s13
	s_and_saveexec_b32 s13, s12
	s_cbranch_execz .LBB305_5
; %bb.26:                               ;   in Loop: Header=BB305_6 Depth=1
	v_mul_f32_e32 v2, s26, v17
	v_lshl_add_u64 v[16:17], v[10:11], 2, v[18:19]
	s_and_not1_b32 vcc_lo, exec_lo, s18
	s_cbranch_vccnz .LBB305_31
; %bb.27:                               ;   in Loop: Header=BB305_6 Depth=1
	flat_load_b32 v18, v[16:17]
	s_wait_loadcnt_dscnt 0x0
	v_fma_f32 v18, s19, v18, v2
	flat_store_b32 v[16:17], v18
	s_cbranch_execnz .LBB305_5
	s_branch .LBB305_32
.LBB305_28:                             ;   in Loop: Header=BB305_6 Depth=1
	s_branch .LBB305_16
.LBB305_29:                             ;   in Loop: Header=BB305_6 Depth=1
	s_branch .LBB305_20
.LBB305_30:                             ;   in Loop: Header=BB305_6 Depth=1
	s_branch .LBB305_24
.LBB305_31:                             ;   in Loop: Header=BB305_6 Depth=1
.LBB305_32:                             ;   in Loop: Header=BB305_6 Depth=1
	flat_store_b32 v[16:17], v2
	s_branch .LBB305_5
.LBB305_33:
	s_endpgm
	.section	.rodata,"a",@progbits
	.p2align	6, 0x0
	.amdhsa_kernel _ZL29rocblas_internal_gemmt_kernelIiLi16ELi32ELi8ELc67ELc67ELc76ELb0ELb0EfPKfPKS1_PKPfEviT_T9_T10_S7_lS9_S7_lS8_T11_S7_li
		.amdhsa_group_segment_fixed_size 2048
		.amdhsa_private_segment_fixed_size 0
		.amdhsa_kernarg_size 100
		.amdhsa_user_sgpr_count 2
		.amdhsa_user_sgpr_dispatch_ptr 0
		.amdhsa_user_sgpr_queue_ptr 0
		.amdhsa_user_sgpr_kernarg_segment_ptr 1
		.amdhsa_user_sgpr_dispatch_id 0
		.amdhsa_user_sgpr_kernarg_preload_length 0
		.amdhsa_user_sgpr_kernarg_preload_offset 0
		.amdhsa_user_sgpr_private_segment_size 0
		.amdhsa_wavefront_size32 1
		.amdhsa_uses_dynamic_stack 0
		.amdhsa_enable_private_segment 0
		.amdhsa_system_sgpr_workgroup_id_x 1
		.amdhsa_system_sgpr_workgroup_id_y 1
		.amdhsa_system_sgpr_workgroup_id_z 1
		.amdhsa_system_sgpr_workgroup_info 0
		.amdhsa_system_vgpr_workitem_id 1
		.amdhsa_next_free_vgpr 56
		.amdhsa_next_free_sgpr 31
		.amdhsa_named_barrier_count 0
		.amdhsa_reserve_vcc 1
		.amdhsa_float_round_mode_32 0
		.amdhsa_float_round_mode_16_64 0
		.amdhsa_float_denorm_mode_32 3
		.amdhsa_float_denorm_mode_16_64 3
		.amdhsa_fp16_overflow 0
		.amdhsa_memory_ordered 1
		.amdhsa_forward_progress 1
		.amdhsa_inst_pref_size 14
		.amdhsa_round_robin_scheduling 0
		.amdhsa_exception_fp_ieee_invalid_op 0
		.amdhsa_exception_fp_denorm_src 0
		.amdhsa_exception_fp_ieee_div_zero 0
		.amdhsa_exception_fp_ieee_overflow 0
		.amdhsa_exception_fp_ieee_underflow 0
		.amdhsa_exception_fp_ieee_inexact 0
		.amdhsa_exception_int_div_zero 0
	.end_amdhsa_kernel
	.section	.text._ZL29rocblas_internal_gemmt_kernelIiLi16ELi32ELi8ELc67ELc67ELc76ELb0ELb0EfPKfPKS1_PKPfEviT_T9_T10_S7_lS9_S7_lS8_T11_S7_li,"axG",@progbits,_ZL29rocblas_internal_gemmt_kernelIiLi16ELi32ELi8ELc67ELc67ELc76ELb0ELb0EfPKfPKS1_PKPfEviT_T9_T10_S7_lS9_S7_lS8_T11_S7_li,comdat
.Lfunc_end305:
	.size	_ZL29rocblas_internal_gemmt_kernelIiLi16ELi32ELi8ELc67ELc67ELc76ELb0ELb0EfPKfPKS1_PKPfEviT_T9_T10_S7_lS9_S7_lS8_T11_S7_li, .Lfunc_end305-_ZL29rocblas_internal_gemmt_kernelIiLi16ELi32ELi8ELc67ELc67ELc76ELb0ELb0EfPKfPKS1_PKPfEviT_T9_T10_S7_lS9_S7_lS8_T11_S7_li
                                        ; -- End function
	.set _ZL29rocblas_internal_gemmt_kernelIiLi16ELi32ELi8ELc67ELc67ELc76ELb0ELb0EfPKfPKS1_PKPfEviT_T9_T10_S7_lS9_S7_lS8_T11_S7_li.num_vgpr, 56
	.set _ZL29rocblas_internal_gemmt_kernelIiLi16ELi32ELi8ELc67ELc67ELc76ELb0ELb0EfPKfPKS1_PKPfEviT_T9_T10_S7_lS9_S7_lS8_T11_S7_li.num_agpr, 0
	.set _ZL29rocblas_internal_gemmt_kernelIiLi16ELi32ELi8ELc67ELc67ELc76ELb0ELb0EfPKfPKS1_PKPfEviT_T9_T10_S7_lS9_S7_lS8_T11_S7_li.numbered_sgpr, 31
	.set _ZL29rocblas_internal_gemmt_kernelIiLi16ELi32ELi8ELc67ELc67ELc76ELb0ELb0EfPKfPKS1_PKPfEviT_T9_T10_S7_lS9_S7_lS8_T11_S7_li.num_named_barrier, 0
	.set _ZL29rocblas_internal_gemmt_kernelIiLi16ELi32ELi8ELc67ELc67ELc76ELb0ELb0EfPKfPKS1_PKPfEviT_T9_T10_S7_lS9_S7_lS8_T11_S7_li.private_seg_size, 0
	.set _ZL29rocblas_internal_gemmt_kernelIiLi16ELi32ELi8ELc67ELc67ELc76ELb0ELb0EfPKfPKS1_PKPfEviT_T9_T10_S7_lS9_S7_lS8_T11_S7_li.uses_vcc, 1
	.set _ZL29rocblas_internal_gemmt_kernelIiLi16ELi32ELi8ELc67ELc67ELc76ELb0ELb0EfPKfPKS1_PKPfEviT_T9_T10_S7_lS9_S7_lS8_T11_S7_li.uses_flat_scratch, 0
	.set _ZL29rocblas_internal_gemmt_kernelIiLi16ELi32ELi8ELc67ELc67ELc76ELb0ELb0EfPKfPKS1_PKPfEviT_T9_T10_S7_lS9_S7_lS8_T11_S7_li.has_dyn_sized_stack, 0
	.set _ZL29rocblas_internal_gemmt_kernelIiLi16ELi32ELi8ELc67ELc67ELc76ELb0ELb0EfPKfPKS1_PKPfEviT_T9_T10_S7_lS9_S7_lS8_T11_S7_li.has_recursion, 0
	.set _ZL29rocblas_internal_gemmt_kernelIiLi16ELi32ELi8ELc67ELc67ELc76ELb0ELb0EfPKfPKS1_PKPfEviT_T9_T10_S7_lS9_S7_lS8_T11_S7_li.has_indirect_call, 0
	.section	.AMDGPU.csdata,"",@progbits
; Kernel info:
; codeLenInByte = 1688
; TotalNumSgprs: 33
; NumVgprs: 56
; ScratchSize: 0
; MemoryBound: 0
; FloatMode: 240
; IeeeMode: 1
; LDSByteSize: 2048 bytes/workgroup (compile time only)
; SGPRBlocks: 0
; VGPRBlocks: 3
; NumSGPRsForWavesPerEU: 33
; NumVGPRsForWavesPerEU: 56
; NamedBarCnt: 0
; Occupancy: 16
; WaveLimiterHint : 1
; COMPUTE_PGM_RSRC2:SCRATCH_EN: 0
; COMPUTE_PGM_RSRC2:USER_SGPR: 2
; COMPUTE_PGM_RSRC2:TRAP_HANDLER: 0
; COMPUTE_PGM_RSRC2:TGID_X_EN: 1
; COMPUTE_PGM_RSRC2:TGID_Y_EN: 1
; COMPUTE_PGM_RSRC2:TGID_Z_EN: 1
; COMPUTE_PGM_RSRC2:TIDIG_COMP_CNT: 1
	.section	.text._ZL29rocblas_internal_gemmt_kernelIiLi16ELi32ELi8ELc78ELc78ELc85ELb0ELb0EffPKPKfPKPfEviT_T9_T10_S7_lS9_S7_lS8_T11_S7_li,"axG",@progbits,_ZL29rocblas_internal_gemmt_kernelIiLi16ELi32ELi8ELc78ELc78ELc85ELb0ELb0EffPKPKfPKPfEviT_T9_T10_S7_lS9_S7_lS8_T11_S7_li,comdat
	.globl	_ZL29rocblas_internal_gemmt_kernelIiLi16ELi32ELi8ELc78ELc78ELc85ELb0ELb0EffPKPKfPKPfEviT_T9_T10_S7_lS9_S7_lS8_T11_S7_li ; -- Begin function _ZL29rocblas_internal_gemmt_kernelIiLi16ELi32ELi8ELc78ELc78ELc85ELb0ELb0EffPKPKfPKPfEviT_T9_T10_S7_lS9_S7_lS8_T11_S7_li
	.p2align	8
	.type	_ZL29rocblas_internal_gemmt_kernelIiLi16ELi32ELi8ELc78ELc78ELc85ELb0ELb0EffPKPKfPKPfEviT_T9_T10_S7_lS9_S7_lS8_T11_S7_li,@function
_ZL29rocblas_internal_gemmt_kernelIiLi16ELi32ELi8ELc78ELc78ELc85ELb0ELb0EffPKPKfPKPfEviT_T9_T10_S7_lS9_S7_lS8_T11_S7_li: ; @_ZL29rocblas_internal_gemmt_kernelIiLi16ELi32ELi8ELc78ELc78ELc85ELb0ELb0EffPKPKfPKPfEviT_T9_T10_S7_lS9_S7_lS8_T11_S7_li
; %bb.0:
	s_clause 0x1
	s_load_b32 s11, s[0:1], 0x40
	s_load_b96 s[8:10], s[0:1], 0x0
	s_wait_kmcnt 0x0
	s_cmp_neq_f32 s11, 1.0
	s_cselect_b32 s2, -1, 0
	s_delay_alu instid0(SALU_CYCLE_1)
	s_and_b32 vcc_lo, exec_lo, s2
	s_cbranch_vccnz .LBB306_2
; %bb.1:
	s_cmp_lg_u32 s9, 0
	s_cselect_b32 s2, -1, 0
	s_cmp_neq_f32 s10, 0
	s_cselect_b32 s3, -1, 0
	s_delay_alu instid0(SALU_CYCLE_1)
	s_and_b32 s2, s2, s3
.LBB306_2:
	s_delay_alu instid0(SALU_CYCLE_1)
	s_and_not1_b32 vcc_lo, exec_lo, s2
	s_cbranch_vccnz .LBB306_33
; %bb.3:
	s_load_b32 s19, s[0:1], 0x60
	s_bfe_u32 s2, ttmp6, 0x40014
	s_lshr_b32 s3, ttmp7, 16
	s_add_co_i32 s2, s2, 1
	s_bfe_u32 s4, ttmp6, 0x40008
	s_mul_i32 s2, s3, s2
	s_getreg_b32 s26, hwreg(HW_REG_IB_STS2, 6, 4)
	s_add_co_i32 s4, s4, s2
	s_cmp_eq_u32 s26, 0
	s_mov_b32 s21, 0
	s_cselect_b32 s20, s3, s4
	s_wait_kmcnt 0x0
	s_cmp_ge_u32 s20, s19
	s_cbranch_scc1 .LBB306_33
; %bb.4:
	s_clause 0x2
	s_load_b96 s[12:14], s[0:1], 0x10
	s_load_b32 s2, s[0:1], 0x30
	s_load_b96 s[16:18], s[0:1], 0x48
	v_and_b32_e32 v3, 0x3ff, v0
	v_bfe_u32 v9, v0, 10, 10
	s_clause 0x2
	s_load_b128 s[4:7], s[0:1], 0x20
	s_load_b64 s[22:23], s[0:1], 0x38
	s_load_b64 s[24:25], s[0:1], 0x58
	s_wait_xcnt 0x0
	s_bfe_u32 s1, ttmp6, 0x4000c
	s_bfe_u32 s29, ttmp6, 0x40010
	s_and_b32 s28, ttmp7, 0xffff
	s_add_co_i32 s1, s1, 1
	s_add_co_i32 s29, s29, 1
	v_lshl_add_u32 v1, v9, 4, v3
	s_and_b32 s0, ttmp6, 15
	s_mul_i32 s1, ttmp9, s1
	s_mul_i32 s29, s28, s29
	s_bfe_u32 s30, ttmp6, 0x40004
	s_add_co_i32 s0, s0, s1
	s_add_co_i32 s30, s30, s29
	v_dual_lshrrev_b32 v2, 3, v1 :: v_dual_bitop2_b32 v6, 31, v1 bitop3:0x40
	s_wait_kmcnt 0x0
	s_ashr_i32 s15, s14, 31
	s_ashr_i32 s3, s2, 31
	;; [unrolled: 1-line block ×3, first 2 shown]
	s_cmp_eq_u32 s26, 0
	v_dual_lshrrev_b32 v0, 5, v1 :: v_dual_bitop2_b32 v24, 7, v0 bitop3:0x40
	s_cselect_b32 s1, s28, s30
	s_cselect_b32 s0, ttmp9, s0
	s_lshl_b32 s1, s1, 5
	s_lshl_b32 s28, s0, 5
	v_dual_mov_b32 v1, 0 :: v_dual_add_nc_u32 v4, s1, v2
	v_dual_add_nc_u32 v14, s1, v9 :: v_dual_bitop2_b32 v10, s28, v6 bitop3:0x54
	s_mov_b32 s26, s18
	s_delay_alu instid0(VALU_DEP_2) | instskip(NEXT) | instid1(VALU_DEP_3)
	v_ashrrev_i32_e32 v5, 31, v4
	v_mul_u64_e32 v[12:13], s[14:15], v[0:1]
	v_cmp_gt_i32_e64 s1, s8, v4
	s_cmp_neq_f32 s10, 0
	v_lshlrev_b32_e32 v20, 2, v24
	v_mul_u64_e32 v[16:17], s[2:3], v[4:5]
	v_lshlrev_b32_e32 v5, 2, v6
	v_dual_add_nc_u32 v18, 16, v14 :: v_dual_ashrrev_i32 v15, 31, v14
	s_delay_alu instid0(VALU_DEP_4) | instskip(SKIP_1) | instid1(VALU_DEP_4)
	v_lshl_or_b32 v8, v2, 5, v20
	v_add_nc_u32_e32 v2, s28, v3
	v_lshl_or_b32 v25, v0, 7, v5
	s_delay_alu instid0(VALU_DEP_4) | instskip(SKIP_3) | instid1(VALU_DEP_2)
	v_dual_ashrrev_i32 v19, 31, v18 :: v_dual_lshlrev_b32 v27, 2, v3
	v_mul_u64_e32 v[4:5], s[26:27], v[14:15]
	s_cselect_b32 s29, -1, 0
	s_cmp_gt_i32 s9, 0
	v_mul_u64_e32 v[6:7], s[26:27], v[18:19]
	v_dual_mov_b32 v21, v1 :: v_dual_add_nc_u32 v26, 0x400, v8
	v_dual_add_nc_u32 v8, 16, v2 :: v_dual_ashrrev_i32 v3, 31, v2
	s_cselect_b32 s30, -1, 0
	s_cmp_neq_f32 s11, 0
	v_cmp_gt_i32_e32 vcc_lo, s8, v14
	v_cmp_le_i32_e64 s2, v2, v14
	v_cmp_le_i32_e64 s3, v8, v14
	s_cselect_b32 s18, -1, 0
	s_lshl_b64 s[4:5], s[4:5], 2
	v_ashrrev_i32_e32 v11, 31, v10
	s_and_b32 s26, vcc_lo, s2
	s_and_b32 s27, vcc_lo, s3
	v_cmp_gt_i32_e32 vcc_lo, s8, v18
	v_lshl_add_u64 v[12:13], v[12:13], 2, s[4:5]
	s_lshl_b64 s[4:5], s[22:23], 2
	v_cmp_le_i32_e64 s2, v2, v18
	v_cmp_gt_i32_e64 s0, s8, v10
	v_lshl_add_u64 v[14:15], v[16:17], 2, s[4:5]
	v_lshl_add_u32 v28, v9, 5, 0x400
	v_ashrrev_i32_e32 v9, 31, v8
	s_and_b32 s8, vcc_lo, s2
	v_cmp_le_i32_e64 s2, v8, v18
	v_lshl_add_u64 v[10:11], v[10:11], 2, v[12:13]
	v_add_nc_u64_e32 v[12:13], v[14:15], v[20:21]
	s_and_b32 s22, s29, s30
	s_lshl_b64 s[4:5], s[24:25], 2
	s_and_b32 s23, vcc_lo, s2
	s_lshl_b64 s[2:3], s[14:15], 5
	s_branch .LBB306_6
.LBB306_5:                              ;   in Loop: Header=BB306_6 Depth=1
	s_wait_xcnt 0x0
	s_or_b32 exec_lo, exec_lo, s14
	s_add_co_i32 s20, s20, 0x10000
	s_delay_alu instid0(SALU_CYCLE_1)
	s_cmp_lt_u32 s20, s19
	s_cbranch_scc0 .LBB306_33
.LBB306_6:                              ; =>This Loop Header: Depth=1
                                        ;     Child Loop BB306_9 Depth 2
	v_dual_mov_b32 v14, s20 :: v_dual_mov_b32 v23, 0
	v_dual_mov_b32 v22, 0 :: v_dual_mov_b32 v15, 0
	s_and_not1_b32 vcc_lo, exec_lo, s22
	global_load_b64 v[16:17], v14, s[16:17] scale_offset
	s_wait_xcnt 0x0
	v_mov_b32_e32 v14, 0
	s_cbranch_vccnz .LBB306_13
; %bb.7:                                ;   in Loop: Header=BB306_6 Depth=1
	s_lshl_b64 s[14:15], s[20:21], 3
	v_mov_b32_e32 v14, 0
	s_add_nc_u64 s[24:25], s[12:13], s[14:15]
	s_add_nc_u64 s[14:15], s[6:7], s[14:15]
	s_clause 0x1
	global_load_b64 v[18:19], v1, s[24:25]
	global_load_b64 v[20:21], v1, s[14:15]
	s_wait_xcnt 0x0
	s_mov_b32 s14, 0
	v_dual_mov_b32 v15, v14 :: v_dual_mov_b32 v22, v14
	v_mov_b32_e32 v23, v14
	s_wait_loadcnt 0x1
	v_add_nc_u64_e32 v[18:19], v[18:19], v[10:11]
	s_wait_loadcnt 0x0
	v_add_nc_u64_e32 v[20:21], v[20:21], v[12:13]
	s_branch .LBB306_9
.LBB306_8:                              ;   in Loop: Header=BB306_9 Depth=2
	s_wait_xcnt 0x0
	s_or_b32 exec_lo, exec_lo, s15
	s_wait_loadcnt_dscnt 0x0
	ds_store_b32 v26, v30
	s_wait_dscnt 0x0
	s_barrier_signal -1
	s_barrier_wait -1
	ds_load_b128 v[30:33], v28
	ds_load_2addr_b32 v[46:47], v27 offset1:16
	ds_load_b128 v[34:37], v28 offset:512
	ds_load_2addr_b32 v[48:49], v27 offset0:32 offset1:48
	ds_load_2addr_b32 v[50:51], v27 offset0:64 offset1:80
	;; [unrolled: 1-line block ×3, first 2 shown]
	ds_load_b128 v[38:41], v28 offset:16
	ds_load_2addr_b32 v[54:55], v27 offset0:128 offset1:144
	ds_load_b128 v[42:45], v28 offset:528
	v_add_nc_u64_e32 v[18:19], s[2:3], v[18:19]
	v_add_nc_u64_e32 v[20:21], 32, v[20:21]
	s_add_co_i32 s14, s14, 8
	s_delay_alu instid0(SALU_CYCLE_1)
	s_cmp_lt_i32 s14, s9
	s_wait_dscnt 0x7
	v_pk_fma_f32 v[22:23], v[46:47], v[30:31], v[22:23] op_sel_hi:[1,0,1]
	s_wait_dscnt 0x6
	v_pk_fma_f32 v[14:15], v[46:47], v[34:35], v[14:15] op_sel_hi:[1,0,1]
	ds_load_2addr_b32 v[46:47], v27 offset0:160 offset1:176
	s_wait_dscnt 0x6
	v_pk_fma_f32 v[22:23], v[48:49], v[30:31], v[22:23] op_sel:[0,1,0]
	v_pk_fma_f32 v[14:15], v[48:49], v[34:35], v[14:15] op_sel:[0,1,0]
	ds_load_2addr_b32 v[30:31], v27 offset0:192 offset1:208
	v_dual_mov_b32 v34, v33 :: v_dual_mov_b32 v48, v37
	s_wait_dscnt 0x6
	v_pk_fma_f32 v[22:23], v[50:51], v[32:33], v[22:23] op_sel_hi:[1,0,1]
	v_pk_fma_f32 v[14:15], v[50:51], v[36:37], v[14:15] op_sel_hi:[1,0,1]
	ds_load_2addr_b32 v[32:33], v27 offset0:224 offset1:240
	s_wait_dscnt 0x3
	v_mov_b32_e32 v36, v45
	s_wait_dscnt 0x0
	v_pk_fma_f32 v[22:23], v[52:53], v[34:35], v[22:23] op_sel_hi:[1,0,1]
	v_pk_fma_f32 v[14:15], v[52:53], v[48:49], v[14:15] op_sel_hi:[1,0,1]
	v_mov_b32_e32 v34, v41
	s_barrier_signal -1
	s_barrier_wait -1
	v_pk_fma_f32 v[22:23], v[54:55], v[38:39], v[22:23] op_sel_hi:[1,0,1]
	v_pk_fma_f32 v[14:15], v[54:55], v[42:43], v[14:15] op_sel_hi:[1,0,1]
	s_delay_alu instid0(VALU_DEP_2) | instskip(NEXT) | instid1(VALU_DEP_2)
	v_pk_fma_f32 v[22:23], v[46:47], v[38:39], v[22:23] op_sel:[0,1,0]
	v_pk_fma_f32 v[14:15], v[46:47], v[42:43], v[14:15] op_sel:[0,1,0]
	s_delay_alu instid0(VALU_DEP_2) | instskip(NEXT) | instid1(VALU_DEP_2)
	v_pk_fma_f32 v[22:23], v[30:31], v[40:41], v[22:23] op_sel_hi:[1,0,1]
	v_pk_fma_f32 v[14:15], v[30:31], v[44:45], v[14:15] op_sel_hi:[1,0,1]
	s_delay_alu instid0(VALU_DEP_2) | instskip(NEXT) | instid1(VALU_DEP_2)
	v_pk_fma_f32 v[22:23], v[32:33], v[34:35], v[22:23] op_sel_hi:[1,0,1]
	v_pk_fma_f32 v[14:15], v[32:33], v[36:37], v[14:15] op_sel_hi:[1,0,1]
	s_cbranch_scc0 .LBB306_13
.LBB306_9:                              ;   Parent Loop BB306_6 Depth=1
                                        ; =>  This Inner Loop Header: Depth=2
	v_add_nc_u32_e32 v29, s14, v0
	s_delay_alu instid0(VALU_DEP_1) | instskip(SKIP_2) | instid1(SALU_CYCLE_1)
	v_cmp_gt_i32_e32 vcc_lo, s9, v29
	v_mov_b32_e32 v29, 0
	s_and_b32 s24, s0, vcc_lo
	s_and_saveexec_b32 s15, s24
	s_cbranch_execz .LBB306_11
; %bb.10:                               ;   in Loop: Header=BB306_9 Depth=2
	flat_load_b32 v29, v[18:19]
.LBB306_11:                             ;   in Loop: Header=BB306_9 Depth=2
	s_wait_xcnt 0x0
	s_or_b32 exec_lo, exec_lo, s15
	v_add_nc_u32_e32 v30, s14, v24
	s_wait_loadcnt_dscnt 0x0
	ds_store_b32 v25, v29
	v_cmp_gt_i32_e32 vcc_lo, s9, v30
	v_mov_b32_e32 v30, 0
	s_and_b32 s24, vcc_lo, s1
	s_delay_alu instid0(SALU_CYCLE_1)
	s_and_saveexec_b32 s15, s24
	s_cbranch_execz .LBB306_8
; %bb.12:                               ;   in Loop: Header=BB306_9 Depth=2
	flat_load_b32 v30, v[20:21]
	s_branch .LBB306_8
.LBB306_13:                             ;   in Loop: Header=BB306_6 Depth=1
	s_wait_loadcnt 0x0
	v_add_nc_u64_e32 v[16:17], s[4:5], v[16:17]
	s_delay_alu instid0(VALU_DEP_1)
	v_lshl_add_u64 v[18:19], v[4:5], 2, v[16:17]
	s_and_saveexec_b32 s14, s26
	s_cbranch_execz .LBB306_17
; %bb.14:                               ;   in Loop: Header=BB306_6 Depth=1
	v_mul_f32_e32 v22, s10, v22
	s_delay_alu instid0(VALU_DEP_2)
	v_lshl_add_u64 v[20:21], v[2:3], 2, v[18:19]
	s_and_b32 vcc_lo, exec_lo, s18
	s_cbranch_vccz .LBB306_28
; %bb.15:                               ;   in Loop: Header=BB306_6 Depth=1
	flat_load_b32 v29, v[20:21]
	s_wait_loadcnt_dscnt 0x0
	v_fma_f32 v29, s11, v29, v22
	flat_store_b32 v[20:21], v29
	s_cbranch_execnz .LBB306_17
.LBB306_16:                             ;   in Loop: Header=BB306_6 Depth=1
	flat_store_b32 v[20:21], v22
.LBB306_17:                             ;   in Loop: Header=BB306_6 Depth=1
	s_wait_xcnt 0x0
	s_or_b32 exec_lo, exec_lo, s14
	s_and_saveexec_b32 s14, s27
	s_cbranch_execz .LBB306_21
; %bb.18:                               ;   in Loop: Header=BB306_6 Depth=1
	v_mul_f32_e32 v20, s10, v23
	v_lshl_add_u64 v[18:19], v[8:9], 2, v[18:19]
	s_and_not1_b32 vcc_lo, exec_lo, s18
	s_cbranch_vccnz .LBB306_29
; %bb.19:                               ;   in Loop: Header=BB306_6 Depth=1
	flat_load_b32 v21, v[18:19]
	s_wait_loadcnt_dscnt 0x0
	v_fma_f32 v21, s11, v21, v20
	flat_store_b32 v[18:19], v21
	s_cbranch_execnz .LBB306_21
.LBB306_20:                             ;   in Loop: Header=BB306_6 Depth=1
	flat_store_b32 v[18:19], v20
.LBB306_21:                             ;   in Loop: Header=BB306_6 Depth=1
	s_wait_xcnt 0x0
	s_or_b32 exec_lo, exec_lo, s14
	v_lshl_add_u64 v[16:17], v[6:7], 2, v[16:17]
	s_and_saveexec_b32 s14, s8
	s_cbranch_execz .LBB306_25
; %bb.22:                               ;   in Loop: Header=BB306_6 Depth=1
	v_mul_f32_e32 v14, s10, v14
	s_delay_alu instid0(VALU_DEP_2)
	v_lshl_add_u64 v[18:19], v[2:3], 2, v[16:17]
	s_and_not1_b32 vcc_lo, exec_lo, s18
	s_cbranch_vccnz .LBB306_30
; %bb.23:                               ;   in Loop: Header=BB306_6 Depth=1
	flat_load_b32 v20, v[18:19]
	s_wait_loadcnt_dscnt 0x0
	v_fma_f32 v20, s11, v20, v14
	flat_store_b32 v[18:19], v20
	s_cbranch_execnz .LBB306_25
.LBB306_24:                             ;   in Loop: Header=BB306_6 Depth=1
	flat_store_b32 v[18:19], v14
.LBB306_25:                             ;   in Loop: Header=BB306_6 Depth=1
	s_wait_xcnt 0x0
	s_or_b32 exec_lo, exec_lo, s14
	s_and_saveexec_b32 s14, s23
	s_cbranch_execz .LBB306_5
; %bb.26:                               ;   in Loop: Header=BB306_6 Depth=1
	v_mul_f32_e32 v18, s10, v15
	v_lshl_add_u64 v[14:15], v[8:9], 2, v[16:17]
	s_and_not1_b32 vcc_lo, exec_lo, s18
	s_cbranch_vccnz .LBB306_31
; %bb.27:                               ;   in Loop: Header=BB306_6 Depth=1
	flat_load_b32 v16, v[14:15]
	s_wait_loadcnt_dscnt 0x0
	v_fma_f32 v16, s11, v16, v18
	flat_store_b32 v[14:15], v16
	s_cbranch_execnz .LBB306_5
	s_branch .LBB306_32
.LBB306_28:                             ;   in Loop: Header=BB306_6 Depth=1
	s_branch .LBB306_16
.LBB306_29:                             ;   in Loop: Header=BB306_6 Depth=1
	s_branch .LBB306_20
.LBB306_30:                             ;   in Loop: Header=BB306_6 Depth=1
	s_branch .LBB306_24
.LBB306_31:                             ;   in Loop: Header=BB306_6 Depth=1
.LBB306_32:                             ;   in Loop: Header=BB306_6 Depth=1
	flat_store_b32 v[14:15], v18
	s_branch .LBB306_5
.LBB306_33:
	s_endpgm
	.section	.rodata,"a",@progbits
	.p2align	6, 0x0
	.amdhsa_kernel _ZL29rocblas_internal_gemmt_kernelIiLi16ELi32ELi8ELc78ELc78ELc85ELb0ELb0EffPKPKfPKPfEviT_T9_T10_S7_lS9_S7_lS8_T11_S7_li
		.amdhsa_group_segment_fixed_size 2048
		.amdhsa_private_segment_fixed_size 0
		.amdhsa_kernarg_size 100
		.amdhsa_user_sgpr_count 2
		.amdhsa_user_sgpr_dispatch_ptr 0
		.amdhsa_user_sgpr_queue_ptr 0
		.amdhsa_user_sgpr_kernarg_segment_ptr 1
		.amdhsa_user_sgpr_dispatch_id 0
		.amdhsa_user_sgpr_kernarg_preload_length 0
		.amdhsa_user_sgpr_kernarg_preload_offset 0
		.amdhsa_user_sgpr_private_segment_size 0
		.amdhsa_wavefront_size32 1
		.amdhsa_uses_dynamic_stack 0
		.amdhsa_enable_private_segment 0
		.amdhsa_system_sgpr_workgroup_id_x 1
		.amdhsa_system_sgpr_workgroup_id_y 1
		.amdhsa_system_sgpr_workgroup_id_z 1
		.amdhsa_system_sgpr_workgroup_info 0
		.amdhsa_system_vgpr_workitem_id 1
		.amdhsa_next_free_vgpr 56
		.amdhsa_next_free_sgpr 31
		.amdhsa_named_barrier_count 0
		.amdhsa_reserve_vcc 1
		.amdhsa_float_round_mode_32 0
		.amdhsa_float_round_mode_16_64 0
		.amdhsa_float_denorm_mode_32 3
		.amdhsa_float_denorm_mode_16_64 3
		.amdhsa_fp16_overflow 0
		.amdhsa_memory_ordered 1
		.amdhsa_forward_progress 1
		.amdhsa_inst_pref_size 13
		.amdhsa_round_robin_scheduling 0
		.amdhsa_exception_fp_ieee_invalid_op 0
		.amdhsa_exception_fp_denorm_src 0
		.amdhsa_exception_fp_ieee_div_zero 0
		.amdhsa_exception_fp_ieee_overflow 0
		.amdhsa_exception_fp_ieee_underflow 0
		.amdhsa_exception_fp_ieee_inexact 0
		.amdhsa_exception_int_div_zero 0
	.end_amdhsa_kernel
	.section	.text._ZL29rocblas_internal_gemmt_kernelIiLi16ELi32ELi8ELc78ELc78ELc85ELb0ELb0EffPKPKfPKPfEviT_T9_T10_S7_lS9_S7_lS8_T11_S7_li,"axG",@progbits,_ZL29rocblas_internal_gemmt_kernelIiLi16ELi32ELi8ELc78ELc78ELc85ELb0ELb0EffPKPKfPKPfEviT_T9_T10_S7_lS9_S7_lS8_T11_S7_li,comdat
.Lfunc_end306:
	.size	_ZL29rocblas_internal_gemmt_kernelIiLi16ELi32ELi8ELc78ELc78ELc85ELb0ELb0EffPKPKfPKPfEviT_T9_T10_S7_lS9_S7_lS8_T11_S7_li, .Lfunc_end306-_ZL29rocblas_internal_gemmt_kernelIiLi16ELi32ELi8ELc78ELc78ELc85ELb0ELb0EffPKPKfPKPfEviT_T9_T10_S7_lS9_S7_lS8_T11_S7_li
                                        ; -- End function
	.set _ZL29rocblas_internal_gemmt_kernelIiLi16ELi32ELi8ELc78ELc78ELc85ELb0ELb0EffPKPKfPKPfEviT_T9_T10_S7_lS9_S7_lS8_T11_S7_li.num_vgpr, 56
	.set _ZL29rocblas_internal_gemmt_kernelIiLi16ELi32ELi8ELc78ELc78ELc85ELb0ELb0EffPKPKfPKPfEviT_T9_T10_S7_lS9_S7_lS8_T11_S7_li.num_agpr, 0
	.set _ZL29rocblas_internal_gemmt_kernelIiLi16ELi32ELi8ELc78ELc78ELc85ELb0ELb0EffPKPKfPKPfEviT_T9_T10_S7_lS9_S7_lS8_T11_S7_li.numbered_sgpr, 31
	.set _ZL29rocblas_internal_gemmt_kernelIiLi16ELi32ELi8ELc78ELc78ELc85ELb0ELb0EffPKPKfPKPfEviT_T9_T10_S7_lS9_S7_lS8_T11_S7_li.num_named_barrier, 0
	.set _ZL29rocblas_internal_gemmt_kernelIiLi16ELi32ELi8ELc78ELc78ELc85ELb0ELb0EffPKPKfPKPfEviT_T9_T10_S7_lS9_S7_lS8_T11_S7_li.private_seg_size, 0
	.set _ZL29rocblas_internal_gemmt_kernelIiLi16ELi32ELi8ELc78ELc78ELc85ELb0ELb0EffPKPKfPKPfEviT_T9_T10_S7_lS9_S7_lS8_T11_S7_li.uses_vcc, 1
	.set _ZL29rocblas_internal_gemmt_kernelIiLi16ELi32ELi8ELc78ELc78ELc85ELb0ELb0EffPKPKfPKPfEviT_T9_T10_S7_lS9_S7_lS8_T11_S7_li.uses_flat_scratch, 0
	.set _ZL29rocblas_internal_gemmt_kernelIiLi16ELi32ELi8ELc78ELc78ELc85ELb0ELb0EffPKPKfPKPfEviT_T9_T10_S7_lS9_S7_lS8_T11_S7_li.has_dyn_sized_stack, 0
	.set _ZL29rocblas_internal_gemmt_kernelIiLi16ELi32ELi8ELc78ELc78ELc85ELb0ELb0EffPKPKfPKPfEviT_T9_T10_S7_lS9_S7_lS8_T11_S7_li.has_recursion, 0
	.set _ZL29rocblas_internal_gemmt_kernelIiLi16ELi32ELi8ELc78ELc78ELc85ELb0ELb0EffPKPKfPKPfEviT_T9_T10_S7_lS9_S7_lS8_T11_S7_li.has_indirect_call, 0
	.section	.AMDGPU.csdata,"",@progbits
; Kernel info:
; codeLenInByte = 1660
; TotalNumSgprs: 33
; NumVgprs: 56
; ScratchSize: 0
; MemoryBound: 0
; FloatMode: 240
; IeeeMode: 1
; LDSByteSize: 2048 bytes/workgroup (compile time only)
; SGPRBlocks: 0
; VGPRBlocks: 3
; NumSGPRsForWavesPerEU: 33
; NumVGPRsForWavesPerEU: 56
; NamedBarCnt: 0
; Occupancy: 16
; WaveLimiterHint : 1
; COMPUTE_PGM_RSRC2:SCRATCH_EN: 0
; COMPUTE_PGM_RSRC2:USER_SGPR: 2
; COMPUTE_PGM_RSRC2:TRAP_HANDLER: 0
; COMPUTE_PGM_RSRC2:TGID_X_EN: 1
; COMPUTE_PGM_RSRC2:TGID_Y_EN: 1
; COMPUTE_PGM_RSRC2:TGID_Z_EN: 1
; COMPUTE_PGM_RSRC2:TIDIG_COMP_CNT: 1
	.section	.text._ZL29rocblas_internal_gemmt_kernelIiLi16ELi32ELi8ELc78ELc84ELc85ELb0ELb0EffPKPKfPKPfEviT_T9_T10_S7_lS9_S7_lS8_T11_S7_li,"axG",@progbits,_ZL29rocblas_internal_gemmt_kernelIiLi16ELi32ELi8ELc78ELc84ELc85ELb0ELb0EffPKPKfPKPfEviT_T9_T10_S7_lS9_S7_lS8_T11_S7_li,comdat
	.globl	_ZL29rocblas_internal_gemmt_kernelIiLi16ELi32ELi8ELc78ELc84ELc85ELb0ELb0EffPKPKfPKPfEviT_T9_T10_S7_lS9_S7_lS8_T11_S7_li ; -- Begin function _ZL29rocblas_internal_gemmt_kernelIiLi16ELi32ELi8ELc78ELc84ELc85ELb0ELb0EffPKPKfPKPfEviT_T9_T10_S7_lS9_S7_lS8_T11_S7_li
	.p2align	8
	.type	_ZL29rocblas_internal_gemmt_kernelIiLi16ELi32ELi8ELc78ELc84ELc85ELb0ELb0EffPKPKfPKPfEviT_T9_T10_S7_lS9_S7_lS8_T11_S7_li,@function
_ZL29rocblas_internal_gemmt_kernelIiLi16ELi32ELi8ELc78ELc84ELc85ELb0ELb0EffPKPKfPKPfEviT_T9_T10_S7_lS9_S7_lS8_T11_S7_li: ; @_ZL29rocblas_internal_gemmt_kernelIiLi16ELi32ELi8ELc78ELc84ELc85ELb0ELb0EffPKPKfPKPfEviT_T9_T10_S7_lS9_S7_lS8_T11_S7_li
; %bb.0:
	s_clause 0x1
	s_load_b32 s11, s[0:1], 0x40
	s_load_b96 s[8:10], s[0:1], 0x0
	s_wait_kmcnt 0x0
	s_cmp_neq_f32 s11, 1.0
	s_cselect_b32 s2, -1, 0
	s_delay_alu instid0(SALU_CYCLE_1)
	s_and_b32 vcc_lo, exec_lo, s2
	s_cbranch_vccnz .LBB307_2
; %bb.1:
	s_cmp_lg_u32 s9, 0
	s_cselect_b32 s2, -1, 0
	s_cmp_neq_f32 s10, 0
	s_cselect_b32 s3, -1, 0
	s_delay_alu instid0(SALU_CYCLE_1)
	s_and_b32 s2, s2, s3
.LBB307_2:
	s_delay_alu instid0(SALU_CYCLE_1)
	s_and_not1_b32 vcc_lo, exec_lo, s2
	s_cbranch_vccnz .LBB307_33
; %bb.3:
	s_load_b32 s19, s[0:1], 0x60
	s_bfe_u32 s2, ttmp6, 0x40014
	s_lshr_b32 s3, ttmp7, 16
	s_add_co_i32 s2, s2, 1
	s_bfe_u32 s5, ttmp6, 0x40008
	s_mul_i32 s4, s3, s2
	s_getreg_b32 s2, hwreg(HW_REG_IB_STS2, 6, 4)
	s_add_co_i32 s5, s5, s4
	s_cmp_eq_u32 s2, 0
	s_mov_b32 s21, 0
	s_cselect_b32 s20, s3, s5
	s_wait_kmcnt 0x0
	s_cmp_ge_u32 s20, s19
	s_cbranch_scc1 .LBB307_33
; %bb.4:
	s_clause 0x5
	s_load_b96 s[12:14], s[0:1], 0x10
	s_load_b32 s22, s[0:1], 0x30
	s_load_b96 s[16:18], s[0:1], 0x48
	s_load_b128 s[4:7], s[0:1], 0x20
	s_load_b64 s[24:25], s[0:1], 0x38
	s_load_b64 s[26:27], s[0:1], 0x58
	s_wait_xcnt 0x0
	s_bfe_u32 s1, ttmp6, 0x4000c
	s_bfe_u32 s3, ttmp6, 0x40010
	v_and_b32_e32 v5, 0x3ff, v0
	v_bfe_u32 v11, v0, 10, 10
	s_add_co_i32 s1, s1, 1
	s_add_co_i32 s3, s3, 1
	s_and_b32 s0, ttmp6, 15
	s_mul_i32 s1, ttmp9, s1
	s_bfe_u32 s30, ttmp6, 0x40004
	v_lshl_add_u32 v1, v11, 4, v5
	s_add_co_i32 s0, s0, s1
	v_and_b32_e32 v0, 7, v0
	v_lshl_add_u32 v28, v11, 5, 0x400
	v_lshlrev_b32_e32 v27, 2, v5
	v_dual_lshrrev_b32 v4, 3, v1 :: v_dual_bitop2_b32 v6, 31, v1 bitop3:0x40
	s_wait_kmcnt 0x0
	s_ashr_i32 s15, s14, 31
	s_ashr_i32 s23, s22, 31
	;; [unrolled: 1-line block ×3, first 2 shown]
	s_mov_b32 s28, s18
	s_and_b32 s18, ttmp7, 0xffff
	v_lshrrev_b32_e32 v2, 5, v1
	s_mul_i32 s3, s18, s3
	s_delay_alu instid0(SALU_CYCLE_1) | instskip(SKIP_4) | instid1(SALU_CYCLE_1)
	s_add_co_i32 s30, s30, s3
	s_cmp_eq_u32 s2, 0
	s_cselect_b32 s0, ttmp9, s0
	s_cselect_b32 s1, s18, s30
	s_lshl_b32 s2, s0, 5
	v_dual_mov_b32 v3, 0 :: v_dual_bitop2_b32 v12, s2, v6 bitop3:0x54
	s_lshl_b32 s0, s1, 5
	s_delay_alu instid0(SALU_CYCLE_1) | instskip(NEXT) | instid1(VALU_DEP_2)
	v_dual_lshlrev_b32 v6, 2, v6 :: v_dual_add_nc_u32 v16, s0, v11
	v_dual_mov_b32 v1, v3 :: v_dual_add_nc_u32 v14, s0, v4
	v_mul_u64_e32 v[18:19], s[14:15], v[2:3]
	s_cmp_neq_f32 s10, 0
	s_delay_alu instid0(VALU_DEP_3) | instskip(SKIP_3) | instid1(VALU_DEP_4)
	v_dual_add_nc_u32 v22, 16, v16 :: v_dual_ashrrev_i32 v17, 31, v16
	v_lshlrev_b32_e32 v7, 2, v0
	v_mul_u64_e32 v[20:21], s[22:23], v[0:1]
	v_lshl_or_b32 v1, v2, 7, v6
	v_ashrrev_i32_e32 v23, 31, v22
	s_cselect_b32 s30, -1, 0
	v_lshl_or_b32 v6, v4, 5, v7
	v_dual_add_nc_u32 v4, s2, v5 :: v_dual_ashrrev_i32 v15, 31, v14
	s_delay_alu instid0(VALU_DEP_3) | instskip(SKIP_1) | instid1(VALU_DEP_3)
	v_mul_u64_e32 v[8:9], s[28:29], v[22:23]
	s_cmp_gt_i32 s9, 0
	v_add_nc_u32_e32 v26, 0x400, v6
	v_mul_u64_e32 v[6:7], s[28:29], v[16:17]
	s_cselect_b32 s31, -1, 0
	s_cmp_neq_f32 s11, 0
	v_add_nc_u32_e32 v10, 16, v4
	v_cmp_gt_i32_e32 vcc_lo, s8, v16
	v_cmp_le_i32_e64 s2, v4, v16
	s_cselect_b32 s18, -1, 0
	s_lshl_b64 s[4:5], s[4:5], 2
	v_cmp_le_i32_e64 s3, v10, v16
	v_ashrrev_i32_e32 v13, 31, v12
	s_and_b32 s28, vcc_lo, s2
	v_cmp_le_i32_e64 s2, v4, v22
	v_cmp_gt_i32_e64 s0, s8, v12
	s_and_b32 s29, vcc_lo, s3
	v_cmp_gt_i32_e32 vcc_lo, s8, v22
	v_cmp_le_i32_e64 s3, v10, v22
	v_cmp_gt_i32_e64 s1, s8, v14
	v_lshl_add_u64 v[16:17], v[18:19], 2, s[4:5]
	s_lshl_b64 s[4:5], s[24:25], 2
	v_dual_ashrrev_i32 v5, 31, v4 :: v_dual_ashrrev_i32 v11, 31, v10
	s_and_b32 s8, vcc_lo, s2
	v_lshl_add_u64 v[18:19], v[20:21], 2, s[4:5]
	v_lshl_add_u64 v[12:13], v[12:13], 2, v[16:17]
	s_and_b32 s24, vcc_lo, s3
	s_and_b32 s25, s30, s31
	s_lshl_b64 s[2:3], s[14:15], 5
	v_lshl_add_u64 v[14:15], v[14:15], 2, v[18:19]
	s_lshl_b64 s[4:5], s[22:23], 5
	s_lshl_b64 s[14:15], s[26:27], 2
	s_branch .LBB307_6
.LBB307_5:                              ;   in Loop: Header=BB307_6 Depth=1
	s_wait_xcnt 0x0
	s_or_b32 exec_lo, exec_lo, s22
	s_add_co_i32 s20, s20, 0x10000
	s_delay_alu instid0(SALU_CYCLE_1)
	s_cmp_lt_u32 s20, s19
	s_cbranch_scc0 .LBB307_33
.LBB307_6:                              ; =>This Loop Header: Depth=1
                                        ;     Child Loop BB307_9 Depth 2
	v_dual_mov_b32 v16, s20 :: v_dual_mov_b32 v25, 0
	v_dual_mov_b32 v24, 0 :: v_dual_mov_b32 v17, 0
	s_and_not1_b32 vcc_lo, exec_lo, s25
	global_load_b64 v[18:19], v16, s[16:17] scale_offset
	s_wait_xcnt 0x0
	v_mov_b32_e32 v16, 0
	s_cbranch_vccnz .LBB307_13
; %bb.7:                                ;   in Loop: Header=BB307_6 Depth=1
	s_lshl_b64 s[22:23], s[20:21], 3
	v_mov_b32_e32 v16, 0
	s_add_nc_u64 s[26:27], s[12:13], s[22:23]
	s_add_nc_u64 s[22:23], s[6:7], s[22:23]
	s_clause 0x1
	global_load_b64 v[20:21], v3, s[26:27]
	global_load_b64 v[22:23], v3, s[22:23]
	s_wait_xcnt 0x0
	s_mov_b32 s22, 0
	v_dual_mov_b32 v17, v16 :: v_dual_mov_b32 v24, v16
	v_mov_b32_e32 v25, v16
	s_wait_loadcnt 0x1
	v_add_nc_u64_e32 v[20:21], v[20:21], v[12:13]
	s_wait_loadcnt 0x0
	v_add_nc_u64_e32 v[22:23], v[22:23], v[14:15]
	s_branch .LBB307_9
.LBB307_8:                              ;   in Loop: Header=BB307_9 Depth=2
	s_wait_xcnt 0x0
	s_or_b32 exec_lo, exec_lo, s23
	s_wait_loadcnt_dscnt 0x0
	ds_store_b32 v26, v30
	s_wait_dscnt 0x0
	s_barrier_signal -1
	s_barrier_wait -1
	ds_load_b128 v[30:33], v28
	ds_load_2addr_b32 v[46:47], v27 offset1:16
	ds_load_b128 v[34:37], v28 offset:512
	ds_load_2addr_b32 v[48:49], v27 offset0:32 offset1:48
	ds_load_2addr_b32 v[50:51], v27 offset0:64 offset1:80
	;; [unrolled: 1-line block ×3, first 2 shown]
	ds_load_b128 v[38:41], v28 offset:16
	ds_load_2addr_b32 v[54:55], v27 offset0:128 offset1:144
	ds_load_b128 v[42:45], v28 offset:528
	v_add_nc_u64_e32 v[20:21], s[2:3], v[20:21]
	v_add_nc_u64_e32 v[22:23], s[4:5], v[22:23]
	s_add_co_i32 s22, s22, 8
	s_delay_alu instid0(SALU_CYCLE_1)
	s_cmp_lt_i32 s22, s9
	s_wait_dscnt 0x7
	v_pk_fma_f32 v[24:25], v[46:47], v[30:31], v[24:25] op_sel_hi:[1,0,1]
	s_wait_dscnt 0x6
	v_pk_fma_f32 v[16:17], v[46:47], v[34:35], v[16:17] op_sel_hi:[1,0,1]
	ds_load_2addr_b32 v[46:47], v27 offset0:160 offset1:176
	s_wait_dscnt 0x6
	v_pk_fma_f32 v[24:25], v[48:49], v[30:31], v[24:25] op_sel:[0,1,0]
	v_pk_fma_f32 v[16:17], v[48:49], v[34:35], v[16:17] op_sel:[0,1,0]
	ds_load_2addr_b32 v[30:31], v27 offset0:192 offset1:208
	v_dual_mov_b32 v34, v33 :: v_dual_mov_b32 v48, v37
	s_wait_dscnt 0x6
	v_pk_fma_f32 v[24:25], v[50:51], v[32:33], v[24:25] op_sel_hi:[1,0,1]
	v_pk_fma_f32 v[16:17], v[50:51], v[36:37], v[16:17] op_sel_hi:[1,0,1]
	ds_load_2addr_b32 v[32:33], v27 offset0:224 offset1:240
	s_wait_dscnt 0x3
	v_mov_b32_e32 v36, v45
	s_wait_dscnt 0x0
	v_pk_fma_f32 v[24:25], v[52:53], v[34:35], v[24:25] op_sel_hi:[1,0,1]
	v_pk_fma_f32 v[16:17], v[52:53], v[48:49], v[16:17] op_sel_hi:[1,0,1]
	v_mov_b32_e32 v34, v41
	s_barrier_signal -1
	s_barrier_wait -1
	v_pk_fma_f32 v[24:25], v[54:55], v[38:39], v[24:25] op_sel_hi:[1,0,1]
	v_pk_fma_f32 v[16:17], v[54:55], v[42:43], v[16:17] op_sel_hi:[1,0,1]
	s_delay_alu instid0(VALU_DEP_2) | instskip(NEXT) | instid1(VALU_DEP_2)
	v_pk_fma_f32 v[24:25], v[46:47], v[38:39], v[24:25] op_sel:[0,1,0]
	v_pk_fma_f32 v[16:17], v[46:47], v[42:43], v[16:17] op_sel:[0,1,0]
	s_delay_alu instid0(VALU_DEP_2) | instskip(NEXT) | instid1(VALU_DEP_2)
	v_pk_fma_f32 v[24:25], v[30:31], v[40:41], v[24:25] op_sel_hi:[1,0,1]
	v_pk_fma_f32 v[16:17], v[30:31], v[44:45], v[16:17] op_sel_hi:[1,0,1]
	s_delay_alu instid0(VALU_DEP_2) | instskip(NEXT) | instid1(VALU_DEP_2)
	v_pk_fma_f32 v[24:25], v[32:33], v[34:35], v[24:25] op_sel_hi:[1,0,1]
	v_pk_fma_f32 v[16:17], v[32:33], v[36:37], v[16:17] op_sel_hi:[1,0,1]
	s_cbranch_scc0 .LBB307_13
.LBB307_9:                              ;   Parent Loop BB307_6 Depth=1
                                        ; =>  This Inner Loop Header: Depth=2
	v_add_nc_u32_e32 v29, s22, v2
	s_delay_alu instid0(VALU_DEP_1) | instskip(SKIP_2) | instid1(SALU_CYCLE_1)
	v_cmp_gt_i32_e32 vcc_lo, s9, v29
	v_mov_b32_e32 v29, 0
	s_and_b32 s26, s0, vcc_lo
	s_and_saveexec_b32 s23, s26
	s_cbranch_execz .LBB307_11
; %bb.10:                               ;   in Loop: Header=BB307_9 Depth=2
	flat_load_b32 v29, v[20:21]
.LBB307_11:                             ;   in Loop: Header=BB307_9 Depth=2
	s_wait_xcnt 0x0
	s_or_b32 exec_lo, exec_lo, s23
	v_add_nc_u32_e32 v30, s22, v0
	s_wait_loadcnt_dscnt 0x0
	ds_store_b32 v1, v29
	v_cmp_gt_i32_e32 vcc_lo, s9, v30
	v_mov_b32_e32 v30, 0
	s_and_b32 s26, vcc_lo, s1
	s_delay_alu instid0(SALU_CYCLE_1)
	s_and_saveexec_b32 s23, s26
	s_cbranch_execz .LBB307_8
; %bb.12:                               ;   in Loop: Header=BB307_9 Depth=2
	flat_load_b32 v30, v[22:23]
	s_branch .LBB307_8
.LBB307_13:                             ;   in Loop: Header=BB307_6 Depth=1
	s_wait_loadcnt 0x0
	v_add_nc_u64_e32 v[18:19], s[14:15], v[18:19]
	s_delay_alu instid0(VALU_DEP_1)
	v_lshl_add_u64 v[20:21], v[6:7], 2, v[18:19]
	s_and_saveexec_b32 s22, s28
	s_cbranch_execz .LBB307_17
; %bb.14:                               ;   in Loop: Header=BB307_6 Depth=1
	v_mul_f32_e32 v24, s10, v24
	s_delay_alu instid0(VALU_DEP_2)
	v_lshl_add_u64 v[22:23], v[4:5], 2, v[20:21]
	s_and_b32 vcc_lo, exec_lo, s18
	s_cbranch_vccz .LBB307_28
; %bb.15:                               ;   in Loop: Header=BB307_6 Depth=1
	flat_load_b32 v29, v[22:23]
	s_wait_loadcnt_dscnt 0x0
	v_fma_f32 v29, s11, v29, v24
	flat_store_b32 v[22:23], v29
	s_cbranch_execnz .LBB307_17
.LBB307_16:                             ;   in Loop: Header=BB307_6 Depth=1
	flat_store_b32 v[22:23], v24
.LBB307_17:                             ;   in Loop: Header=BB307_6 Depth=1
	s_wait_xcnt 0x0
	s_or_b32 exec_lo, exec_lo, s22
	s_and_saveexec_b32 s22, s29
	s_cbranch_execz .LBB307_21
; %bb.18:                               ;   in Loop: Header=BB307_6 Depth=1
	v_mul_f32_e32 v22, s10, v25
	v_lshl_add_u64 v[20:21], v[10:11], 2, v[20:21]
	s_and_not1_b32 vcc_lo, exec_lo, s18
	s_cbranch_vccnz .LBB307_29
; %bb.19:                               ;   in Loop: Header=BB307_6 Depth=1
	flat_load_b32 v23, v[20:21]
	s_wait_loadcnt_dscnt 0x0
	v_fma_f32 v23, s11, v23, v22
	flat_store_b32 v[20:21], v23
	s_cbranch_execnz .LBB307_21
.LBB307_20:                             ;   in Loop: Header=BB307_6 Depth=1
	flat_store_b32 v[20:21], v22
.LBB307_21:                             ;   in Loop: Header=BB307_6 Depth=1
	s_wait_xcnt 0x0
	s_or_b32 exec_lo, exec_lo, s22
	v_lshl_add_u64 v[18:19], v[8:9], 2, v[18:19]
	s_and_saveexec_b32 s22, s8
	s_cbranch_execz .LBB307_25
; %bb.22:                               ;   in Loop: Header=BB307_6 Depth=1
	v_mul_f32_e32 v16, s10, v16
	s_delay_alu instid0(VALU_DEP_2)
	v_lshl_add_u64 v[20:21], v[4:5], 2, v[18:19]
	s_and_not1_b32 vcc_lo, exec_lo, s18
	s_cbranch_vccnz .LBB307_30
; %bb.23:                               ;   in Loop: Header=BB307_6 Depth=1
	flat_load_b32 v22, v[20:21]
	s_wait_loadcnt_dscnt 0x0
	v_fma_f32 v22, s11, v22, v16
	flat_store_b32 v[20:21], v22
	s_cbranch_execnz .LBB307_25
.LBB307_24:                             ;   in Loop: Header=BB307_6 Depth=1
	flat_store_b32 v[20:21], v16
.LBB307_25:                             ;   in Loop: Header=BB307_6 Depth=1
	s_wait_xcnt 0x0
	s_or_b32 exec_lo, exec_lo, s22
	s_and_saveexec_b32 s22, s24
	s_cbranch_execz .LBB307_5
; %bb.26:                               ;   in Loop: Header=BB307_6 Depth=1
	v_mul_f32_e32 v20, s10, v17
	v_lshl_add_u64 v[16:17], v[10:11], 2, v[18:19]
	s_and_not1_b32 vcc_lo, exec_lo, s18
	s_cbranch_vccnz .LBB307_31
; %bb.27:                               ;   in Loop: Header=BB307_6 Depth=1
	flat_load_b32 v18, v[16:17]
	s_wait_loadcnt_dscnt 0x0
	v_fma_f32 v18, s11, v18, v20
	flat_store_b32 v[16:17], v18
	s_cbranch_execnz .LBB307_5
	s_branch .LBB307_32
.LBB307_28:                             ;   in Loop: Header=BB307_6 Depth=1
	s_branch .LBB307_16
.LBB307_29:                             ;   in Loop: Header=BB307_6 Depth=1
	s_branch .LBB307_20
.LBB307_30:                             ;   in Loop: Header=BB307_6 Depth=1
	s_branch .LBB307_24
.LBB307_31:                             ;   in Loop: Header=BB307_6 Depth=1
.LBB307_32:                             ;   in Loop: Header=BB307_6 Depth=1
	flat_store_b32 v[16:17], v20
	s_branch .LBB307_5
.LBB307_33:
	s_endpgm
	.section	.rodata,"a",@progbits
	.p2align	6, 0x0
	.amdhsa_kernel _ZL29rocblas_internal_gemmt_kernelIiLi16ELi32ELi8ELc78ELc84ELc85ELb0ELb0EffPKPKfPKPfEviT_T9_T10_S7_lS9_S7_lS8_T11_S7_li
		.amdhsa_group_segment_fixed_size 2048
		.amdhsa_private_segment_fixed_size 0
		.amdhsa_kernarg_size 100
		.amdhsa_user_sgpr_count 2
		.amdhsa_user_sgpr_dispatch_ptr 0
		.amdhsa_user_sgpr_queue_ptr 0
		.amdhsa_user_sgpr_kernarg_segment_ptr 1
		.amdhsa_user_sgpr_dispatch_id 0
		.amdhsa_user_sgpr_kernarg_preload_length 0
		.amdhsa_user_sgpr_kernarg_preload_offset 0
		.amdhsa_user_sgpr_private_segment_size 0
		.amdhsa_wavefront_size32 1
		.amdhsa_uses_dynamic_stack 0
		.amdhsa_enable_private_segment 0
		.amdhsa_system_sgpr_workgroup_id_x 1
		.amdhsa_system_sgpr_workgroup_id_y 1
		.amdhsa_system_sgpr_workgroup_id_z 1
		.amdhsa_system_sgpr_workgroup_info 0
		.amdhsa_system_vgpr_workitem_id 1
		.amdhsa_next_free_vgpr 56
		.amdhsa_next_free_sgpr 32
		.amdhsa_named_barrier_count 0
		.amdhsa_reserve_vcc 1
		.amdhsa_float_round_mode_32 0
		.amdhsa_float_round_mode_16_64 0
		.amdhsa_float_denorm_mode_32 3
		.amdhsa_float_denorm_mode_16_64 3
		.amdhsa_fp16_overflow 0
		.amdhsa_memory_ordered 1
		.amdhsa_forward_progress 1
		.amdhsa_inst_pref_size 14
		.amdhsa_round_robin_scheduling 0
		.amdhsa_exception_fp_ieee_invalid_op 0
		.amdhsa_exception_fp_denorm_src 0
		.amdhsa_exception_fp_ieee_div_zero 0
		.amdhsa_exception_fp_ieee_overflow 0
		.amdhsa_exception_fp_ieee_underflow 0
		.amdhsa_exception_fp_ieee_inexact 0
		.amdhsa_exception_int_div_zero 0
	.end_amdhsa_kernel
	.section	.text._ZL29rocblas_internal_gemmt_kernelIiLi16ELi32ELi8ELc78ELc84ELc85ELb0ELb0EffPKPKfPKPfEviT_T9_T10_S7_lS9_S7_lS8_T11_S7_li,"axG",@progbits,_ZL29rocblas_internal_gemmt_kernelIiLi16ELi32ELi8ELc78ELc84ELc85ELb0ELb0EffPKPKfPKPfEviT_T9_T10_S7_lS9_S7_lS8_T11_S7_li,comdat
.Lfunc_end307:
	.size	_ZL29rocblas_internal_gemmt_kernelIiLi16ELi32ELi8ELc78ELc84ELc85ELb0ELb0EffPKPKfPKPfEviT_T9_T10_S7_lS9_S7_lS8_T11_S7_li, .Lfunc_end307-_ZL29rocblas_internal_gemmt_kernelIiLi16ELi32ELi8ELc78ELc84ELc85ELb0ELb0EffPKPKfPKPfEviT_T9_T10_S7_lS9_S7_lS8_T11_S7_li
                                        ; -- End function
	.set _ZL29rocblas_internal_gemmt_kernelIiLi16ELi32ELi8ELc78ELc84ELc85ELb0ELb0EffPKPKfPKPfEviT_T9_T10_S7_lS9_S7_lS8_T11_S7_li.num_vgpr, 56
	.set _ZL29rocblas_internal_gemmt_kernelIiLi16ELi32ELi8ELc78ELc84ELc85ELb0ELb0EffPKPKfPKPfEviT_T9_T10_S7_lS9_S7_lS8_T11_S7_li.num_agpr, 0
	.set _ZL29rocblas_internal_gemmt_kernelIiLi16ELi32ELi8ELc78ELc84ELc85ELb0ELb0EffPKPKfPKPfEviT_T9_T10_S7_lS9_S7_lS8_T11_S7_li.numbered_sgpr, 32
	.set _ZL29rocblas_internal_gemmt_kernelIiLi16ELi32ELi8ELc78ELc84ELc85ELb0ELb0EffPKPKfPKPfEviT_T9_T10_S7_lS9_S7_lS8_T11_S7_li.num_named_barrier, 0
	.set _ZL29rocblas_internal_gemmt_kernelIiLi16ELi32ELi8ELc78ELc84ELc85ELb0ELb0EffPKPKfPKPfEviT_T9_T10_S7_lS9_S7_lS8_T11_S7_li.private_seg_size, 0
	.set _ZL29rocblas_internal_gemmt_kernelIiLi16ELi32ELi8ELc78ELc84ELc85ELb0ELb0EffPKPKfPKPfEviT_T9_T10_S7_lS9_S7_lS8_T11_S7_li.uses_vcc, 1
	.set _ZL29rocblas_internal_gemmt_kernelIiLi16ELi32ELi8ELc78ELc84ELc85ELb0ELb0EffPKPKfPKPfEviT_T9_T10_S7_lS9_S7_lS8_T11_S7_li.uses_flat_scratch, 0
	.set _ZL29rocblas_internal_gemmt_kernelIiLi16ELi32ELi8ELc78ELc84ELc85ELb0ELb0EffPKPKfPKPfEviT_T9_T10_S7_lS9_S7_lS8_T11_S7_li.has_dyn_sized_stack, 0
	.set _ZL29rocblas_internal_gemmt_kernelIiLi16ELi32ELi8ELc78ELc84ELc85ELb0ELb0EffPKPKfPKPfEviT_T9_T10_S7_lS9_S7_lS8_T11_S7_li.has_recursion, 0
	.set _ZL29rocblas_internal_gemmt_kernelIiLi16ELi32ELi8ELc78ELc84ELc85ELb0ELb0EffPKPKfPKPfEviT_T9_T10_S7_lS9_S7_lS8_T11_S7_li.has_indirect_call, 0
	.section	.AMDGPU.csdata,"",@progbits
; Kernel info:
; codeLenInByte = 1668
; TotalNumSgprs: 34
; NumVgprs: 56
; ScratchSize: 0
; MemoryBound: 0
; FloatMode: 240
; IeeeMode: 1
; LDSByteSize: 2048 bytes/workgroup (compile time only)
; SGPRBlocks: 0
; VGPRBlocks: 3
; NumSGPRsForWavesPerEU: 34
; NumVGPRsForWavesPerEU: 56
; NamedBarCnt: 0
; Occupancy: 16
; WaveLimiterHint : 1
; COMPUTE_PGM_RSRC2:SCRATCH_EN: 0
; COMPUTE_PGM_RSRC2:USER_SGPR: 2
; COMPUTE_PGM_RSRC2:TRAP_HANDLER: 0
; COMPUTE_PGM_RSRC2:TGID_X_EN: 1
; COMPUTE_PGM_RSRC2:TGID_Y_EN: 1
; COMPUTE_PGM_RSRC2:TGID_Z_EN: 1
; COMPUTE_PGM_RSRC2:TIDIG_COMP_CNT: 1
	.section	.text._ZL29rocblas_internal_gemmt_kernelIiLi16ELi32ELi8ELc78ELc67ELc85ELb0ELb0EffPKPKfPKPfEviT_T9_T10_S7_lS9_S7_lS8_T11_S7_li,"axG",@progbits,_ZL29rocblas_internal_gemmt_kernelIiLi16ELi32ELi8ELc78ELc67ELc85ELb0ELb0EffPKPKfPKPfEviT_T9_T10_S7_lS9_S7_lS8_T11_S7_li,comdat
	.globl	_ZL29rocblas_internal_gemmt_kernelIiLi16ELi32ELi8ELc78ELc67ELc85ELb0ELb0EffPKPKfPKPfEviT_T9_T10_S7_lS9_S7_lS8_T11_S7_li ; -- Begin function _ZL29rocblas_internal_gemmt_kernelIiLi16ELi32ELi8ELc78ELc67ELc85ELb0ELb0EffPKPKfPKPfEviT_T9_T10_S7_lS9_S7_lS8_T11_S7_li
	.p2align	8
	.type	_ZL29rocblas_internal_gemmt_kernelIiLi16ELi32ELi8ELc78ELc67ELc85ELb0ELb0EffPKPKfPKPfEviT_T9_T10_S7_lS9_S7_lS8_T11_S7_li,@function
_ZL29rocblas_internal_gemmt_kernelIiLi16ELi32ELi8ELc78ELc67ELc85ELb0ELb0EffPKPKfPKPfEviT_T9_T10_S7_lS9_S7_lS8_T11_S7_li: ; @_ZL29rocblas_internal_gemmt_kernelIiLi16ELi32ELi8ELc78ELc67ELc85ELb0ELb0EffPKPKfPKPfEviT_T9_T10_S7_lS9_S7_lS8_T11_S7_li
; %bb.0:
	s_clause 0x1
	s_load_b32 s11, s[0:1], 0x40
	s_load_b96 s[8:10], s[0:1], 0x0
	s_wait_kmcnt 0x0
	s_cmp_neq_f32 s11, 1.0
	s_cselect_b32 s2, -1, 0
	s_delay_alu instid0(SALU_CYCLE_1)
	s_and_b32 vcc_lo, exec_lo, s2
	s_cbranch_vccnz .LBB308_2
; %bb.1:
	s_cmp_lg_u32 s9, 0
	s_cselect_b32 s2, -1, 0
	s_cmp_neq_f32 s10, 0
	s_cselect_b32 s3, -1, 0
	s_delay_alu instid0(SALU_CYCLE_1)
	s_and_b32 s2, s2, s3
.LBB308_2:
	s_delay_alu instid0(SALU_CYCLE_1)
	s_and_not1_b32 vcc_lo, exec_lo, s2
	s_cbranch_vccnz .LBB308_33
; %bb.3:
	s_load_b32 s19, s[0:1], 0x60
	s_bfe_u32 s2, ttmp6, 0x40014
	s_lshr_b32 s3, ttmp7, 16
	s_add_co_i32 s2, s2, 1
	s_bfe_u32 s5, ttmp6, 0x40008
	s_mul_i32 s4, s3, s2
	s_getreg_b32 s2, hwreg(HW_REG_IB_STS2, 6, 4)
	s_add_co_i32 s5, s5, s4
	s_cmp_eq_u32 s2, 0
	s_mov_b32 s21, 0
	s_cselect_b32 s20, s3, s5
	s_wait_kmcnt 0x0
	s_cmp_ge_u32 s20, s19
	s_cbranch_scc1 .LBB308_33
; %bb.4:
	s_clause 0x5
	s_load_b96 s[12:14], s[0:1], 0x10
	s_load_b32 s22, s[0:1], 0x30
	s_load_b96 s[16:18], s[0:1], 0x48
	s_load_b128 s[4:7], s[0:1], 0x20
	s_load_b64 s[24:25], s[0:1], 0x38
	s_load_b64 s[26:27], s[0:1], 0x58
	s_wait_xcnt 0x0
	s_bfe_u32 s1, ttmp6, 0x4000c
	s_bfe_u32 s3, ttmp6, 0x40010
	v_and_b32_e32 v5, 0x3ff, v0
	v_bfe_u32 v11, v0, 10, 10
	s_add_co_i32 s1, s1, 1
	s_add_co_i32 s3, s3, 1
	s_and_b32 s0, ttmp6, 15
	s_mul_i32 s1, ttmp9, s1
	s_bfe_u32 s30, ttmp6, 0x40004
	v_lshl_add_u32 v1, v11, 4, v5
	s_add_co_i32 s0, s0, s1
	v_and_b32_e32 v0, 7, v0
	v_lshl_add_u32 v28, v11, 5, 0x400
	v_lshlrev_b32_e32 v27, 2, v5
	v_dual_lshrrev_b32 v4, 3, v1 :: v_dual_bitop2_b32 v6, 31, v1 bitop3:0x40
	s_wait_kmcnt 0x0
	s_ashr_i32 s15, s14, 31
	s_ashr_i32 s23, s22, 31
	s_ashr_i32 s29, s18, 31
	s_mov_b32 s28, s18
	s_and_b32 s18, ttmp7, 0xffff
	v_lshrrev_b32_e32 v2, 5, v1
	s_mul_i32 s3, s18, s3
	s_delay_alu instid0(SALU_CYCLE_1) | instskip(SKIP_4) | instid1(SALU_CYCLE_1)
	s_add_co_i32 s30, s30, s3
	s_cmp_eq_u32 s2, 0
	s_cselect_b32 s0, ttmp9, s0
	s_cselect_b32 s1, s18, s30
	s_lshl_b32 s2, s0, 5
	v_dual_mov_b32 v3, 0 :: v_dual_bitop2_b32 v12, s2, v6 bitop3:0x54
	s_lshl_b32 s0, s1, 5
	s_delay_alu instid0(SALU_CYCLE_1) | instskip(NEXT) | instid1(VALU_DEP_2)
	v_dual_lshlrev_b32 v6, 2, v6 :: v_dual_add_nc_u32 v16, s0, v11
	v_dual_mov_b32 v1, v3 :: v_dual_add_nc_u32 v14, s0, v4
	v_mul_u64_e32 v[18:19], s[14:15], v[2:3]
	s_cmp_neq_f32 s10, 0
	s_delay_alu instid0(VALU_DEP_3) | instskip(SKIP_3) | instid1(VALU_DEP_4)
	v_dual_add_nc_u32 v22, 16, v16 :: v_dual_ashrrev_i32 v17, 31, v16
	v_lshlrev_b32_e32 v7, 2, v0
	v_mul_u64_e32 v[20:21], s[22:23], v[0:1]
	v_lshl_or_b32 v1, v2, 7, v6
	v_ashrrev_i32_e32 v23, 31, v22
	s_cselect_b32 s30, -1, 0
	v_lshl_or_b32 v6, v4, 5, v7
	v_dual_add_nc_u32 v4, s2, v5 :: v_dual_ashrrev_i32 v15, 31, v14
	s_delay_alu instid0(VALU_DEP_3) | instskip(SKIP_1) | instid1(VALU_DEP_3)
	v_mul_u64_e32 v[8:9], s[28:29], v[22:23]
	s_cmp_gt_i32 s9, 0
	v_add_nc_u32_e32 v26, 0x400, v6
	v_mul_u64_e32 v[6:7], s[28:29], v[16:17]
	s_cselect_b32 s31, -1, 0
	s_cmp_neq_f32 s11, 0
	v_add_nc_u32_e32 v10, 16, v4
	v_cmp_gt_i32_e32 vcc_lo, s8, v16
	v_cmp_le_i32_e64 s2, v4, v16
	s_cselect_b32 s18, -1, 0
	s_lshl_b64 s[4:5], s[4:5], 2
	v_cmp_le_i32_e64 s3, v10, v16
	v_ashrrev_i32_e32 v13, 31, v12
	s_and_b32 s28, vcc_lo, s2
	v_cmp_le_i32_e64 s2, v4, v22
	v_cmp_gt_i32_e64 s0, s8, v12
	s_and_b32 s29, vcc_lo, s3
	v_cmp_gt_i32_e32 vcc_lo, s8, v22
	v_cmp_le_i32_e64 s3, v10, v22
	v_cmp_gt_i32_e64 s1, s8, v14
	v_lshl_add_u64 v[16:17], v[18:19], 2, s[4:5]
	s_lshl_b64 s[4:5], s[24:25], 2
	v_dual_ashrrev_i32 v5, 31, v4 :: v_dual_ashrrev_i32 v11, 31, v10
	s_and_b32 s8, vcc_lo, s2
	v_lshl_add_u64 v[18:19], v[20:21], 2, s[4:5]
	v_lshl_add_u64 v[12:13], v[12:13], 2, v[16:17]
	s_and_b32 s24, vcc_lo, s3
	s_and_b32 s25, s30, s31
	s_lshl_b64 s[2:3], s[14:15], 5
	v_lshl_add_u64 v[14:15], v[14:15], 2, v[18:19]
	s_lshl_b64 s[4:5], s[22:23], 5
	s_lshl_b64 s[14:15], s[26:27], 2
	s_branch .LBB308_6
.LBB308_5:                              ;   in Loop: Header=BB308_6 Depth=1
	s_wait_xcnt 0x0
	s_or_b32 exec_lo, exec_lo, s22
	s_add_co_i32 s20, s20, 0x10000
	s_delay_alu instid0(SALU_CYCLE_1)
	s_cmp_lt_u32 s20, s19
	s_cbranch_scc0 .LBB308_33
.LBB308_6:                              ; =>This Loop Header: Depth=1
                                        ;     Child Loop BB308_9 Depth 2
	v_dual_mov_b32 v16, s20 :: v_dual_mov_b32 v25, 0
	v_dual_mov_b32 v24, 0 :: v_dual_mov_b32 v17, 0
	s_and_not1_b32 vcc_lo, exec_lo, s25
	global_load_b64 v[18:19], v16, s[16:17] scale_offset
	s_wait_xcnt 0x0
	v_mov_b32_e32 v16, 0
	s_cbranch_vccnz .LBB308_13
; %bb.7:                                ;   in Loop: Header=BB308_6 Depth=1
	s_lshl_b64 s[22:23], s[20:21], 3
	v_mov_b32_e32 v16, 0
	s_add_nc_u64 s[26:27], s[12:13], s[22:23]
	s_add_nc_u64 s[22:23], s[6:7], s[22:23]
	s_clause 0x1
	global_load_b64 v[20:21], v3, s[26:27]
	global_load_b64 v[22:23], v3, s[22:23]
	s_wait_xcnt 0x0
	s_mov_b32 s22, 0
	v_dual_mov_b32 v17, v16 :: v_dual_mov_b32 v24, v16
	v_mov_b32_e32 v25, v16
	s_wait_loadcnt 0x1
	v_add_nc_u64_e32 v[20:21], v[20:21], v[12:13]
	s_wait_loadcnt 0x0
	v_add_nc_u64_e32 v[22:23], v[22:23], v[14:15]
	s_branch .LBB308_9
.LBB308_8:                              ;   in Loop: Header=BB308_9 Depth=2
	s_wait_xcnt 0x0
	s_or_b32 exec_lo, exec_lo, s23
	s_wait_loadcnt_dscnt 0x0
	ds_store_b32 v26, v30
	s_wait_dscnt 0x0
	s_barrier_signal -1
	s_barrier_wait -1
	ds_load_b128 v[30:33], v28
	ds_load_2addr_b32 v[46:47], v27 offset1:16
	ds_load_b128 v[34:37], v28 offset:512
	ds_load_2addr_b32 v[48:49], v27 offset0:32 offset1:48
	ds_load_2addr_b32 v[50:51], v27 offset0:64 offset1:80
	;; [unrolled: 1-line block ×3, first 2 shown]
	ds_load_b128 v[38:41], v28 offset:16
	ds_load_2addr_b32 v[54:55], v27 offset0:128 offset1:144
	ds_load_b128 v[42:45], v28 offset:528
	v_add_nc_u64_e32 v[20:21], s[2:3], v[20:21]
	v_add_nc_u64_e32 v[22:23], s[4:5], v[22:23]
	s_add_co_i32 s22, s22, 8
	s_delay_alu instid0(SALU_CYCLE_1)
	s_cmp_lt_i32 s22, s9
	s_wait_dscnt 0x7
	v_pk_fma_f32 v[24:25], v[46:47], v[30:31], v[24:25] op_sel_hi:[1,0,1]
	s_wait_dscnt 0x6
	v_pk_fma_f32 v[16:17], v[46:47], v[34:35], v[16:17] op_sel_hi:[1,0,1]
	ds_load_2addr_b32 v[46:47], v27 offset0:160 offset1:176
	s_wait_dscnt 0x6
	v_pk_fma_f32 v[24:25], v[48:49], v[30:31], v[24:25] op_sel:[0,1,0]
	v_pk_fma_f32 v[16:17], v[48:49], v[34:35], v[16:17] op_sel:[0,1,0]
	ds_load_2addr_b32 v[30:31], v27 offset0:192 offset1:208
	v_dual_mov_b32 v34, v33 :: v_dual_mov_b32 v48, v37
	s_wait_dscnt 0x6
	v_pk_fma_f32 v[24:25], v[50:51], v[32:33], v[24:25] op_sel_hi:[1,0,1]
	v_pk_fma_f32 v[16:17], v[50:51], v[36:37], v[16:17] op_sel_hi:[1,0,1]
	ds_load_2addr_b32 v[32:33], v27 offset0:224 offset1:240
	s_wait_dscnt 0x3
	v_mov_b32_e32 v36, v45
	s_wait_dscnt 0x0
	v_pk_fma_f32 v[24:25], v[52:53], v[34:35], v[24:25] op_sel_hi:[1,0,1]
	v_pk_fma_f32 v[16:17], v[52:53], v[48:49], v[16:17] op_sel_hi:[1,0,1]
	v_mov_b32_e32 v34, v41
	s_barrier_signal -1
	s_barrier_wait -1
	v_pk_fma_f32 v[24:25], v[54:55], v[38:39], v[24:25] op_sel_hi:[1,0,1]
	v_pk_fma_f32 v[16:17], v[54:55], v[42:43], v[16:17] op_sel_hi:[1,0,1]
	s_delay_alu instid0(VALU_DEP_2) | instskip(NEXT) | instid1(VALU_DEP_2)
	v_pk_fma_f32 v[24:25], v[46:47], v[38:39], v[24:25] op_sel:[0,1,0]
	v_pk_fma_f32 v[16:17], v[46:47], v[42:43], v[16:17] op_sel:[0,1,0]
	s_delay_alu instid0(VALU_DEP_2) | instskip(NEXT) | instid1(VALU_DEP_2)
	v_pk_fma_f32 v[24:25], v[30:31], v[40:41], v[24:25] op_sel_hi:[1,0,1]
	v_pk_fma_f32 v[16:17], v[30:31], v[44:45], v[16:17] op_sel_hi:[1,0,1]
	s_delay_alu instid0(VALU_DEP_2) | instskip(NEXT) | instid1(VALU_DEP_2)
	v_pk_fma_f32 v[24:25], v[32:33], v[34:35], v[24:25] op_sel_hi:[1,0,1]
	v_pk_fma_f32 v[16:17], v[32:33], v[36:37], v[16:17] op_sel_hi:[1,0,1]
	s_cbranch_scc0 .LBB308_13
.LBB308_9:                              ;   Parent Loop BB308_6 Depth=1
                                        ; =>  This Inner Loop Header: Depth=2
	v_add_nc_u32_e32 v29, s22, v2
	s_delay_alu instid0(VALU_DEP_1) | instskip(SKIP_2) | instid1(SALU_CYCLE_1)
	v_cmp_gt_i32_e32 vcc_lo, s9, v29
	v_mov_b32_e32 v29, 0
	s_and_b32 s26, s0, vcc_lo
	s_and_saveexec_b32 s23, s26
	s_cbranch_execz .LBB308_11
; %bb.10:                               ;   in Loop: Header=BB308_9 Depth=2
	flat_load_b32 v29, v[20:21]
.LBB308_11:                             ;   in Loop: Header=BB308_9 Depth=2
	s_wait_xcnt 0x0
	s_or_b32 exec_lo, exec_lo, s23
	v_add_nc_u32_e32 v30, s22, v0
	s_wait_loadcnt_dscnt 0x0
	ds_store_b32 v1, v29
	v_cmp_gt_i32_e32 vcc_lo, s9, v30
	v_mov_b32_e32 v30, 0
	s_and_b32 s26, vcc_lo, s1
	s_delay_alu instid0(SALU_CYCLE_1)
	s_and_saveexec_b32 s23, s26
	s_cbranch_execz .LBB308_8
; %bb.12:                               ;   in Loop: Header=BB308_9 Depth=2
	flat_load_b32 v30, v[22:23]
	s_branch .LBB308_8
.LBB308_13:                             ;   in Loop: Header=BB308_6 Depth=1
	s_wait_loadcnt 0x0
	v_add_nc_u64_e32 v[18:19], s[14:15], v[18:19]
	s_delay_alu instid0(VALU_DEP_1)
	v_lshl_add_u64 v[20:21], v[6:7], 2, v[18:19]
	s_and_saveexec_b32 s22, s28
	s_cbranch_execz .LBB308_17
; %bb.14:                               ;   in Loop: Header=BB308_6 Depth=1
	v_mul_f32_e32 v24, s10, v24
	s_delay_alu instid0(VALU_DEP_2)
	v_lshl_add_u64 v[22:23], v[4:5], 2, v[20:21]
	s_and_b32 vcc_lo, exec_lo, s18
	s_cbranch_vccz .LBB308_28
; %bb.15:                               ;   in Loop: Header=BB308_6 Depth=1
	flat_load_b32 v29, v[22:23]
	s_wait_loadcnt_dscnt 0x0
	v_fma_f32 v29, s11, v29, v24
	flat_store_b32 v[22:23], v29
	s_cbranch_execnz .LBB308_17
.LBB308_16:                             ;   in Loop: Header=BB308_6 Depth=1
	flat_store_b32 v[22:23], v24
.LBB308_17:                             ;   in Loop: Header=BB308_6 Depth=1
	s_wait_xcnt 0x0
	s_or_b32 exec_lo, exec_lo, s22
	s_and_saveexec_b32 s22, s29
	s_cbranch_execz .LBB308_21
; %bb.18:                               ;   in Loop: Header=BB308_6 Depth=1
	v_mul_f32_e32 v22, s10, v25
	v_lshl_add_u64 v[20:21], v[10:11], 2, v[20:21]
	s_and_not1_b32 vcc_lo, exec_lo, s18
	s_cbranch_vccnz .LBB308_29
; %bb.19:                               ;   in Loop: Header=BB308_6 Depth=1
	flat_load_b32 v23, v[20:21]
	s_wait_loadcnt_dscnt 0x0
	v_fma_f32 v23, s11, v23, v22
	flat_store_b32 v[20:21], v23
	s_cbranch_execnz .LBB308_21
.LBB308_20:                             ;   in Loop: Header=BB308_6 Depth=1
	flat_store_b32 v[20:21], v22
.LBB308_21:                             ;   in Loop: Header=BB308_6 Depth=1
	s_wait_xcnt 0x0
	s_or_b32 exec_lo, exec_lo, s22
	v_lshl_add_u64 v[18:19], v[8:9], 2, v[18:19]
	s_and_saveexec_b32 s22, s8
	s_cbranch_execz .LBB308_25
; %bb.22:                               ;   in Loop: Header=BB308_6 Depth=1
	v_mul_f32_e32 v16, s10, v16
	s_delay_alu instid0(VALU_DEP_2)
	v_lshl_add_u64 v[20:21], v[4:5], 2, v[18:19]
	s_and_not1_b32 vcc_lo, exec_lo, s18
	s_cbranch_vccnz .LBB308_30
; %bb.23:                               ;   in Loop: Header=BB308_6 Depth=1
	flat_load_b32 v22, v[20:21]
	s_wait_loadcnt_dscnt 0x0
	v_fma_f32 v22, s11, v22, v16
	flat_store_b32 v[20:21], v22
	s_cbranch_execnz .LBB308_25
.LBB308_24:                             ;   in Loop: Header=BB308_6 Depth=1
	flat_store_b32 v[20:21], v16
.LBB308_25:                             ;   in Loop: Header=BB308_6 Depth=1
	s_wait_xcnt 0x0
	s_or_b32 exec_lo, exec_lo, s22
	s_and_saveexec_b32 s22, s24
	s_cbranch_execz .LBB308_5
; %bb.26:                               ;   in Loop: Header=BB308_6 Depth=1
	v_mul_f32_e32 v20, s10, v17
	v_lshl_add_u64 v[16:17], v[10:11], 2, v[18:19]
	s_and_not1_b32 vcc_lo, exec_lo, s18
	s_cbranch_vccnz .LBB308_31
; %bb.27:                               ;   in Loop: Header=BB308_6 Depth=1
	flat_load_b32 v18, v[16:17]
	s_wait_loadcnt_dscnt 0x0
	v_fma_f32 v18, s11, v18, v20
	flat_store_b32 v[16:17], v18
	s_cbranch_execnz .LBB308_5
	s_branch .LBB308_32
.LBB308_28:                             ;   in Loop: Header=BB308_6 Depth=1
	s_branch .LBB308_16
.LBB308_29:                             ;   in Loop: Header=BB308_6 Depth=1
	s_branch .LBB308_20
.LBB308_30:                             ;   in Loop: Header=BB308_6 Depth=1
	s_branch .LBB308_24
.LBB308_31:                             ;   in Loop: Header=BB308_6 Depth=1
.LBB308_32:                             ;   in Loop: Header=BB308_6 Depth=1
	flat_store_b32 v[16:17], v20
	s_branch .LBB308_5
.LBB308_33:
	s_endpgm
	.section	.rodata,"a",@progbits
	.p2align	6, 0x0
	.amdhsa_kernel _ZL29rocblas_internal_gemmt_kernelIiLi16ELi32ELi8ELc78ELc67ELc85ELb0ELb0EffPKPKfPKPfEviT_T9_T10_S7_lS9_S7_lS8_T11_S7_li
		.amdhsa_group_segment_fixed_size 2048
		.amdhsa_private_segment_fixed_size 0
		.amdhsa_kernarg_size 100
		.amdhsa_user_sgpr_count 2
		.amdhsa_user_sgpr_dispatch_ptr 0
		.amdhsa_user_sgpr_queue_ptr 0
		.amdhsa_user_sgpr_kernarg_segment_ptr 1
		.amdhsa_user_sgpr_dispatch_id 0
		.amdhsa_user_sgpr_kernarg_preload_length 0
		.amdhsa_user_sgpr_kernarg_preload_offset 0
		.amdhsa_user_sgpr_private_segment_size 0
		.amdhsa_wavefront_size32 1
		.amdhsa_uses_dynamic_stack 0
		.amdhsa_enable_private_segment 0
		.amdhsa_system_sgpr_workgroup_id_x 1
		.amdhsa_system_sgpr_workgroup_id_y 1
		.amdhsa_system_sgpr_workgroup_id_z 1
		.amdhsa_system_sgpr_workgroup_info 0
		.amdhsa_system_vgpr_workitem_id 1
		.amdhsa_next_free_vgpr 56
		.amdhsa_next_free_sgpr 32
		.amdhsa_named_barrier_count 0
		.amdhsa_reserve_vcc 1
		.amdhsa_float_round_mode_32 0
		.amdhsa_float_round_mode_16_64 0
		.amdhsa_float_denorm_mode_32 3
		.amdhsa_float_denorm_mode_16_64 3
		.amdhsa_fp16_overflow 0
		.amdhsa_memory_ordered 1
		.amdhsa_forward_progress 1
		.amdhsa_inst_pref_size 14
		.amdhsa_round_robin_scheduling 0
		.amdhsa_exception_fp_ieee_invalid_op 0
		.amdhsa_exception_fp_denorm_src 0
		.amdhsa_exception_fp_ieee_div_zero 0
		.amdhsa_exception_fp_ieee_overflow 0
		.amdhsa_exception_fp_ieee_underflow 0
		.amdhsa_exception_fp_ieee_inexact 0
		.amdhsa_exception_int_div_zero 0
	.end_amdhsa_kernel
	.section	.text._ZL29rocblas_internal_gemmt_kernelIiLi16ELi32ELi8ELc78ELc67ELc85ELb0ELb0EffPKPKfPKPfEviT_T9_T10_S7_lS9_S7_lS8_T11_S7_li,"axG",@progbits,_ZL29rocblas_internal_gemmt_kernelIiLi16ELi32ELi8ELc78ELc67ELc85ELb0ELb0EffPKPKfPKPfEviT_T9_T10_S7_lS9_S7_lS8_T11_S7_li,comdat
.Lfunc_end308:
	.size	_ZL29rocblas_internal_gemmt_kernelIiLi16ELi32ELi8ELc78ELc67ELc85ELb0ELb0EffPKPKfPKPfEviT_T9_T10_S7_lS9_S7_lS8_T11_S7_li, .Lfunc_end308-_ZL29rocblas_internal_gemmt_kernelIiLi16ELi32ELi8ELc78ELc67ELc85ELb0ELb0EffPKPKfPKPfEviT_T9_T10_S7_lS9_S7_lS8_T11_S7_li
                                        ; -- End function
	.set _ZL29rocblas_internal_gemmt_kernelIiLi16ELi32ELi8ELc78ELc67ELc85ELb0ELb0EffPKPKfPKPfEviT_T9_T10_S7_lS9_S7_lS8_T11_S7_li.num_vgpr, 56
	.set _ZL29rocblas_internal_gemmt_kernelIiLi16ELi32ELi8ELc78ELc67ELc85ELb0ELb0EffPKPKfPKPfEviT_T9_T10_S7_lS9_S7_lS8_T11_S7_li.num_agpr, 0
	.set _ZL29rocblas_internal_gemmt_kernelIiLi16ELi32ELi8ELc78ELc67ELc85ELb0ELb0EffPKPKfPKPfEviT_T9_T10_S7_lS9_S7_lS8_T11_S7_li.numbered_sgpr, 32
	.set _ZL29rocblas_internal_gemmt_kernelIiLi16ELi32ELi8ELc78ELc67ELc85ELb0ELb0EffPKPKfPKPfEviT_T9_T10_S7_lS9_S7_lS8_T11_S7_li.num_named_barrier, 0
	.set _ZL29rocblas_internal_gemmt_kernelIiLi16ELi32ELi8ELc78ELc67ELc85ELb0ELb0EffPKPKfPKPfEviT_T9_T10_S7_lS9_S7_lS8_T11_S7_li.private_seg_size, 0
	.set _ZL29rocblas_internal_gemmt_kernelIiLi16ELi32ELi8ELc78ELc67ELc85ELb0ELb0EffPKPKfPKPfEviT_T9_T10_S7_lS9_S7_lS8_T11_S7_li.uses_vcc, 1
	.set _ZL29rocblas_internal_gemmt_kernelIiLi16ELi32ELi8ELc78ELc67ELc85ELb0ELb0EffPKPKfPKPfEviT_T9_T10_S7_lS9_S7_lS8_T11_S7_li.uses_flat_scratch, 0
	.set _ZL29rocblas_internal_gemmt_kernelIiLi16ELi32ELi8ELc78ELc67ELc85ELb0ELb0EffPKPKfPKPfEviT_T9_T10_S7_lS9_S7_lS8_T11_S7_li.has_dyn_sized_stack, 0
	.set _ZL29rocblas_internal_gemmt_kernelIiLi16ELi32ELi8ELc78ELc67ELc85ELb0ELb0EffPKPKfPKPfEviT_T9_T10_S7_lS9_S7_lS8_T11_S7_li.has_recursion, 0
	.set _ZL29rocblas_internal_gemmt_kernelIiLi16ELi32ELi8ELc78ELc67ELc85ELb0ELb0EffPKPKfPKPfEviT_T9_T10_S7_lS9_S7_lS8_T11_S7_li.has_indirect_call, 0
	.section	.AMDGPU.csdata,"",@progbits
; Kernel info:
; codeLenInByte = 1668
; TotalNumSgprs: 34
; NumVgprs: 56
; ScratchSize: 0
; MemoryBound: 0
; FloatMode: 240
; IeeeMode: 1
; LDSByteSize: 2048 bytes/workgroup (compile time only)
; SGPRBlocks: 0
; VGPRBlocks: 3
; NumSGPRsForWavesPerEU: 34
; NumVGPRsForWavesPerEU: 56
; NamedBarCnt: 0
; Occupancy: 16
; WaveLimiterHint : 1
; COMPUTE_PGM_RSRC2:SCRATCH_EN: 0
; COMPUTE_PGM_RSRC2:USER_SGPR: 2
; COMPUTE_PGM_RSRC2:TRAP_HANDLER: 0
; COMPUTE_PGM_RSRC2:TGID_X_EN: 1
; COMPUTE_PGM_RSRC2:TGID_Y_EN: 1
; COMPUTE_PGM_RSRC2:TGID_Z_EN: 1
; COMPUTE_PGM_RSRC2:TIDIG_COMP_CNT: 1
	.section	.text._ZL29rocblas_internal_gemmt_kernelIiLi16ELi32ELi8ELc84ELc78ELc85ELb0ELb0EffPKPKfPKPfEviT_T9_T10_S7_lS9_S7_lS8_T11_S7_li,"axG",@progbits,_ZL29rocblas_internal_gemmt_kernelIiLi16ELi32ELi8ELc84ELc78ELc85ELb0ELb0EffPKPKfPKPfEviT_T9_T10_S7_lS9_S7_lS8_T11_S7_li,comdat
	.globl	_ZL29rocblas_internal_gemmt_kernelIiLi16ELi32ELi8ELc84ELc78ELc85ELb0ELb0EffPKPKfPKPfEviT_T9_T10_S7_lS9_S7_lS8_T11_S7_li ; -- Begin function _ZL29rocblas_internal_gemmt_kernelIiLi16ELi32ELi8ELc84ELc78ELc85ELb0ELb0EffPKPKfPKPfEviT_T9_T10_S7_lS9_S7_lS8_T11_S7_li
	.p2align	8
	.type	_ZL29rocblas_internal_gemmt_kernelIiLi16ELi32ELi8ELc84ELc78ELc85ELb0ELb0EffPKPKfPKPfEviT_T9_T10_S7_lS9_S7_lS8_T11_S7_li,@function
_ZL29rocblas_internal_gemmt_kernelIiLi16ELi32ELi8ELc84ELc78ELc85ELb0ELb0EffPKPKfPKPfEviT_T9_T10_S7_lS9_S7_lS8_T11_S7_li: ; @_ZL29rocblas_internal_gemmt_kernelIiLi16ELi32ELi8ELc84ELc78ELc85ELb0ELb0EffPKPKfPKPfEviT_T9_T10_S7_lS9_S7_lS8_T11_S7_li
; %bb.0:
	s_clause 0x1
	s_load_b32 s11, s[0:1], 0x40
	s_load_b96 s[8:10], s[0:1], 0x0
	s_wait_kmcnt 0x0
	s_cmp_neq_f32 s11, 1.0
	s_cselect_b32 s2, -1, 0
	s_delay_alu instid0(SALU_CYCLE_1)
	s_and_b32 vcc_lo, exec_lo, s2
	s_cbranch_vccnz .LBB309_2
; %bb.1:
	s_cmp_lg_u32 s9, 0
	s_cselect_b32 s2, -1, 0
	s_cmp_neq_f32 s10, 0
	s_cselect_b32 s3, -1, 0
	s_delay_alu instid0(SALU_CYCLE_1)
	s_and_b32 s2, s2, s3
.LBB309_2:
	s_delay_alu instid0(SALU_CYCLE_1)
	s_and_not1_b32 vcc_lo, exec_lo, s2
	s_cbranch_vccnz .LBB309_33
; %bb.3:
	s_load_b32 s15, s[0:1], 0x60
	s_bfe_u32 s2, ttmp6, 0x40014
	s_lshr_b32 s3, ttmp7, 16
	s_add_co_i32 s2, s2, 1
	s_bfe_u32 s4, ttmp6, 0x40008
	s_mul_i32 s2, s3, s2
	s_getreg_b32 s19, hwreg(HW_REG_IB_STS2, 6, 4)
	s_add_co_i32 s4, s4, s2
	s_cmp_eq_u32 s19, 0
	s_mov_b32 s21, 0
	s_cselect_b32 s20, s3, s4
	s_wait_kmcnt 0x0
	s_cmp_ge_u32 s20, s15
	s_cbranch_scc1 .LBB309_33
; %bb.4:
	s_clause 0x2
	s_load_b96 s[12:14], s[0:1], 0x10
	s_load_b32 s2, s[0:1], 0x30
	s_load_b96 s[16:18], s[0:1], 0x48
	v_and_b32_e32 v1, 0x3ff, v0
	v_bfe_u32 v7, v0, 10, 10
	s_clause 0x2
	s_load_b128 s[4:7], s[0:1], 0x20
	s_load_b64 s[22:23], s[0:1], 0x38
	s_load_b64 s[24:25], s[0:1], 0x58
	s_wait_xcnt 0x0
	s_bfe_u32 s1, ttmp6, 0x4000c
	s_bfe_u32 s3, ttmp6, 0x40010
	s_and_b32 s26, ttmp7, 0xffff
	s_add_co_i32 s1, s1, 1
	s_add_co_i32 s3, s3, 1
	v_lshl_add_u32 v2, v7, 4, v1
	s_and_b32 s0, ttmp6, 15
	s_mul_i32 s28, ttmp9, s1
	s_mul_i32 s29, s26, s3
	s_bfe_u32 s30, ttmp6, 0x40004
	s_add_co_i32 s0, s0, s28
	s_add_co_i32 s30, s30, s29
	v_dual_lshrrev_b32 v6, 3, v2 :: v_dual_bitop2_b32 v9, 31, v2 bitop3:0x40
	s_wait_kmcnt 0x0
	s_ashr_i32 s1, s14, 31
	s_ashr_i32 s3, s2, 31
	;; [unrolled: 1-line block ×3, first 2 shown]
	s_cmp_eq_u32 s19, 0
	v_lshl_add_u32 v29, v7, 5, 0x400
	s_cselect_b32 s0, ttmp9, s0
	s_cselect_b32 s19, s26, s30
	s_lshl_b32 s28, s0, 5
	s_delay_alu instid0(SALU_CYCLE_1) | instskip(SKIP_1) | instid1(SALU_CYCLE_1)
	v_dual_lshrrev_b32 v24, 5, v2 :: v_dual_bitop2_b32 v2, s28, v9 bitop3:0x54
	s_lshl_b32 s19, s19, 5
	v_dual_add_nc_u32 v4, s19, v6 :: v_dual_bitop2_b32 v25, 7, v0 bitop3:0x40
	s_mov_b32 s0, s14
	s_delay_alu instid0(VALU_DEP_2) | instskip(NEXT) | instid1(VALU_DEP_2)
	v_dual_ashrrev_i32 v3, 31, v2 :: v_dual_add_nc_u32 v8, s19, v7
	v_dual_lshlrev_b32 v0, 2, v9 :: v_dual_ashrrev_i32 v5, 31, v4
	s_delay_alu instid0(VALU_DEP_3) | instskip(NEXT) | instid1(VALU_DEP_3)
	v_lshlrev_b32_e32 v16, 2, v25
	v_mul_u64_e32 v[10:11], s[0:1], v[2:3]
	s_delay_alu instid0(VALU_DEP_4) | instskip(NEXT) | instid1(VALU_DEP_4)
	v_dual_add_nc_u32 v14, 16, v8 :: v_dual_ashrrev_i32 v9, 31, v8
	v_mul_u64_e32 v[12:13], s[2:3], v[4:5]
	s_mov_b32 s26, s18
	v_cmp_gt_i32_e64 s0, s8, v2
	s_delay_alu instid0(VALU_DEP_3)
	v_ashrrev_i32_e32 v15, 31, v14
	v_cmp_gt_i32_e64 s1, s8, v4
	v_mul_u64_e32 v[2:3], s[26:27], v[8:9]
	v_lshl_or_b32 v26, v24, 7, v0
	v_lshl_or_b32 v6, v6, 5, v16
	v_mul_u64_e32 v[4:5], s[26:27], v[14:15]
	v_dual_add_nc_u32 v0, s28, v1 :: v_dual_lshlrev_b32 v28, 2, v1
	s_cmp_neq_f32 s10, 0
	s_delay_alu instid0(VALU_DEP_3) | instskip(SKIP_1) | instid1(VALU_DEP_3)
	v_add_nc_u32_e32 v27, 0x400, v6
	v_cmp_gt_i32_e32 vcc_lo, s8, v8
	v_dual_add_nc_u32 v6, 16, v0 :: v_dual_ashrrev_i32 v1, 31, v0
	s_cselect_b32 s29, -1, 0
	s_cmp_gt_i32 s9, 0
	v_cmp_le_i32_e64 s2, v0, v8
	s_delay_alu instid0(VALU_DEP_2)
	v_cmp_le_i32_e64 s3, v6, v8
	s_cselect_b32 s30, -1, 0
	s_cmp_neq_f32 s11, 0
	v_dual_ashrrev_i32 v7, 31, v6 :: v_dual_mov_b32 v9, 0
	v_lshlrev_b32_e32 v8, 2, v24
	s_cselect_b32 s14, -1, 0
	s_and_b32 s18, vcc_lo, s2
	s_and_b32 s19, vcc_lo, s3
	s_lshl_b64 s[2:3], s[4:5], 2
	v_mov_b32_e32 v17, v9
	v_lshl_add_u64 v[10:11], v[10:11], 2, s[2:3]
	s_lshl_b64 s[2:3], s[22:23], 2
	v_cmp_gt_i32_e32 vcc_lo, s8, v14
	v_lshl_add_u64 v[12:13], v[12:13], 2, s[2:3]
	v_cmp_le_i32_e64 s2, v0, v14
	v_cmp_le_i32_e64 s3, v6, v14
	v_add_nc_u64_e32 v[10:11], v[10:11], v[8:9]
	s_and_b32 s4, s29, s30
	v_add_nc_u64_e32 v[12:13], v[12:13], v[16:17]
	s_and_b32 s5, vcc_lo, s2
	s_and_b32 s8, vcc_lo, s3
	s_lshl_b64 s[2:3], s[24:25], 2
	s_branch .LBB309_6
.LBB309_5:                              ;   in Loop: Header=BB309_6 Depth=1
	s_wait_xcnt 0x0
	s_or_b32 exec_lo, exec_lo, s22
	s_add_co_i32 s20, s20, 0x10000
	s_delay_alu instid0(SALU_CYCLE_1)
	s_cmp_lt_u32 s20, s15
	s_cbranch_scc0 .LBB309_33
.LBB309_6:                              ; =>This Loop Header: Depth=1
                                        ;     Child Loop BB309_9 Depth 2
	v_dual_mov_b32 v8, s20 :: v_dual_mov_b32 v23, 0
	v_dual_mov_b32 v22, 0 :: v_dual_mov_b32 v15, 0
	v_mov_b32_e32 v14, 0
	global_load_b64 v[16:17], v8, s[16:17] scale_offset
	s_and_not1_b32 vcc_lo, exec_lo, s4
	s_cbranch_vccnz .LBB309_13
; %bb.7:                                ;   in Loop: Header=BB309_6 Depth=1
	s_lshl_b64 s[22:23], s[20:21], 3
	v_mov_b32_e32 v14, 0
	s_add_nc_u64 s[24:25], s[12:13], s[22:23]
	s_add_nc_u64 s[22:23], s[6:7], s[22:23]
	s_clause 0x1
	global_load_b64 v[18:19], v9, s[24:25]
	global_load_b64 v[20:21], v9, s[22:23]
	s_wait_xcnt 0x0
	s_mov_b32 s22, 0
	v_dual_mov_b32 v15, v14 :: v_dual_mov_b32 v22, v14
	v_mov_b32_e32 v23, v14
	s_wait_loadcnt 0x1
	v_add_nc_u64_e32 v[18:19], v[18:19], v[10:11]
	s_wait_loadcnt 0x0
	v_add_nc_u64_e32 v[20:21], v[20:21], v[12:13]
	s_branch .LBB309_9
.LBB309_8:                              ;   in Loop: Header=BB309_9 Depth=2
	s_wait_xcnt 0x0
	s_or_b32 exec_lo, exec_lo, s23
	s_wait_loadcnt_dscnt 0x0
	ds_store_b32 v27, v30
	s_wait_dscnt 0x0
	s_barrier_signal -1
	s_barrier_wait -1
	ds_load_b128 v[30:33], v29
	ds_load_2addr_b32 v[46:47], v28 offset1:16
	ds_load_b128 v[34:37], v29 offset:512
	ds_load_2addr_b32 v[48:49], v28 offset0:32 offset1:48
	ds_load_2addr_b32 v[50:51], v28 offset0:64 offset1:80
	ds_load_2addr_b32 v[52:53], v28 offset0:96 offset1:112
	ds_load_b128 v[38:41], v29 offset:16
	ds_load_2addr_b32 v[54:55], v28 offset0:128 offset1:144
	ds_load_b128 v[42:45], v29 offset:528
	v_add_nc_u64_e32 v[18:19], 32, v[18:19]
	v_add_nc_u64_e32 v[20:21], 32, v[20:21]
	s_add_co_i32 s22, s22, 8
	s_delay_alu instid0(SALU_CYCLE_1)
	s_cmp_lt_i32 s22, s9
	s_wait_dscnt 0x8
	v_mov_b32_e32 v8, v33
	s_wait_dscnt 0x7
	v_pk_fma_f32 v[22:23], v[46:47], v[30:31], v[22:23] op_sel_hi:[1,0,1]
	s_wait_dscnt 0x6
	v_pk_fma_f32 v[14:15], v[46:47], v[34:35], v[14:15] op_sel_hi:[1,0,1]
	ds_load_2addr_b32 v[46:47], v28 offset0:160 offset1:176
	s_wait_dscnt 0x6
	v_pk_fma_f32 v[22:23], v[48:49], v[30:31], v[22:23] op_sel:[0,1,0]
	v_pk_fma_f32 v[14:15], v[48:49], v[34:35], v[14:15] op_sel:[0,1,0]
	ds_load_2addr_b32 v[30:31], v28 offset0:192 offset1:208
	v_mov_b32_e32 v34, v37
	s_wait_dscnt 0x6
	v_pk_fma_f32 v[22:23], v[50:51], v[32:33], v[22:23] op_sel_hi:[1,0,1]
	v_pk_fma_f32 v[14:15], v[50:51], v[36:37], v[14:15] op_sel_hi:[1,0,1]
	ds_load_2addr_b32 v[32:33], v28 offset0:224 offset1:240
	s_wait_dscnt 0x0
	s_barrier_signal -1
	v_pk_fma_f32 v[22:23], v[52:53], v[8:9], v[22:23] op_sel_hi:[1,0,1]
	v_pk_fma_f32 v[14:15], v[52:53], v[34:35], v[14:15] op_sel_hi:[1,0,1]
	v_dual_mov_b32 v8, v41 :: v_dual_mov_b32 v34, v45
	s_barrier_wait -1
	s_delay_alu instid0(VALU_DEP_3) | instskip(NEXT) | instid1(VALU_DEP_3)
	v_pk_fma_f32 v[22:23], v[54:55], v[38:39], v[22:23] op_sel_hi:[1,0,1]
	v_pk_fma_f32 v[14:15], v[54:55], v[42:43], v[14:15] op_sel_hi:[1,0,1]
	s_delay_alu instid0(VALU_DEP_2) | instskip(NEXT) | instid1(VALU_DEP_2)
	v_pk_fma_f32 v[22:23], v[46:47], v[38:39], v[22:23] op_sel:[0,1,0]
	v_pk_fma_f32 v[14:15], v[46:47], v[42:43], v[14:15] op_sel:[0,1,0]
	s_delay_alu instid0(VALU_DEP_2) | instskip(NEXT) | instid1(VALU_DEP_2)
	v_pk_fma_f32 v[22:23], v[30:31], v[40:41], v[22:23] op_sel_hi:[1,0,1]
	v_pk_fma_f32 v[14:15], v[30:31], v[44:45], v[14:15] op_sel_hi:[1,0,1]
	s_delay_alu instid0(VALU_DEP_2) | instskip(NEXT) | instid1(VALU_DEP_2)
	v_pk_fma_f32 v[22:23], v[32:33], v[8:9], v[22:23] op_sel_hi:[1,0,1]
	v_pk_fma_f32 v[14:15], v[32:33], v[34:35], v[14:15] op_sel_hi:[1,0,1]
	s_cbranch_scc0 .LBB309_13
.LBB309_9:                              ;   Parent Loop BB309_6 Depth=1
                                        ; =>  This Inner Loop Header: Depth=2
	v_add_nc_u32_e32 v8, s22, v24
	s_delay_alu instid0(VALU_DEP_1) | instskip(SKIP_2) | instid1(SALU_CYCLE_1)
	v_cmp_gt_i32_e32 vcc_lo, s9, v8
	v_mov_b32_e32 v8, 0
	s_and_b32 s24, s0, vcc_lo
	s_and_saveexec_b32 s23, s24
	s_cbranch_execz .LBB309_11
; %bb.10:                               ;   in Loop: Header=BB309_9 Depth=2
	flat_load_b32 v8, v[18:19]
.LBB309_11:                             ;   in Loop: Header=BB309_9 Depth=2
	s_wait_xcnt 0x0
	s_or_b32 exec_lo, exec_lo, s23
	v_add_nc_u32_e32 v30, s22, v25
	s_wait_loadcnt_dscnt 0x0
	ds_store_b32 v26, v8
	v_cmp_gt_i32_e32 vcc_lo, s9, v30
	v_mov_b32_e32 v30, 0
	s_and_b32 s24, vcc_lo, s1
	s_delay_alu instid0(SALU_CYCLE_1)
	s_and_saveexec_b32 s23, s24
	s_cbranch_execz .LBB309_8
; %bb.12:                               ;   in Loop: Header=BB309_9 Depth=2
	flat_load_b32 v30, v[20:21]
	s_branch .LBB309_8
.LBB309_13:                             ;   in Loop: Header=BB309_6 Depth=1
	s_wait_loadcnt 0x0
	v_add_nc_u64_e32 v[16:17], s[2:3], v[16:17]
	s_delay_alu instid0(VALU_DEP_1)
	v_lshl_add_u64 v[18:19], v[2:3], 2, v[16:17]
	s_wait_xcnt 0x0
	s_and_saveexec_b32 s22, s18
	s_cbranch_execz .LBB309_17
; %bb.14:                               ;   in Loop: Header=BB309_6 Depth=1
	v_mul_f32_e32 v8, s10, v22
	v_lshl_add_u64 v[20:21], v[0:1], 2, v[18:19]
	s_and_b32 vcc_lo, exec_lo, s14
	s_cbranch_vccz .LBB309_28
; %bb.15:                               ;   in Loop: Header=BB309_6 Depth=1
	flat_load_b32 v22, v[20:21]
	s_wait_loadcnt_dscnt 0x0
	v_fma_f32 v22, s11, v22, v8
	flat_store_b32 v[20:21], v22
	s_cbranch_execnz .LBB309_17
.LBB309_16:                             ;   in Loop: Header=BB309_6 Depth=1
	flat_store_b32 v[20:21], v8
.LBB309_17:                             ;   in Loop: Header=BB309_6 Depth=1
	s_wait_xcnt 0x0
	s_or_b32 exec_lo, exec_lo, s22
	s_and_saveexec_b32 s22, s19
	s_cbranch_execz .LBB309_21
; %bb.18:                               ;   in Loop: Header=BB309_6 Depth=1
	v_mul_f32_e32 v8, s10, v23
	v_lshl_add_u64 v[18:19], v[6:7], 2, v[18:19]
	s_and_not1_b32 vcc_lo, exec_lo, s14
	s_cbranch_vccnz .LBB309_29
; %bb.19:                               ;   in Loop: Header=BB309_6 Depth=1
	flat_load_b32 v20, v[18:19]
	s_wait_loadcnt_dscnt 0x0
	v_fma_f32 v20, s11, v20, v8
	flat_store_b32 v[18:19], v20
	s_cbranch_execnz .LBB309_21
.LBB309_20:                             ;   in Loop: Header=BB309_6 Depth=1
	flat_store_b32 v[18:19], v8
.LBB309_21:                             ;   in Loop: Header=BB309_6 Depth=1
	s_wait_xcnt 0x0
	s_or_b32 exec_lo, exec_lo, s22
	v_lshl_add_u64 v[16:17], v[4:5], 2, v[16:17]
	s_and_saveexec_b32 s22, s5
	s_cbranch_execz .LBB309_25
; %bb.22:                               ;   in Loop: Header=BB309_6 Depth=1
	v_mul_f32_e32 v8, s10, v14
	s_delay_alu instid0(VALU_DEP_2)
	v_lshl_add_u64 v[18:19], v[0:1], 2, v[16:17]
	s_and_not1_b32 vcc_lo, exec_lo, s14
	s_cbranch_vccnz .LBB309_30
; %bb.23:                               ;   in Loop: Header=BB309_6 Depth=1
	flat_load_b32 v14, v[18:19]
	s_wait_loadcnt_dscnt 0x0
	v_fma_f32 v14, s11, v14, v8
	flat_store_b32 v[18:19], v14
	s_cbranch_execnz .LBB309_25
.LBB309_24:                             ;   in Loop: Header=BB309_6 Depth=1
	flat_store_b32 v[18:19], v8
.LBB309_25:                             ;   in Loop: Header=BB309_6 Depth=1
	s_wait_xcnt 0x0
	s_or_b32 exec_lo, exec_lo, s22
	s_and_saveexec_b32 s22, s8
	s_cbranch_execz .LBB309_5
; %bb.26:                               ;   in Loop: Header=BB309_6 Depth=1
	v_mul_f32_e32 v8, s10, v15
	v_lshl_add_u64 v[14:15], v[6:7], 2, v[16:17]
	s_and_not1_b32 vcc_lo, exec_lo, s14
	s_cbranch_vccnz .LBB309_31
; %bb.27:                               ;   in Loop: Header=BB309_6 Depth=1
	flat_load_b32 v16, v[14:15]
	s_wait_loadcnt_dscnt 0x0
	v_fma_f32 v16, s11, v16, v8
	flat_store_b32 v[14:15], v16
	s_cbranch_execnz .LBB309_5
	s_branch .LBB309_32
.LBB309_28:                             ;   in Loop: Header=BB309_6 Depth=1
	s_branch .LBB309_16
.LBB309_29:                             ;   in Loop: Header=BB309_6 Depth=1
	s_branch .LBB309_20
.LBB309_30:                             ;   in Loop: Header=BB309_6 Depth=1
	s_branch .LBB309_24
.LBB309_31:                             ;   in Loop: Header=BB309_6 Depth=1
.LBB309_32:                             ;   in Loop: Header=BB309_6 Depth=1
	flat_store_b32 v[14:15], v8
	s_branch .LBB309_5
.LBB309_33:
	s_endpgm
	.section	.rodata,"a",@progbits
	.p2align	6, 0x0
	.amdhsa_kernel _ZL29rocblas_internal_gemmt_kernelIiLi16ELi32ELi8ELc84ELc78ELc85ELb0ELb0EffPKPKfPKPfEviT_T9_T10_S7_lS9_S7_lS8_T11_S7_li
		.amdhsa_group_segment_fixed_size 2048
		.amdhsa_private_segment_fixed_size 0
		.amdhsa_kernarg_size 100
		.amdhsa_user_sgpr_count 2
		.amdhsa_user_sgpr_dispatch_ptr 0
		.amdhsa_user_sgpr_queue_ptr 0
		.amdhsa_user_sgpr_kernarg_segment_ptr 1
		.amdhsa_user_sgpr_dispatch_id 0
		.amdhsa_user_sgpr_kernarg_preload_length 0
		.amdhsa_user_sgpr_kernarg_preload_offset 0
		.amdhsa_user_sgpr_private_segment_size 0
		.amdhsa_wavefront_size32 1
		.amdhsa_uses_dynamic_stack 0
		.amdhsa_enable_private_segment 0
		.amdhsa_system_sgpr_workgroup_id_x 1
		.amdhsa_system_sgpr_workgroup_id_y 1
		.amdhsa_system_sgpr_workgroup_id_z 1
		.amdhsa_system_sgpr_workgroup_info 0
		.amdhsa_system_vgpr_workitem_id 1
		.amdhsa_next_free_vgpr 56
		.amdhsa_next_free_sgpr 31
		.amdhsa_named_barrier_count 0
		.amdhsa_reserve_vcc 1
		.amdhsa_float_round_mode_32 0
		.amdhsa_float_round_mode_16_64 0
		.amdhsa_float_denorm_mode_32 3
		.amdhsa_float_denorm_mode_16_64 3
		.amdhsa_fp16_overflow 0
		.amdhsa_memory_ordered 1
		.amdhsa_forward_progress 1
		.amdhsa_inst_pref_size 14
		.amdhsa_round_robin_scheduling 0
		.amdhsa_exception_fp_ieee_invalid_op 0
		.amdhsa_exception_fp_denorm_src 0
		.amdhsa_exception_fp_ieee_div_zero 0
		.amdhsa_exception_fp_ieee_overflow 0
		.amdhsa_exception_fp_ieee_underflow 0
		.amdhsa_exception_fp_ieee_inexact 0
		.amdhsa_exception_int_div_zero 0
	.end_amdhsa_kernel
	.section	.text._ZL29rocblas_internal_gemmt_kernelIiLi16ELi32ELi8ELc84ELc78ELc85ELb0ELb0EffPKPKfPKPfEviT_T9_T10_S7_lS9_S7_lS8_T11_S7_li,"axG",@progbits,_ZL29rocblas_internal_gemmt_kernelIiLi16ELi32ELi8ELc84ELc78ELc85ELb0ELb0EffPKPKfPKPfEviT_T9_T10_S7_lS9_S7_lS8_T11_S7_li,comdat
.Lfunc_end309:
	.size	_ZL29rocblas_internal_gemmt_kernelIiLi16ELi32ELi8ELc84ELc78ELc85ELb0ELb0EffPKPKfPKPfEviT_T9_T10_S7_lS9_S7_lS8_T11_S7_li, .Lfunc_end309-_ZL29rocblas_internal_gemmt_kernelIiLi16ELi32ELi8ELc84ELc78ELc85ELb0ELb0EffPKPKfPKPfEviT_T9_T10_S7_lS9_S7_lS8_T11_S7_li
                                        ; -- End function
	.set _ZL29rocblas_internal_gemmt_kernelIiLi16ELi32ELi8ELc84ELc78ELc85ELb0ELb0EffPKPKfPKPfEviT_T9_T10_S7_lS9_S7_lS8_T11_S7_li.num_vgpr, 56
	.set _ZL29rocblas_internal_gemmt_kernelIiLi16ELi32ELi8ELc84ELc78ELc85ELb0ELb0EffPKPKfPKPfEviT_T9_T10_S7_lS9_S7_lS8_T11_S7_li.num_agpr, 0
	.set _ZL29rocblas_internal_gemmt_kernelIiLi16ELi32ELi8ELc84ELc78ELc85ELb0ELb0EffPKPKfPKPfEviT_T9_T10_S7_lS9_S7_lS8_T11_S7_li.numbered_sgpr, 31
	.set _ZL29rocblas_internal_gemmt_kernelIiLi16ELi32ELi8ELc84ELc78ELc85ELb0ELb0EffPKPKfPKPfEviT_T9_T10_S7_lS9_S7_lS8_T11_S7_li.num_named_barrier, 0
	.set _ZL29rocblas_internal_gemmt_kernelIiLi16ELi32ELi8ELc84ELc78ELc85ELb0ELb0EffPKPKfPKPfEviT_T9_T10_S7_lS9_S7_lS8_T11_S7_li.private_seg_size, 0
	.set _ZL29rocblas_internal_gemmt_kernelIiLi16ELi32ELi8ELc84ELc78ELc85ELb0ELb0EffPKPKfPKPfEviT_T9_T10_S7_lS9_S7_lS8_T11_S7_li.uses_vcc, 1
	.set _ZL29rocblas_internal_gemmt_kernelIiLi16ELi32ELi8ELc84ELc78ELc85ELb0ELb0EffPKPKfPKPfEviT_T9_T10_S7_lS9_S7_lS8_T11_S7_li.uses_flat_scratch, 0
	.set _ZL29rocblas_internal_gemmt_kernelIiLi16ELi32ELi8ELc84ELc78ELc85ELb0ELb0EffPKPKfPKPfEviT_T9_T10_S7_lS9_S7_lS8_T11_S7_li.has_dyn_sized_stack, 0
	.set _ZL29rocblas_internal_gemmt_kernelIiLi16ELi32ELi8ELc84ELc78ELc85ELb0ELb0EffPKPKfPKPfEviT_T9_T10_S7_lS9_S7_lS8_T11_S7_li.has_recursion, 0
	.set _ZL29rocblas_internal_gemmt_kernelIiLi16ELi32ELi8ELc84ELc78ELc85ELb0ELb0EffPKPKfPKPfEviT_T9_T10_S7_lS9_S7_lS8_T11_S7_li.has_indirect_call, 0
	.section	.AMDGPU.csdata,"",@progbits
; Kernel info:
; codeLenInByte = 1688
; TotalNumSgprs: 33
; NumVgprs: 56
; ScratchSize: 0
; MemoryBound: 0
; FloatMode: 240
; IeeeMode: 1
; LDSByteSize: 2048 bytes/workgroup (compile time only)
; SGPRBlocks: 0
; VGPRBlocks: 3
; NumSGPRsForWavesPerEU: 33
; NumVGPRsForWavesPerEU: 56
; NamedBarCnt: 0
; Occupancy: 16
; WaveLimiterHint : 1
; COMPUTE_PGM_RSRC2:SCRATCH_EN: 0
; COMPUTE_PGM_RSRC2:USER_SGPR: 2
; COMPUTE_PGM_RSRC2:TRAP_HANDLER: 0
; COMPUTE_PGM_RSRC2:TGID_X_EN: 1
; COMPUTE_PGM_RSRC2:TGID_Y_EN: 1
; COMPUTE_PGM_RSRC2:TGID_Z_EN: 1
; COMPUTE_PGM_RSRC2:TIDIG_COMP_CNT: 1
	.section	.text._ZL29rocblas_internal_gemmt_kernelIiLi16ELi32ELi8ELc84ELc84ELc85ELb0ELb0EffPKPKfPKPfEviT_T9_T10_S7_lS9_S7_lS8_T11_S7_li,"axG",@progbits,_ZL29rocblas_internal_gemmt_kernelIiLi16ELi32ELi8ELc84ELc84ELc85ELb0ELb0EffPKPKfPKPfEviT_T9_T10_S7_lS9_S7_lS8_T11_S7_li,comdat
	.globl	_ZL29rocblas_internal_gemmt_kernelIiLi16ELi32ELi8ELc84ELc84ELc85ELb0ELb0EffPKPKfPKPfEviT_T9_T10_S7_lS9_S7_lS8_T11_S7_li ; -- Begin function _ZL29rocblas_internal_gemmt_kernelIiLi16ELi32ELi8ELc84ELc84ELc85ELb0ELb0EffPKPKfPKPfEviT_T9_T10_S7_lS9_S7_lS8_T11_S7_li
	.p2align	8
	.type	_ZL29rocblas_internal_gemmt_kernelIiLi16ELi32ELi8ELc84ELc84ELc85ELb0ELb0EffPKPKfPKPfEviT_T9_T10_S7_lS9_S7_lS8_T11_S7_li,@function
_ZL29rocblas_internal_gemmt_kernelIiLi16ELi32ELi8ELc84ELc84ELc85ELb0ELb0EffPKPKfPKPfEviT_T9_T10_S7_lS9_S7_lS8_T11_S7_li: ; @_ZL29rocblas_internal_gemmt_kernelIiLi16ELi32ELi8ELc84ELc84ELc85ELb0ELb0EffPKPKfPKPfEviT_T9_T10_S7_lS9_S7_lS8_T11_S7_li
; %bb.0:
	s_clause 0x1
	s_load_b32 s11, s[0:1], 0x40
	s_load_b96 s[8:10], s[0:1], 0x0
	s_wait_kmcnt 0x0
	s_cmp_neq_f32 s11, 1.0
	s_cselect_b32 s2, -1, 0
	s_delay_alu instid0(SALU_CYCLE_1)
	s_and_b32 vcc_lo, exec_lo, s2
	s_cbranch_vccnz .LBB310_2
; %bb.1:
	s_cmp_lg_u32 s9, 0
	s_cselect_b32 s2, -1, 0
	s_cmp_neq_f32 s10, 0
	s_cselect_b32 s3, -1, 0
	s_delay_alu instid0(SALU_CYCLE_1)
	s_and_b32 s2, s2, s3
.LBB310_2:
	s_delay_alu instid0(SALU_CYCLE_1)
	s_and_not1_b32 vcc_lo, exec_lo, s2
	s_cbranch_vccnz .LBB310_33
; %bb.3:
	s_load_b32 s15, s[0:1], 0x60
	s_bfe_u32 s2, ttmp6, 0x40014
	s_lshr_b32 s3, ttmp7, 16
	s_add_co_i32 s2, s2, 1
	s_bfe_u32 s5, ttmp6, 0x40008
	s_mul_i32 s4, s3, s2
	s_getreg_b32 s2, hwreg(HW_REG_IB_STS2, 6, 4)
	s_add_co_i32 s5, s5, s4
	s_cmp_eq_u32 s2, 0
	s_mov_b32 s21, 0
	s_cselect_b32 s20, s3, s5
	s_wait_kmcnt 0x0
	s_cmp_ge_u32 s20, s15
	s_cbranch_scc1 .LBB310_33
; %bb.4:
	s_clause 0x2
	s_load_b96 s[12:14], s[0:1], 0x10
	s_load_b32 s22, s[0:1], 0x30
	s_load_b96 s[16:18], s[0:1], 0x48
	v_and_b32_e32 v2, 0x3ff, v0
	v_bfe_u32 v11, v0, 10, 10
	s_clause 0x2
	s_load_b128 s[4:7], s[0:1], 0x20
	s_load_b64 s[24:25], s[0:1], 0x38
	s_load_b64 s[26:27], s[0:1], 0x58
	s_wait_xcnt 0x0
	s_bfe_u32 s0, ttmp6, 0x4000c
	s_bfe_u32 s1, ttmp6, 0x40010
	s_and_b32 s28, ttmp7, 0xffff
	s_add_co_i32 s29, s0, 1
	s_add_co_i32 s30, s1, 1
	v_lshl_add_u32 v1, v11, 4, v2
	s_and_b32 s19, ttmp6, 15
	v_and_b32_e32 v0, 7, v0
	v_lshl_add_u32 v29, v11, 5, 0x400
	s_delay_alu instid0(VALU_DEP_3)
	v_dual_mov_b32 v3, 0 :: v_dual_bitop2_b32 v6, 31, v1 bitop3:0x40
	v_dual_lshrrev_b32 v7, 3, v1 :: v_dual_lshrrev_b32 v26, 5, v1
	v_lshlrev_b32_e32 v28, 2, v2
	s_wait_kmcnt 0x0
	s_ashr_i32 s1, s14, 31
	s_mov_b32 s0, s14
	s_mul_i32 s14, ttmp9, s29
	s_mul_i32 s29, s28, s30
	s_bfe_u32 s30, ttmp6, 0x40004
	s_ashr_i32 s23, s22, 31
	s_ashr_i32 s3, s18, 31
	s_add_co_i32 s19, s19, s14
	s_add_co_i32 s30, s30, s29
	s_cmp_eq_u32 s2, 0
	s_cselect_b32 s2, ttmp9, s19
	s_cselect_b32 s14, s28, s30
	s_lshl_b32 s19, s2, 5
	s_lshl_b32 s14, s14, 5
	v_dual_mov_b32 v1, v3 :: v_dual_bitop2_b32 v4, s19, v6 bitop3:0x54
	v_add_nc_u32_e32 v12, s14, v11
	v_add_nc_u32_e32 v14, s14, v7
	s_mov_b32 s2, s18
	s_delay_alu instid0(VALU_DEP_3) | instskip(SKIP_3) | instid1(VALU_DEP_4)
	v_ashrrev_i32_e32 v5, 31, v4
	v_mul_u64_e32 v[18:19], s[22:23], v[0:1]
	v_dual_add_nc_u32 v20, 16, v12 :: v_dual_ashrrev_i32 v13, 31, v12
	v_ashrrev_i32_e32 v15, 31, v14
	v_mul_u64_e32 v[16:17], s[0:1], v[4:5]
	v_dual_lshlrev_b32 v5, 2, v6 :: v_dual_lshlrev_b32 v6, 2, v0
	s_delay_alu instid0(VALU_DEP_4) | instskip(SKIP_2) | instid1(VALU_DEP_4)
	v_ashrrev_i32_e32 v21, 31, v20
	v_cmp_gt_i32_e64 s0, s8, v4
	v_add_nc_u32_e32 v4, s19, v2
	v_lshl_or_b32 v1, v26, 7, v5
	v_lshl_or_b32 v5, v7, 5, v6
	v_mul_u64_e32 v[6:7], s[2:3], v[12:13]
	v_mul_u64_e32 v[8:9], s[2:3], v[20:21]
	s_cmp_neq_f32 s10, 0
	v_add_nc_u32_e32 v10, 16, v4
	v_add_nc_u32_e32 v27, 0x400, v5
	v_cmp_gt_i32_e32 vcc_lo, s8, v12
	s_cselect_b32 s28, -1, 0
	s_cmp_gt_i32 s9, 0
	v_cmp_le_i32_e64 s2, v4, v12
	s_cselect_b32 s29, -1, 0
	s_cmp_neq_f32 s11, 0
	v_ashrrev_i32_e32 v5, 31, v4
	v_cmp_le_i32_e64 s3, v10, v12
	v_lshlrev_b32_e32 v2, 2, v26
	s_cselect_b32 s14, -1, 0
	s_lshl_b64 s[4:5], s[4:5], 2
	s_and_b32 s18, vcc_lo, s2
	s_and_b32 s19, vcc_lo, s3
	v_cmp_gt_i32_e32 vcc_lo, s8, v20
	v_cmp_le_i32_e64 s2, v4, v20
	v_cmp_gt_i32_e64 s1, s8, v14
	v_ashrrev_i32_e32 v11, 31, v10
	v_lshl_add_u64 v[12:13], v[16:17], 2, s[4:5]
	s_lshl_b64 s[4:5], s[24:25], 2
	s_and_b32 s8, vcc_lo, s2
	v_lshl_add_u64 v[16:17], v[18:19], 2, s[4:5]
	v_cmp_le_i32_e64 s2, v10, v20
	v_add_nc_u64_e32 v[12:13], v[12:13], v[2:3]
	s_and_b32 s24, s28, s29
	s_lshl_b64 s[4:5], s[26:27], 2
	v_lshl_add_u64 v[14:15], v[14:15], 2, v[16:17]
	s_and_b32 s25, vcc_lo, s2
	s_lshl_b64 s[2:3], s[22:23], 5
	s_branch .LBB310_6
.LBB310_5:                              ;   in Loop: Header=BB310_6 Depth=1
	s_wait_xcnt 0x0
	s_or_b32 exec_lo, exec_lo, s22
	s_add_co_i32 s20, s20, 0x10000
	s_delay_alu instid0(SALU_CYCLE_1)
	s_cmp_lt_u32 s20, s15
	s_cbranch_scc0 .LBB310_33
.LBB310_6:                              ; =>This Loop Header: Depth=1
                                        ;     Child Loop BB310_9 Depth 2
	v_dual_mov_b32 v2, s20 :: v_dual_mov_b32 v25, 0
	v_dual_mov_b32 v24, 0 :: v_dual_mov_b32 v17, 0
	v_mov_b32_e32 v16, 0
	global_load_b64 v[18:19], v2, s[16:17] scale_offset
	s_and_not1_b32 vcc_lo, exec_lo, s24
	s_cbranch_vccnz .LBB310_13
; %bb.7:                                ;   in Loop: Header=BB310_6 Depth=1
	s_lshl_b64 s[22:23], s[20:21], 3
	v_mov_b32_e32 v16, 0
	s_add_nc_u64 s[26:27], s[12:13], s[22:23]
	s_add_nc_u64 s[22:23], s[6:7], s[22:23]
	s_clause 0x1
	global_load_b64 v[20:21], v3, s[26:27]
	global_load_b64 v[22:23], v3, s[22:23]
	s_wait_xcnt 0x0
	s_mov_b32 s22, 0
	v_dual_mov_b32 v17, v16 :: v_dual_mov_b32 v24, v16
	v_mov_b32_e32 v25, v16
	s_wait_loadcnt 0x1
	v_add_nc_u64_e32 v[20:21], v[20:21], v[12:13]
	s_wait_loadcnt 0x0
	v_add_nc_u64_e32 v[22:23], v[22:23], v[14:15]
	s_branch .LBB310_9
.LBB310_8:                              ;   in Loop: Header=BB310_9 Depth=2
	s_wait_xcnt 0x0
	s_or_b32 exec_lo, exec_lo, s23
	s_wait_loadcnt_dscnt 0x0
	ds_store_b32 v27, v30
	s_wait_dscnt 0x0
	s_barrier_signal -1
	s_barrier_wait -1
	ds_load_b128 v[30:33], v29
	ds_load_2addr_b32 v[46:47], v28 offset1:16
	ds_load_b128 v[34:37], v29 offset:512
	ds_load_2addr_b32 v[48:49], v28 offset0:32 offset1:48
	ds_load_2addr_b32 v[50:51], v28 offset0:64 offset1:80
	;; [unrolled: 1-line block ×3, first 2 shown]
	ds_load_b128 v[38:41], v29 offset:16
	ds_load_2addr_b32 v[54:55], v28 offset0:128 offset1:144
	ds_load_b128 v[42:45], v29 offset:528
	v_add_nc_u64_e32 v[20:21], 32, v[20:21]
	v_add_nc_u64_e32 v[22:23], s[2:3], v[22:23]
	s_add_co_i32 s22, s22, 8
	s_delay_alu instid0(SALU_CYCLE_1)
	s_cmp_lt_i32 s22, s9
	s_wait_dscnt 0x8
	v_mov_b32_e32 v2, v33
	s_wait_dscnt 0x7
	v_pk_fma_f32 v[24:25], v[46:47], v[30:31], v[24:25] op_sel_hi:[1,0,1]
	s_wait_dscnt 0x6
	v_pk_fma_f32 v[16:17], v[46:47], v[34:35], v[16:17] op_sel_hi:[1,0,1]
	ds_load_2addr_b32 v[46:47], v28 offset0:160 offset1:176
	s_wait_dscnt 0x6
	v_pk_fma_f32 v[24:25], v[48:49], v[30:31], v[24:25] op_sel:[0,1,0]
	v_pk_fma_f32 v[16:17], v[48:49], v[34:35], v[16:17] op_sel:[0,1,0]
	ds_load_2addr_b32 v[30:31], v28 offset0:192 offset1:208
	v_mov_b32_e32 v34, v37
	s_wait_dscnt 0x6
	v_pk_fma_f32 v[24:25], v[50:51], v[32:33], v[24:25] op_sel_hi:[1,0,1]
	v_pk_fma_f32 v[16:17], v[50:51], v[36:37], v[16:17] op_sel_hi:[1,0,1]
	ds_load_2addr_b32 v[32:33], v28 offset0:224 offset1:240
	s_wait_dscnt 0x0
	s_barrier_signal -1
	v_pk_fma_f32 v[24:25], v[52:53], v[2:3], v[24:25] op_sel_hi:[1,0,1]
	v_pk_fma_f32 v[16:17], v[52:53], v[34:35], v[16:17] op_sel_hi:[1,0,1]
	v_dual_mov_b32 v2, v41 :: v_dual_mov_b32 v34, v45
	s_barrier_wait -1
	s_delay_alu instid0(VALU_DEP_3) | instskip(NEXT) | instid1(VALU_DEP_3)
	v_pk_fma_f32 v[24:25], v[54:55], v[38:39], v[24:25] op_sel_hi:[1,0,1]
	v_pk_fma_f32 v[16:17], v[54:55], v[42:43], v[16:17] op_sel_hi:[1,0,1]
	s_delay_alu instid0(VALU_DEP_2) | instskip(NEXT) | instid1(VALU_DEP_2)
	v_pk_fma_f32 v[24:25], v[46:47], v[38:39], v[24:25] op_sel:[0,1,0]
	v_pk_fma_f32 v[16:17], v[46:47], v[42:43], v[16:17] op_sel:[0,1,0]
	s_delay_alu instid0(VALU_DEP_2) | instskip(NEXT) | instid1(VALU_DEP_2)
	v_pk_fma_f32 v[24:25], v[30:31], v[40:41], v[24:25] op_sel_hi:[1,0,1]
	v_pk_fma_f32 v[16:17], v[30:31], v[44:45], v[16:17] op_sel_hi:[1,0,1]
	s_delay_alu instid0(VALU_DEP_2) | instskip(NEXT) | instid1(VALU_DEP_2)
	v_pk_fma_f32 v[24:25], v[32:33], v[2:3], v[24:25] op_sel_hi:[1,0,1]
	v_pk_fma_f32 v[16:17], v[32:33], v[34:35], v[16:17] op_sel_hi:[1,0,1]
	s_cbranch_scc0 .LBB310_13
.LBB310_9:                              ;   Parent Loop BB310_6 Depth=1
                                        ; =>  This Inner Loop Header: Depth=2
	v_add_nc_u32_e32 v2, s22, v26
	s_delay_alu instid0(VALU_DEP_1) | instskip(SKIP_2) | instid1(SALU_CYCLE_1)
	v_cmp_gt_i32_e32 vcc_lo, s9, v2
	v_mov_b32_e32 v2, 0
	s_and_b32 s26, s0, vcc_lo
	s_and_saveexec_b32 s23, s26
	s_cbranch_execz .LBB310_11
; %bb.10:                               ;   in Loop: Header=BB310_9 Depth=2
	flat_load_b32 v2, v[20:21]
.LBB310_11:                             ;   in Loop: Header=BB310_9 Depth=2
	s_wait_xcnt 0x0
	s_or_b32 exec_lo, exec_lo, s23
	v_add_nc_u32_e32 v30, s22, v0
	s_wait_loadcnt_dscnt 0x0
	ds_store_b32 v1, v2
	v_cmp_gt_i32_e32 vcc_lo, s9, v30
	v_mov_b32_e32 v30, 0
	s_and_b32 s26, vcc_lo, s1
	s_delay_alu instid0(SALU_CYCLE_1)
	s_and_saveexec_b32 s23, s26
	s_cbranch_execz .LBB310_8
; %bb.12:                               ;   in Loop: Header=BB310_9 Depth=2
	flat_load_b32 v30, v[22:23]
	s_branch .LBB310_8
.LBB310_13:                             ;   in Loop: Header=BB310_6 Depth=1
	s_wait_loadcnt 0x0
	v_add_nc_u64_e32 v[18:19], s[4:5], v[18:19]
	s_delay_alu instid0(VALU_DEP_1)
	v_lshl_add_u64 v[20:21], v[6:7], 2, v[18:19]
	s_wait_xcnt 0x0
	s_and_saveexec_b32 s22, s18
	s_cbranch_execz .LBB310_17
; %bb.14:                               ;   in Loop: Header=BB310_6 Depth=1
	v_mul_f32_e32 v2, s10, v24
	v_lshl_add_u64 v[22:23], v[4:5], 2, v[20:21]
	s_and_b32 vcc_lo, exec_lo, s14
	s_cbranch_vccz .LBB310_28
; %bb.15:                               ;   in Loop: Header=BB310_6 Depth=1
	flat_load_b32 v24, v[22:23]
	s_wait_loadcnt_dscnt 0x0
	v_fma_f32 v24, s11, v24, v2
	flat_store_b32 v[22:23], v24
	s_cbranch_execnz .LBB310_17
.LBB310_16:                             ;   in Loop: Header=BB310_6 Depth=1
	flat_store_b32 v[22:23], v2
.LBB310_17:                             ;   in Loop: Header=BB310_6 Depth=1
	s_wait_xcnt 0x0
	s_or_b32 exec_lo, exec_lo, s22
	s_and_saveexec_b32 s22, s19
	s_cbranch_execz .LBB310_21
; %bb.18:                               ;   in Loop: Header=BB310_6 Depth=1
	v_mul_f32_e32 v2, s10, v25
	v_lshl_add_u64 v[20:21], v[10:11], 2, v[20:21]
	s_and_not1_b32 vcc_lo, exec_lo, s14
	s_cbranch_vccnz .LBB310_29
; %bb.19:                               ;   in Loop: Header=BB310_6 Depth=1
	flat_load_b32 v22, v[20:21]
	s_wait_loadcnt_dscnt 0x0
	v_fma_f32 v22, s11, v22, v2
	flat_store_b32 v[20:21], v22
	s_cbranch_execnz .LBB310_21
.LBB310_20:                             ;   in Loop: Header=BB310_6 Depth=1
	flat_store_b32 v[20:21], v2
.LBB310_21:                             ;   in Loop: Header=BB310_6 Depth=1
	s_wait_xcnt 0x0
	s_or_b32 exec_lo, exec_lo, s22
	v_lshl_add_u64 v[18:19], v[8:9], 2, v[18:19]
	s_and_saveexec_b32 s22, s8
	s_cbranch_execz .LBB310_25
; %bb.22:                               ;   in Loop: Header=BB310_6 Depth=1
	v_mul_f32_e32 v2, s10, v16
	s_delay_alu instid0(VALU_DEP_2)
	v_lshl_add_u64 v[20:21], v[4:5], 2, v[18:19]
	s_and_not1_b32 vcc_lo, exec_lo, s14
	s_cbranch_vccnz .LBB310_30
; %bb.23:                               ;   in Loop: Header=BB310_6 Depth=1
	flat_load_b32 v16, v[20:21]
	s_wait_loadcnt_dscnt 0x0
	v_fma_f32 v16, s11, v16, v2
	flat_store_b32 v[20:21], v16
	s_cbranch_execnz .LBB310_25
.LBB310_24:                             ;   in Loop: Header=BB310_6 Depth=1
	flat_store_b32 v[20:21], v2
.LBB310_25:                             ;   in Loop: Header=BB310_6 Depth=1
	s_wait_xcnt 0x0
	s_or_b32 exec_lo, exec_lo, s22
	s_and_saveexec_b32 s22, s25
	s_cbranch_execz .LBB310_5
; %bb.26:                               ;   in Loop: Header=BB310_6 Depth=1
	v_mul_f32_e32 v2, s10, v17
	v_lshl_add_u64 v[16:17], v[10:11], 2, v[18:19]
	s_and_not1_b32 vcc_lo, exec_lo, s14
	s_cbranch_vccnz .LBB310_31
; %bb.27:                               ;   in Loop: Header=BB310_6 Depth=1
	flat_load_b32 v18, v[16:17]
	s_wait_loadcnt_dscnt 0x0
	v_fma_f32 v18, s11, v18, v2
	flat_store_b32 v[16:17], v18
	s_cbranch_execnz .LBB310_5
	s_branch .LBB310_32
.LBB310_28:                             ;   in Loop: Header=BB310_6 Depth=1
	s_branch .LBB310_16
.LBB310_29:                             ;   in Loop: Header=BB310_6 Depth=1
	s_branch .LBB310_20
.LBB310_30:                             ;   in Loop: Header=BB310_6 Depth=1
	s_branch .LBB310_24
.LBB310_31:                             ;   in Loop: Header=BB310_6 Depth=1
.LBB310_32:                             ;   in Loop: Header=BB310_6 Depth=1
	flat_store_b32 v[16:17], v2
	s_branch .LBB310_5
.LBB310_33:
	s_endpgm
	.section	.rodata,"a",@progbits
	.p2align	6, 0x0
	.amdhsa_kernel _ZL29rocblas_internal_gemmt_kernelIiLi16ELi32ELi8ELc84ELc84ELc85ELb0ELb0EffPKPKfPKPfEviT_T9_T10_S7_lS9_S7_lS8_T11_S7_li
		.amdhsa_group_segment_fixed_size 2048
		.amdhsa_private_segment_fixed_size 0
		.amdhsa_kernarg_size 100
		.amdhsa_user_sgpr_count 2
		.amdhsa_user_sgpr_dispatch_ptr 0
		.amdhsa_user_sgpr_queue_ptr 0
		.amdhsa_user_sgpr_kernarg_segment_ptr 1
		.amdhsa_user_sgpr_dispatch_id 0
		.amdhsa_user_sgpr_kernarg_preload_length 0
		.amdhsa_user_sgpr_kernarg_preload_offset 0
		.amdhsa_user_sgpr_private_segment_size 0
		.amdhsa_wavefront_size32 1
		.amdhsa_uses_dynamic_stack 0
		.amdhsa_enable_private_segment 0
		.amdhsa_system_sgpr_workgroup_id_x 1
		.amdhsa_system_sgpr_workgroup_id_y 1
		.amdhsa_system_sgpr_workgroup_id_z 1
		.amdhsa_system_sgpr_workgroup_info 0
		.amdhsa_system_vgpr_workitem_id 1
		.amdhsa_next_free_vgpr 56
		.amdhsa_next_free_sgpr 31
		.amdhsa_named_barrier_count 0
		.amdhsa_reserve_vcc 1
		.amdhsa_float_round_mode_32 0
		.amdhsa_float_round_mode_16_64 0
		.amdhsa_float_denorm_mode_32 3
		.amdhsa_float_denorm_mode_16_64 3
		.amdhsa_fp16_overflow 0
		.amdhsa_memory_ordered 1
		.amdhsa_forward_progress 1
		.amdhsa_inst_pref_size 13
		.amdhsa_round_robin_scheduling 0
		.amdhsa_exception_fp_ieee_invalid_op 0
		.amdhsa_exception_fp_denorm_src 0
		.amdhsa_exception_fp_ieee_div_zero 0
		.amdhsa_exception_fp_ieee_overflow 0
		.amdhsa_exception_fp_ieee_underflow 0
		.amdhsa_exception_fp_ieee_inexact 0
		.amdhsa_exception_int_div_zero 0
	.end_amdhsa_kernel
	.section	.text._ZL29rocblas_internal_gemmt_kernelIiLi16ELi32ELi8ELc84ELc84ELc85ELb0ELb0EffPKPKfPKPfEviT_T9_T10_S7_lS9_S7_lS8_T11_S7_li,"axG",@progbits,_ZL29rocblas_internal_gemmt_kernelIiLi16ELi32ELi8ELc84ELc84ELc85ELb0ELb0EffPKPKfPKPfEviT_T9_T10_S7_lS9_S7_lS8_T11_S7_li,comdat
.Lfunc_end310:
	.size	_ZL29rocblas_internal_gemmt_kernelIiLi16ELi32ELi8ELc84ELc84ELc85ELb0ELb0EffPKPKfPKPfEviT_T9_T10_S7_lS9_S7_lS8_T11_S7_li, .Lfunc_end310-_ZL29rocblas_internal_gemmt_kernelIiLi16ELi32ELi8ELc84ELc84ELc85ELb0ELb0EffPKPKfPKPfEviT_T9_T10_S7_lS9_S7_lS8_T11_S7_li
                                        ; -- End function
	.set _ZL29rocblas_internal_gemmt_kernelIiLi16ELi32ELi8ELc84ELc84ELc85ELb0ELb0EffPKPKfPKPfEviT_T9_T10_S7_lS9_S7_lS8_T11_S7_li.num_vgpr, 56
	.set _ZL29rocblas_internal_gemmt_kernelIiLi16ELi32ELi8ELc84ELc84ELc85ELb0ELb0EffPKPKfPKPfEviT_T9_T10_S7_lS9_S7_lS8_T11_S7_li.num_agpr, 0
	.set _ZL29rocblas_internal_gemmt_kernelIiLi16ELi32ELi8ELc84ELc84ELc85ELb0ELb0EffPKPKfPKPfEviT_T9_T10_S7_lS9_S7_lS8_T11_S7_li.numbered_sgpr, 31
	.set _ZL29rocblas_internal_gemmt_kernelIiLi16ELi32ELi8ELc84ELc84ELc85ELb0ELb0EffPKPKfPKPfEviT_T9_T10_S7_lS9_S7_lS8_T11_S7_li.num_named_barrier, 0
	.set _ZL29rocblas_internal_gemmt_kernelIiLi16ELi32ELi8ELc84ELc84ELc85ELb0ELb0EffPKPKfPKPfEviT_T9_T10_S7_lS9_S7_lS8_T11_S7_li.private_seg_size, 0
	.set _ZL29rocblas_internal_gemmt_kernelIiLi16ELi32ELi8ELc84ELc84ELc85ELb0ELb0EffPKPKfPKPfEviT_T9_T10_S7_lS9_S7_lS8_T11_S7_li.uses_vcc, 1
	.set _ZL29rocblas_internal_gemmt_kernelIiLi16ELi32ELi8ELc84ELc84ELc85ELb0ELb0EffPKPKfPKPfEviT_T9_T10_S7_lS9_S7_lS8_T11_S7_li.uses_flat_scratch, 0
	.set _ZL29rocblas_internal_gemmt_kernelIiLi16ELi32ELi8ELc84ELc84ELc85ELb0ELb0EffPKPKfPKPfEviT_T9_T10_S7_lS9_S7_lS8_T11_S7_li.has_dyn_sized_stack, 0
	.set _ZL29rocblas_internal_gemmt_kernelIiLi16ELi32ELi8ELc84ELc84ELc85ELb0ELb0EffPKPKfPKPfEviT_T9_T10_S7_lS9_S7_lS8_T11_S7_li.has_recursion, 0
	.set _ZL29rocblas_internal_gemmt_kernelIiLi16ELi32ELi8ELc84ELc84ELc85ELb0ELb0EffPKPKfPKPfEviT_T9_T10_S7_lS9_S7_lS8_T11_S7_li.has_indirect_call, 0
	.section	.AMDGPU.csdata,"",@progbits
; Kernel info:
; codeLenInByte = 1664
; TotalNumSgprs: 33
; NumVgprs: 56
; ScratchSize: 0
; MemoryBound: 0
; FloatMode: 240
; IeeeMode: 1
; LDSByteSize: 2048 bytes/workgroup (compile time only)
; SGPRBlocks: 0
; VGPRBlocks: 3
; NumSGPRsForWavesPerEU: 33
; NumVGPRsForWavesPerEU: 56
; NamedBarCnt: 0
; Occupancy: 16
; WaveLimiterHint : 1
; COMPUTE_PGM_RSRC2:SCRATCH_EN: 0
; COMPUTE_PGM_RSRC2:USER_SGPR: 2
; COMPUTE_PGM_RSRC2:TRAP_HANDLER: 0
; COMPUTE_PGM_RSRC2:TGID_X_EN: 1
; COMPUTE_PGM_RSRC2:TGID_Y_EN: 1
; COMPUTE_PGM_RSRC2:TGID_Z_EN: 1
; COMPUTE_PGM_RSRC2:TIDIG_COMP_CNT: 1
	.section	.text._ZL29rocblas_internal_gemmt_kernelIiLi16ELi32ELi8ELc84ELc67ELc85ELb0ELb0EffPKPKfPKPfEviT_T9_T10_S7_lS9_S7_lS8_T11_S7_li,"axG",@progbits,_ZL29rocblas_internal_gemmt_kernelIiLi16ELi32ELi8ELc84ELc67ELc85ELb0ELb0EffPKPKfPKPfEviT_T9_T10_S7_lS9_S7_lS8_T11_S7_li,comdat
	.globl	_ZL29rocblas_internal_gemmt_kernelIiLi16ELi32ELi8ELc84ELc67ELc85ELb0ELb0EffPKPKfPKPfEviT_T9_T10_S7_lS9_S7_lS8_T11_S7_li ; -- Begin function _ZL29rocblas_internal_gemmt_kernelIiLi16ELi32ELi8ELc84ELc67ELc85ELb0ELb0EffPKPKfPKPfEviT_T9_T10_S7_lS9_S7_lS8_T11_S7_li
	.p2align	8
	.type	_ZL29rocblas_internal_gemmt_kernelIiLi16ELi32ELi8ELc84ELc67ELc85ELb0ELb0EffPKPKfPKPfEviT_T9_T10_S7_lS9_S7_lS8_T11_S7_li,@function
_ZL29rocblas_internal_gemmt_kernelIiLi16ELi32ELi8ELc84ELc67ELc85ELb0ELb0EffPKPKfPKPfEviT_T9_T10_S7_lS9_S7_lS8_T11_S7_li: ; @_ZL29rocblas_internal_gemmt_kernelIiLi16ELi32ELi8ELc84ELc67ELc85ELb0ELb0EffPKPKfPKPfEviT_T9_T10_S7_lS9_S7_lS8_T11_S7_li
; %bb.0:
	s_clause 0x1
	s_load_b32 s11, s[0:1], 0x40
	s_load_b96 s[8:10], s[0:1], 0x0
	s_wait_kmcnt 0x0
	s_cmp_neq_f32 s11, 1.0
	s_cselect_b32 s2, -1, 0
	s_delay_alu instid0(SALU_CYCLE_1)
	s_and_b32 vcc_lo, exec_lo, s2
	s_cbranch_vccnz .LBB311_2
; %bb.1:
	s_cmp_lg_u32 s9, 0
	s_cselect_b32 s2, -1, 0
	s_cmp_neq_f32 s10, 0
	s_cselect_b32 s3, -1, 0
	s_delay_alu instid0(SALU_CYCLE_1)
	s_and_b32 s2, s2, s3
.LBB311_2:
	s_delay_alu instid0(SALU_CYCLE_1)
	s_and_not1_b32 vcc_lo, exec_lo, s2
	s_cbranch_vccnz .LBB311_33
; %bb.3:
	s_load_b32 s15, s[0:1], 0x60
	s_bfe_u32 s2, ttmp6, 0x40014
	s_lshr_b32 s3, ttmp7, 16
	s_add_co_i32 s2, s2, 1
	s_bfe_u32 s5, ttmp6, 0x40008
	s_mul_i32 s4, s3, s2
	s_getreg_b32 s2, hwreg(HW_REG_IB_STS2, 6, 4)
	s_add_co_i32 s5, s5, s4
	s_cmp_eq_u32 s2, 0
	s_mov_b32 s21, 0
	s_cselect_b32 s20, s3, s5
	s_wait_kmcnt 0x0
	s_cmp_ge_u32 s20, s15
	s_cbranch_scc1 .LBB311_33
; %bb.4:
	s_clause 0x2
	s_load_b96 s[12:14], s[0:1], 0x10
	s_load_b32 s22, s[0:1], 0x30
	s_load_b96 s[16:18], s[0:1], 0x48
	v_and_b32_e32 v2, 0x3ff, v0
	v_bfe_u32 v11, v0, 10, 10
	s_clause 0x2
	s_load_b128 s[4:7], s[0:1], 0x20
	s_load_b64 s[24:25], s[0:1], 0x38
	s_load_b64 s[26:27], s[0:1], 0x58
	s_wait_xcnt 0x0
	s_bfe_u32 s0, ttmp6, 0x4000c
	s_bfe_u32 s1, ttmp6, 0x40010
	s_and_b32 s28, ttmp7, 0xffff
	s_add_co_i32 s29, s0, 1
	s_add_co_i32 s30, s1, 1
	v_lshl_add_u32 v1, v11, 4, v2
	s_and_b32 s19, ttmp6, 15
	v_and_b32_e32 v0, 7, v0
	v_lshl_add_u32 v29, v11, 5, 0x400
	s_delay_alu instid0(VALU_DEP_3)
	v_dual_mov_b32 v3, 0 :: v_dual_bitop2_b32 v6, 31, v1 bitop3:0x40
	v_dual_lshrrev_b32 v7, 3, v1 :: v_dual_lshrrev_b32 v26, 5, v1
	v_lshlrev_b32_e32 v28, 2, v2
	s_wait_kmcnt 0x0
	s_ashr_i32 s1, s14, 31
	s_mov_b32 s0, s14
	s_mul_i32 s14, ttmp9, s29
	s_mul_i32 s29, s28, s30
	s_bfe_u32 s30, ttmp6, 0x40004
	s_ashr_i32 s23, s22, 31
	s_ashr_i32 s3, s18, 31
	s_add_co_i32 s19, s19, s14
	s_add_co_i32 s30, s30, s29
	s_cmp_eq_u32 s2, 0
	s_cselect_b32 s2, ttmp9, s19
	s_cselect_b32 s14, s28, s30
	s_lshl_b32 s19, s2, 5
	s_lshl_b32 s14, s14, 5
	v_dual_mov_b32 v1, v3 :: v_dual_bitop2_b32 v4, s19, v6 bitop3:0x54
	v_add_nc_u32_e32 v12, s14, v11
	v_add_nc_u32_e32 v14, s14, v7
	s_mov_b32 s2, s18
	s_delay_alu instid0(VALU_DEP_3) | instskip(SKIP_3) | instid1(VALU_DEP_4)
	v_ashrrev_i32_e32 v5, 31, v4
	v_mul_u64_e32 v[18:19], s[22:23], v[0:1]
	v_dual_add_nc_u32 v20, 16, v12 :: v_dual_ashrrev_i32 v13, 31, v12
	v_ashrrev_i32_e32 v15, 31, v14
	v_mul_u64_e32 v[16:17], s[0:1], v[4:5]
	v_dual_lshlrev_b32 v5, 2, v6 :: v_dual_lshlrev_b32 v6, 2, v0
	s_delay_alu instid0(VALU_DEP_4) | instskip(SKIP_2) | instid1(VALU_DEP_4)
	v_ashrrev_i32_e32 v21, 31, v20
	v_cmp_gt_i32_e64 s0, s8, v4
	v_add_nc_u32_e32 v4, s19, v2
	v_lshl_or_b32 v1, v26, 7, v5
	v_lshl_or_b32 v5, v7, 5, v6
	v_mul_u64_e32 v[6:7], s[2:3], v[12:13]
	v_mul_u64_e32 v[8:9], s[2:3], v[20:21]
	s_cmp_neq_f32 s10, 0
	v_add_nc_u32_e32 v10, 16, v4
	v_add_nc_u32_e32 v27, 0x400, v5
	v_cmp_gt_i32_e32 vcc_lo, s8, v12
	s_cselect_b32 s28, -1, 0
	s_cmp_gt_i32 s9, 0
	v_cmp_le_i32_e64 s2, v4, v12
	s_cselect_b32 s29, -1, 0
	s_cmp_neq_f32 s11, 0
	v_ashrrev_i32_e32 v5, 31, v4
	v_cmp_le_i32_e64 s3, v10, v12
	v_lshlrev_b32_e32 v2, 2, v26
	s_cselect_b32 s14, -1, 0
	s_lshl_b64 s[4:5], s[4:5], 2
	s_and_b32 s18, vcc_lo, s2
	s_and_b32 s19, vcc_lo, s3
	v_cmp_gt_i32_e32 vcc_lo, s8, v20
	v_cmp_le_i32_e64 s2, v4, v20
	v_cmp_gt_i32_e64 s1, s8, v14
	v_ashrrev_i32_e32 v11, 31, v10
	v_lshl_add_u64 v[12:13], v[16:17], 2, s[4:5]
	s_lshl_b64 s[4:5], s[24:25], 2
	s_and_b32 s8, vcc_lo, s2
	v_lshl_add_u64 v[16:17], v[18:19], 2, s[4:5]
	v_cmp_le_i32_e64 s2, v10, v20
	v_add_nc_u64_e32 v[12:13], v[12:13], v[2:3]
	s_and_b32 s24, s28, s29
	s_lshl_b64 s[4:5], s[26:27], 2
	v_lshl_add_u64 v[14:15], v[14:15], 2, v[16:17]
	s_and_b32 s25, vcc_lo, s2
	s_lshl_b64 s[2:3], s[22:23], 5
	s_branch .LBB311_6
.LBB311_5:                              ;   in Loop: Header=BB311_6 Depth=1
	s_wait_xcnt 0x0
	s_or_b32 exec_lo, exec_lo, s22
	s_add_co_i32 s20, s20, 0x10000
	s_delay_alu instid0(SALU_CYCLE_1)
	s_cmp_lt_u32 s20, s15
	s_cbranch_scc0 .LBB311_33
.LBB311_6:                              ; =>This Loop Header: Depth=1
                                        ;     Child Loop BB311_9 Depth 2
	v_dual_mov_b32 v2, s20 :: v_dual_mov_b32 v25, 0
	v_dual_mov_b32 v24, 0 :: v_dual_mov_b32 v17, 0
	v_mov_b32_e32 v16, 0
	global_load_b64 v[18:19], v2, s[16:17] scale_offset
	s_and_not1_b32 vcc_lo, exec_lo, s24
	s_cbranch_vccnz .LBB311_13
; %bb.7:                                ;   in Loop: Header=BB311_6 Depth=1
	s_lshl_b64 s[22:23], s[20:21], 3
	v_mov_b32_e32 v16, 0
	s_add_nc_u64 s[26:27], s[12:13], s[22:23]
	s_add_nc_u64 s[22:23], s[6:7], s[22:23]
	s_clause 0x1
	global_load_b64 v[20:21], v3, s[26:27]
	global_load_b64 v[22:23], v3, s[22:23]
	s_wait_xcnt 0x0
	s_mov_b32 s22, 0
	v_dual_mov_b32 v17, v16 :: v_dual_mov_b32 v24, v16
	v_mov_b32_e32 v25, v16
	s_wait_loadcnt 0x1
	v_add_nc_u64_e32 v[20:21], v[20:21], v[12:13]
	s_wait_loadcnt 0x0
	v_add_nc_u64_e32 v[22:23], v[22:23], v[14:15]
	s_branch .LBB311_9
.LBB311_8:                              ;   in Loop: Header=BB311_9 Depth=2
	s_wait_xcnt 0x0
	s_or_b32 exec_lo, exec_lo, s23
	s_wait_loadcnt_dscnt 0x0
	ds_store_b32 v27, v30
	s_wait_dscnt 0x0
	s_barrier_signal -1
	s_barrier_wait -1
	ds_load_b128 v[30:33], v29
	ds_load_2addr_b32 v[46:47], v28 offset1:16
	ds_load_b128 v[34:37], v29 offset:512
	ds_load_2addr_b32 v[48:49], v28 offset0:32 offset1:48
	ds_load_2addr_b32 v[50:51], v28 offset0:64 offset1:80
	;; [unrolled: 1-line block ×3, first 2 shown]
	ds_load_b128 v[38:41], v29 offset:16
	ds_load_2addr_b32 v[54:55], v28 offset0:128 offset1:144
	ds_load_b128 v[42:45], v29 offset:528
	v_add_nc_u64_e32 v[20:21], 32, v[20:21]
	v_add_nc_u64_e32 v[22:23], s[2:3], v[22:23]
	s_add_co_i32 s22, s22, 8
	s_delay_alu instid0(SALU_CYCLE_1)
	s_cmp_lt_i32 s22, s9
	s_wait_dscnt 0x8
	v_mov_b32_e32 v2, v33
	s_wait_dscnt 0x7
	v_pk_fma_f32 v[24:25], v[46:47], v[30:31], v[24:25] op_sel_hi:[1,0,1]
	s_wait_dscnt 0x6
	v_pk_fma_f32 v[16:17], v[46:47], v[34:35], v[16:17] op_sel_hi:[1,0,1]
	ds_load_2addr_b32 v[46:47], v28 offset0:160 offset1:176
	s_wait_dscnt 0x6
	v_pk_fma_f32 v[24:25], v[48:49], v[30:31], v[24:25] op_sel:[0,1,0]
	v_pk_fma_f32 v[16:17], v[48:49], v[34:35], v[16:17] op_sel:[0,1,0]
	ds_load_2addr_b32 v[30:31], v28 offset0:192 offset1:208
	v_mov_b32_e32 v34, v37
	s_wait_dscnt 0x6
	v_pk_fma_f32 v[24:25], v[50:51], v[32:33], v[24:25] op_sel_hi:[1,0,1]
	v_pk_fma_f32 v[16:17], v[50:51], v[36:37], v[16:17] op_sel_hi:[1,0,1]
	ds_load_2addr_b32 v[32:33], v28 offset0:224 offset1:240
	s_wait_dscnt 0x0
	s_barrier_signal -1
	v_pk_fma_f32 v[24:25], v[52:53], v[2:3], v[24:25] op_sel_hi:[1,0,1]
	v_pk_fma_f32 v[16:17], v[52:53], v[34:35], v[16:17] op_sel_hi:[1,0,1]
	v_dual_mov_b32 v2, v41 :: v_dual_mov_b32 v34, v45
	s_barrier_wait -1
	s_delay_alu instid0(VALU_DEP_3) | instskip(NEXT) | instid1(VALU_DEP_3)
	v_pk_fma_f32 v[24:25], v[54:55], v[38:39], v[24:25] op_sel_hi:[1,0,1]
	v_pk_fma_f32 v[16:17], v[54:55], v[42:43], v[16:17] op_sel_hi:[1,0,1]
	s_delay_alu instid0(VALU_DEP_2) | instskip(NEXT) | instid1(VALU_DEP_2)
	v_pk_fma_f32 v[24:25], v[46:47], v[38:39], v[24:25] op_sel:[0,1,0]
	v_pk_fma_f32 v[16:17], v[46:47], v[42:43], v[16:17] op_sel:[0,1,0]
	s_delay_alu instid0(VALU_DEP_2) | instskip(NEXT) | instid1(VALU_DEP_2)
	v_pk_fma_f32 v[24:25], v[30:31], v[40:41], v[24:25] op_sel_hi:[1,0,1]
	v_pk_fma_f32 v[16:17], v[30:31], v[44:45], v[16:17] op_sel_hi:[1,0,1]
	s_delay_alu instid0(VALU_DEP_2) | instskip(NEXT) | instid1(VALU_DEP_2)
	v_pk_fma_f32 v[24:25], v[32:33], v[2:3], v[24:25] op_sel_hi:[1,0,1]
	v_pk_fma_f32 v[16:17], v[32:33], v[34:35], v[16:17] op_sel_hi:[1,0,1]
	s_cbranch_scc0 .LBB311_13
.LBB311_9:                              ;   Parent Loop BB311_6 Depth=1
                                        ; =>  This Inner Loop Header: Depth=2
	v_add_nc_u32_e32 v2, s22, v26
	s_delay_alu instid0(VALU_DEP_1) | instskip(SKIP_2) | instid1(SALU_CYCLE_1)
	v_cmp_gt_i32_e32 vcc_lo, s9, v2
	v_mov_b32_e32 v2, 0
	s_and_b32 s26, s0, vcc_lo
	s_and_saveexec_b32 s23, s26
	s_cbranch_execz .LBB311_11
; %bb.10:                               ;   in Loop: Header=BB311_9 Depth=2
	flat_load_b32 v2, v[20:21]
.LBB311_11:                             ;   in Loop: Header=BB311_9 Depth=2
	s_wait_xcnt 0x0
	s_or_b32 exec_lo, exec_lo, s23
	v_add_nc_u32_e32 v30, s22, v0
	s_wait_loadcnt_dscnt 0x0
	ds_store_b32 v1, v2
	v_cmp_gt_i32_e32 vcc_lo, s9, v30
	v_mov_b32_e32 v30, 0
	s_and_b32 s26, vcc_lo, s1
	s_delay_alu instid0(SALU_CYCLE_1)
	s_and_saveexec_b32 s23, s26
	s_cbranch_execz .LBB311_8
; %bb.12:                               ;   in Loop: Header=BB311_9 Depth=2
	flat_load_b32 v30, v[22:23]
	s_branch .LBB311_8
.LBB311_13:                             ;   in Loop: Header=BB311_6 Depth=1
	s_wait_loadcnt 0x0
	v_add_nc_u64_e32 v[18:19], s[4:5], v[18:19]
	s_delay_alu instid0(VALU_DEP_1)
	v_lshl_add_u64 v[20:21], v[6:7], 2, v[18:19]
	s_wait_xcnt 0x0
	s_and_saveexec_b32 s22, s18
	s_cbranch_execz .LBB311_17
; %bb.14:                               ;   in Loop: Header=BB311_6 Depth=1
	v_mul_f32_e32 v2, s10, v24
	v_lshl_add_u64 v[22:23], v[4:5], 2, v[20:21]
	s_and_b32 vcc_lo, exec_lo, s14
	s_cbranch_vccz .LBB311_28
; %bb.15:                               ;   in Loop: Header=BB311_6 Depth=1
	flat_load_b32 v24, v[22:23]
	s_wait_loadcnt_dscnt 0x0
	v_fma_f32 v24, s11, v24, v2
	flat_store_b32 v[22:23], v24
	s_cbranch_execnz .LBB311_17
.LBB311_16:                             ;   in Loop: Header=BB311_6 Depth=1
	flat_store_b32 v[22:23], v2
.LBB311_17:                             ;   in Loop: Header=BB311_6 Depth=1
	s_wait_xcnt 0x0
	s_or_b32 exec_lo, exec_lo, s22
	s_and_saveexec_b32 s22, s19
	s_cbranch_execz .LBB311_21
; %bb.18:                               ;   in Loop: Header=BB311_6 Depth=1
	v_mul_f32_e32 v2, s10, v25
	v_lshl_add_u64 v[20:21], v[10:11], 2, v[20:21]
	s_and_not1_b32 vcc_lo, exec_lo, s14
	s_cbranch_vccnz .LBB311_29
; %bb.19:                               ;   in Loop: Header=BB311_6 Depth=1
	flat_load_b32 v22, v[20:21]
	s_wait_loadcnt_dscnt 0x0
	v_fma_f32 v22, s11, v22, v2
	flat_store_b32 v[20:21], v22
	s_cbranch_execnz .LBB311_21
.LBB311_20:                             ;   in Loop: Header=BB311_6 Depth=1
	flat_store_b32 v[20:21], v2
.LBB311_21:                             ;   in Loop: Header=BB311_6 Depth=1
	s_wait_xcnt 0x0
	s_or_b32 exec_lo, exec_lo, s22
	v_lshl_add_u64 v[18:19], v[8:9], 2, v[18:19]
	s_and_saveexec_b32 s22, s8
	s_cbranch_execz .LBB311_25
; %bb.22:                               ;   in Loop: Header=BB311_6 Depth=1
	v_mul_f32_e32 v2, s10, v16
	s_delay_alu instid0(VALU_DEP_2)
	v_lshl_add_u64 v[20:21], v[4:5], 2, v[18:19]
	s_and_not1_b32 vcc_lo, exec_lo, s14
	s_cbranch_vccnz .LBB311_30
; %bb.23:                               ;   in Loop: Header=BB311_6 Depth=1
	flat_load_b32 v16, v[20:21]
	s_wait_loadcnt_dscnt 0x0
	v_fma_f32 v16, s11, v16, v2
	flat_store_b32 v[20:21], v16
	s_cbranch_execnz .LBB311_25
.LBB311_24:                             ;   in Loop: Header=BB311_6 Depth=1
	flat_store_b32 v[20:21], v2
.LBB311_25:                             ;   in Loop: Header=BB311_6 Depth=1
	s_wait_xcnt 0x0
	s_or_b32 exec_lo, exec_lo, s22
	s_and_saveexec_b32 s22, s25
	s_cbranch_execz .LBB311_5
; %bb.26:                               ;   in Loop: Header=BB311_6 Depth=1
	v_mul_f32_e32 v2, s10, v17
	v_lshl_add_u64 v[16:17], v[10:11], 2, v[18:19]
	s_and_not1_b32 vcc_lo, exec_lo, s14
	s_cbranch_vccnz .LBB311_31
; %bb.27:                               ;   in Loop: Header=BB311_6 Depth=1
	flat_load_b32 v18, v[16:17]
	s_wait_loadcnt_dscnt 0x0
	v_fma_f32 v18, s11, v18, v2
	flat_store_b32 v[16:17], v18
	s_cbranch_execnz .LBB311_5
	s_branch .LBB311_32
.LBB311_28:                             ;   in Loop: Header=BB311_6 Depth=1
	s_branch .LBB311_16
.LBB311_29:                             ;   in Loop: Header=BB311_6 Depth=1
	s_branch .LBB311_20
.LBB311_30:                             ;   in Loop: Header=BB311_6 Depth=1
	s_branch .LBB311_24
.LBB311_31:                             ;   in Loop: Header=BB311_6 Depth=1
.LBB311_32:                             ;   in Loop: Header=BB311_6 Depth=1
	flat_store_b32 v[16:17], v2
	s_branch .LBB311_5
.LBB311_33:
	s_endpgm
	.section	.rodata,"a",@progbits
	.p2align	6, 0x0
	.amdhsa_kernel _ZL29rocblas_internal_gemmt_kernelIiLi16ELi32ELi8ELc84ELc67ELc85ELb0ELb0EffPKPKfPKPfEviT_T9_T10_S7_lS9_S7_lS8_T11_S7_li
		.amdhsa_group_segment_fixed_size 2048
		.amdhsa_private_segment_fixed_size 0
		.amdhsa_kernarg_size 100
		.amdhsa_user_sgpr_count 2
		.amdhsa_user_sgpr_dispatch_ptr 0
		.amdhsa_user_sgpr_queue_ptr 0
		.amdhsa_user_sgpr_kernarg_segment_ptr 1
		.amdhsa_user_sgpr_dispatch_id 0
		.amdhsa_user_sgpr_kernarg_preload_length 0
		.amdhsa_user_sgpr_kernarg_preload_offset 0
		.amdhsa_user_sgpr_private_segment_size 0
		.amdhsa_wavefront_size32 1
		.amdhsa_uses_dynamic_stack 0
		.amdhsa_enable_private_segment 0
		.amdhsa_system_sgpr_workgroup_id_x 1
		.amdhsa_system_sgpr_workgroup_id_y 1
		.amdhsa_system_sgpr_workgroup_id_z 1
		.amdhsa_system_sgpr_workgroup_info 0
		.amdhsa_system_vgpr_workitem_id 1
		.amdhsa_next_free_vgpr 56
		.amdhsa_next_free_sgpr 31
		.amdhsa_named_barrier_count 0
		.amdhsa_reserve_vcc 1
		.amdhsa_float_round_mode_32 0
		.amdhsa_float_round_mode_16_64 0
		.amdhsa_float_denorm_mode_32 3
		.amdhsa_float_denorm_mode_16_64 3
		.amdhsa_fp16_overflow 0
		.amdhsa_memory_ordered 1
		.amdhsa_forward_progress 1
		.amdhsa_inst_pref_size 13
		.amdhsa_round_robin_scheduling 0
		.amdhsa_exception_fp_ieee_invalid_op 0
		.amdhsa_exception_fp_denorm_src 0
		.amdhsa_exception_fp_ieee_div_zero 0
		.amdhsa_exception_fp_ieee_overflow 0
		.amdhsa_exception_fp_ieee_underflow 0
		.amdhsa_exception_fp_ieee_inexact 0
		.amdhsa_exception_int_div_zero 0
	.end_amdhsa_kernel
	.section	.text._ZL29rocblas_internal_gemmt_kernelIiLi16ELi32ELi8ELc84ELc67ELc85ELb0ELb0EffPKPKfPKPfEviT_T9_T10_S7_lS9_S7_lS8_T11_S7_li,"axG",@progbits,_ZL29rocblas_internal_gemmt_kernelIiLi16ELi32ELi8ELc84ELc67ELc85ELb0ELb0EffPKPKfPKPfEviT_T9_T10_S7_lS9_S7_lS8_T11_S7_li,comdat
.Lfunc_end311:
	.size	_ZL29rocblas_internal_gemmt_kernelIiLi16ELi32ELi8ELc84ELc67ELc85ELb0ELb0EffPKPKfPKPfEviT_T9_T10_S7_lS9_S7_lS8_T11_S7_li, .Lfunc_end311-_ZL29rocblas_internal_gemmt_kernelIiLi16ELi32ELi8ELc84ELc67ELc85ELb0ELb0EffPKPKfPKPfEviT_T9_T10_S7_lS9_S7_lS8_T11_S7_li
                                        ; -- End function
	.set _ZL29rocblas_internal_gemmt_kernelIiLi16ELi32ELi8ELc84ELc67ELc85ELb0ELb0EffPKPKfPKPfEviT_T9_T10_S7_lS9_S7_lS8_T11_S7_li.num_vgpr, 56
	.set _ZL29rocblas_internal_gemmt_kernelIiLi16ELi32ELi8ELc84ELc67ELc85ELb0ELb0EffPKPKfPKPfEviT_T9_T10_S7_lS9_S7_lS8_T11_S7_li.num_agpr, 0
	.set _ZL29rocblas_internal_gemmt_kernelIiLi16ELi32ELi8ELc84ELc67ELc85ELb0ELb0EffPKPKfPKPfEviT_T9_T10_S7_lS9_S7_lS8_T11_S7_li.numbered_sgpr, 31
	.set _ZL29rocblas_internal_gemmt_kernelIiLi16ELi32ELi8ELc84ELc67ELc85ELb0ELb0EffPKPKfPKPfEviT_T9_T10_S7_lS9_S7_lS8_T11_S7_li.num_named_barrier, 0
	.set _ZL29rocblas_internal_gemmt_kernelIiLi16ELi32ELi8ELc84ELc67ELc85ELb0ELb0EffPKPKfPKPfEviT_T9_T10_S7_lS9_S7_lS8_T11_S7_li.private_seg_size, 0
	.set _ZL29rocblas_internal_gemmt_kernelIiLi16ELi32ELi8ELc84ELc67ELc85ELb0ELb0EffPKPKfPKPfEviT_T9_T10_S7_lS9_S7_lS8_T11_S7_li.uses_vcc, 1
	.set _ZL29rocblas_internal_gemmt_kernelIiLi16ELi32ELi8ELc84ELc67ELc85ELb0ELb0EffPKPKfPKPfEviT_T9_T10_S7_lS9_S7_lS8_T11_S7_li.uses_flat_scratch, 0
	.set _ZL29rocblas_internal_gemmt_kernelIiLi16ELi32ELi8ELc84ELc67ELc85ELb0ELb0EffPKPKfPKPfEviT_T9_T10_S7_lS9_S7_lS8_T11_S7_li.has_dyn_sized_stack, 0
	.set _ZL29rocblas_internal_gemmt_kernelIiLi16ELi32ELi8ELc84ELc67ELc85ELb0ELb0EffPKPKfPKPfEviT_T9_T10_S7_lS9_S7_lS8_T11_S7_li.has_recursion, 0
	.set _ZL29rocblas_internal_gemmt_kernelIiLi16ELi32ELi8ELc84ELc67ELc85ELb0ELb0EffPKPKfPKPfEviT_T9_T10_S7_lS9_S7_lS8_T11_S7_li.has_indirect_call, 0
	.section	.AMDGPU.csdata,"",@progbits
; Kernel info:
; codeLenInByte = 1664
; TotalNumSgprs: 33
; NumVgprs: 56
; ScratchSize: 0
; MemoryBound: 0
; FloatMode: 240
; IeeeMode: 1
; LDSByteSize: 2048 bytes/workgroup (compile time only)
; SGPRBlocks: 0
; VGPRBlocks: 3
; NumSGPRsForWavesPerEU: 33
; NumVGPRsForWavesPerEU: 56
; NamedBarCnt: 0
; Occupancy: 16
; WaveLimiterHint : 1
; COMPUTE_PGM_RSRC2:SCRATCH_EN: 0
; COMPUTE_PGM_RSRC2:USER_SGPR: 2
; COMPUTE_PGM_RSRC2:TRAP_HANDLER: 0
; COMPUTE_PGM_RSRC2:TGID_X_EN: 1
; COMPUTE_PGM_RSRC2:TGID_Y_EN: 1
; COMPUTE_PGM_RSRC2:TGID_Z_EN: 1
; COMPUTE_PGM_RSRC2:TIDIG_COMP_CNT: 1
	.section	.text._ZL29rocblas_internal_gemmt_kernelIiLi16ELi32ELi8ELc67ELc78ELc85ELb0ELb0EffPKPKfPKPfEviT_T9_T10_S7_lS9_S7_lS8_T11_S7_li,"axG",@progbits,_ZL29rocblas_internal_gemmt_kernelIiLi16ELi32ELi8ELc67ELc78ELc85ELb0ELb0EffPKPKfPKPfEviT_T9_T10_S7_lS9_S7_lS8_T11_S7_li,comdat
	.globl	_ZL29rocblas_internal_gemmt_kernelIiLi16ELi32ELi8ELc67ELc78ELc85ELb0ELb0EffPKPKfPKPfEviT_T9_T10_S7_lS9_S7_lS8_T11_S7_li ; -- Begin function _ZL29rocblas_internal_gemmt_kernelIiLi16ELi32ELi8ELc67ELc78ELc85ELb0ELb0EffPKPKfPKPfEviT_T9_T10_S7_lS9_S7_lS8_T11_S7_li
	.p2align	8
	.type	_ZL29rocblas_internal_gemmt_kernelIiLi16ELi32ELi8ELc67ELc78ELc85ELb0ELb0EffPKPKfPKPfEviT_T9_T10_S7_lS9_S7_lS8_T11_S7_li,@function
_ZL29rocblas_internal_gemmt_kernelIiLi16ELi32ELi8ELc67ELc78ELc85ELb0ELb0EffPKPKfPKPfEviT_T9_T10_S7_lS9_S7_lS8_T11_S7_li: ; @_ZL29rocblas_internal_gemmt_kernelIiLi16ELi32ELi8ELc67ELc78ELc85ELb0ELb0EffPKPKfPKPfEviT_T9_T10_S7_lS9_S7_lS8_T11_S7_li
; %bb.0:
	s_clause 0x1
	s_load_b32 s11, s[0:1], 0x40
	s_load_b96 s[8:10], s[0:1], 0x0
	s_wait_kmcnt 0x0
	s_cmp_neq_f32 s11, 1.0
	s_cselect_b32 s2, -1, 0
	s_delay_alu instid0(SALU_CYCLE_1)
	s_and_b32 vcc_lo, exec_lo, s2
	s_cbranch_vccnz .LBB312_2
; %bb.1:
	s_cmp_lg_u32 s9, 0
	s_cselect_b32 s2, -1, 0
	s_cmp_neq_f32 s10, 0
	s_cselect_b32 s3, -1, 0
	s_delay_alu instid0(SALU_CYCLE_1)
	s_and_b32 s2, s2, s3
.LBB312_2:
	s_delay_alu instid0(SALU_CYCLE_1)
	s_and_not1_b32 vcc_lo, exec_lo, s2
	s_cbranch_vccnz .LBB312_33
; %bb.3:
	s_load_b32 s15, s[0:1], 0x60
	s_bfe_u32 s2, ttmp6, 0x40014
	s_lshr_b32 s3, ttmp7, 16
	s_add_co_i32 s2, s2, 1
	s_bfe_u32 s4, ttmp6, 0x40008
	s_mul_i32 s2, s3, s2
	s_getreg_b32 s19, hwreg(HW_REG_IB_STS2, 6, 4)
	s_add_co_i32 s4, s4, s2
	s_cmp_eq_u32 s19, 0
	s_mov_b32 s21, 0
	s_cselect_b32 s20, s3, s4
	s_wait_kmcnt 0x0
	s_cmp_ge_u32 s20, s15
	s_cbranch_scc1 .LBB312_33
; %bb.4:
	s_clause 0x2
	s_load_b96 s[12:14], s[0:1], 0x10
	s_load_b32 s2, s[0:1], 0x30
	s_load_b96 s[16:18], s[0:1], 0x48
	v_and_b32_e32 v1, 0x3ff, v0
	v_bfe_u32 v7, v0, 10, 10
	s_clause 0x2
	s_load_b128 s[4:7], s[0:1], 0x20
	s_load_b64 s[22:23], s[0:1], 0x38
	s_load_b64 s[24:25], s[0:1], 0x58
	s_wait_xcnt 0x0
	s_bfe_u32 s1, ttmp6, 0x4000c
	s_bfe_u32 s3, ttmp6, 0x40010
	s_and_b32 s26, ttmp7, 0xffff
	s_add_co_i32 s1, s1, 1
	s_add_co_i32 s3, s3, 1
	v_lshl_add_u32 v2, v7, 4, v1
	s_and_b32 s0, ttmp6, 15
	s_mul_i32 s28, ttmp9, s1
	s_mul_i32 s29, s26, s3
	s_bfe_u32 s30, ttmp6, 0x40004
	s_add_co_i32 s0, s0, s28
	s_add_co_i32 s30, s30, s29
	v_dual_lshrrev_b32 v6, 3, v2 :: v_dual_bitop2_b32 v9, 31, v2 bitop3:0x40
	s_wait_kmcnt 0x0
	s_ashr_i32 s1, s14, 31
	s_ashr_i32 s3, s2, 31
	;; [unrolled: 1-line block ×3, first 2 shown]
	s_cmp_eq_u32 s19, 0
	v_lshl_add_u32 v29, v7, 5, 0x400
	s_cselect_b32 s0, ttmp9, s0
	s_cselect_b32 s19, s26, s30
	s_lshl_b32 s28, s0, 5
	s_delay_alu instid0(SALU_CYCLE_1) | instskip(SKIP_1) | instid1(SALU_CYCLE_1)
	v_dual_lshrrev_b32 v24, 5, v2 :: v_dual_bitop2_b32 v2, s28, v9 bitop3:0x54
	s_lshl_b32 s19, s19, 5
	v_dual_add_nc_u32 v4, s19, v6 :: v_dual_bitop2_b32 v25, 7, v0 bitop3:0x40
	s_mov_b32 s0, s14
	s_delay_alu instid0(VALU_DEP_2) | instskip(NEXT) | instid1(VALU_DEP_2)
	v_dual_ashrrev_i32 v3, 31, v2 :: v_dual_add_nc_u32 v8, s19, v7
	v_dual_lshlrev_b32 v0, 2, v9 :: v_dual_ashrrev_i32 v5, 31, v4
	s_delay_alu instid0(VALU_DEP_3) | instskip(NEXT) | instid1(VALU_DEP_3)
	v_lshlrev_b32_e32 v16, 2, v25
	v_mul_u64_e32 v[10:11], s[0:1], v[2:3]
	s_delay_alu instid0(VALU_DEP_4) | instskip(NEXT) | instid1(VALU_DEP_4)
	v_dual_add_nc_u32 v14, 16, v8 :: v_dual_ashrrev_i32 v9, 31, v8
	v_mul_u64_e32 v[12:13], s[2:3], v[4:5]
	s_mov_b32 s26, s18
	v_cmp_gt_i32_e64 s0, s8, v2
	s_delay_alu instid0(VALU_DEP_3)
	v_ashrrev_i32_e32 v15, 31, v14
	v_cmp_gt_i32_e64 s1, s8, v4
	v_mul_u64_e32 v[2:3], s[26:27], v[8:9]
	v_lshl_or_b32 v26, v24, 7, v0
	v_lshl_or_b32 v6, v6, 5, v16
	v_mul_u64_e32 v[4:5], s[26:27], v[14:15]
	v_dual_add_nc_u32 v0, s28, v1 :: v_dual_lshlrev_b32 v28, 2, v1
	s_cmp_neq_f32 s10, 0
	s_delay_alu instid0(VALU_DEP_3) | instskip(SKIP_1) | instid1(VALU_DEP_3)
	v_add_nc_u32_e32 v27, 0x400, v6
	v_cmp_gt_i32_e32 vcc_lo, s8, v8
	v_dual_add_nc_u32 v6, 16, v0 :: v_dual_ashrrev_i32 v1, 31, v0
	s_cselect_b32 s29, -1, 0
	s_cmp_gt_i32 s9, 0
	v_cmp_le_i32_e64 s2, v0, v8
	s_delay_alu instid0(VALU_DEP_2)
	v_cmp_le_i32_e64 s3, v6, v8
	s_cselect_b32 s30, -1, 0
	s_cmp_neq_f32 s11, 0
	v_dual_ashrrev_i32 v7, 31, v6 :: v_dual_mov_b32 v9, 0
	v_lshlrev_b32_e32 v8, 2, v24
	s_cselect_b32 s14, -1, 0
	s_and_b32 s18, vcc_lo, s2
	s_and_b32 s19, vcc_lo, s3
	s_lshl_b64 s[2:3], s[4:5], 2
	v_mov_b32_e32 v17, v9
	v_lshl_add_u64 v[10:11], v[10:11], 2, s[2:3]
	s_lshl_b64 s[2:3], s[22:23], 2
	v_cmp_gt_i32_e32 vcc_lo, s8, v14
	v_lshl_add_u64 v[12:13], v[12:13], 2, s[2:3]
	v_cmp_le_i32_e64 s2, v0, v14
	v_cmp_le_i32_e64 s3, v6, v14
	v_add_nc_u64_e32 v[10:11], v[10:11], v[8:9]
	s_and_b32 s4, s29, s30
	v_add_nc_u64_e32 v[12:13], v[12:13], v[16:17]
	s_and_b32 s5, vcc_lo, s2
	s_and_b32 s8, vcc_lo, s3
	s_lshl_b64 s[2:3], s[24:25], 2
	s_branch .LBB312_6
.LBB312_5:                              ;   in Loop: Header=BB312_6 Depth=1
	s_wait_xcnt 0x0
	s_or_b32 exec_lo, exec_lo, s22
	s_add_co_i32 s20, s20, 0x10000
	s_delay_alu instid0(SALU_CYCLE_1)
	s_cmp_lt_u32 s20, s15
	s_cbranch_scc0 .LBB312_33
.LBB312_6:                              ; =>This Loop Header: Depth=1
                                        ;     Child Loop BB312_9 Depth 2
	v_dual_mov_b32 v8, s20 :: v_dual_mov_b32 v23, 0
	v_dual_mov_b32 v22, 0 :: v_dual_mov_b32 v15, 0
	v_mov_b32_e32 v14, 0
	global_load_b64 v[16:17], v8, s[16:17] scale_offset
	s_and_not1_b32 vcc_lo, exec_lo, s4
	s_cbranch_vccnz .LBB312_13
; %bb.7:                                ;   in Loop: Header=BB312_6 Depth=1
	s_lshl_b64 s[22:23], s[20:21], 3
	v_mov_b32_e32 v14, 0
	s_add_nc_u64 s[24:25], s[12:13], s[22:23]
	s_add_nc_u64 s[22:23], s[6:7], s[22:23]
	s_clause 0x1
	global_load_b64 v[18:19], v9, s[24:25]
	global_load_b64 v[20:21], v9, s[22:23]
	s_wait_xcnt 0x0
	s_mov_b32 s22, 0
	v_dual_mov_b32 v15, v14 :: v_dual_mov_b32 v22, v14
	v_mov_b32_e32 v23, v14
	s_wait_loadcnt 0x1
	v_add_nc_u64_e32 v[18:19], v[18:19], v[10:11]
	s_wait_loadcnt 0x0
	v_add_nc_u64_e32 v[20:21], v[20:21], v[12:13]
	s_branch .LBB312_9
.LBB312_8:                              ;   in Loop: Header=BB312_9 Depth=2
	s_wait_xcnt 0x0
	s_or_b32 exec_lo, exec_lo, s23
	s_wait_loadcnt_dscnt 0x0
	ds_store_b32 v27, v30
	s_wait_dscnt 0x0
	s_barrier_signal -1
	s_barrier_wait -1
	ds_load_b128 v[30:33], v29
	ds_load_2addr_b32 v[46:47], v28 offset1:16
	ds_load_b128 v[34:37], v29 offset:512
	ds_load_2addr_b32 v[48:49], v28 offset0:32 offset1:48
	ds_load_2addr_b32 v[50:51], v28 offset0:64 offset1:80
	;; [unrolled: 1-line block ×3, first 2 shown]
	ds_load_b128 v[38:41], v29 offset:16
	ds_load_2addr_b32 v[54:55], v28 offset0:128 offset1:144
	ds_load_b128 v[42:45], v29 offset:528
	v_add_nc_u64_e32 v[18:19], 32, v[18:19]
	v_add_nc_u64_e32 v[20:21], 32, v[20:21]
	s_add_co_i32 s22, s22, 8
	s_delay_alu instid0(SALU_CYCLE_1)
	s_cmp_lt_i32 s22, s9
	s_wait_dscnt 0x8
	v_mov_b32_e32 v8, v33
	s_wait_dscnt 0x7
	v_pk_fma_f32 v[22:23], v[46:47], v[30:31], v[22:23] op_sel_hi:[1,0,1]
	s_wait_dscnt 0x6
	v_pk_fma_f32 v[14:15], v[46:47], v[34:35], v[14:15] op_sel_hi:[1,0,1]
	ds_load_2addr_b32 v[46:47], v28 offset0:160 offset1:176
	s_wait_dscnt 0x6
	v_pk_fma_f32 v[22:23], v[48:49], v[30:31], v[22:23] op_sel:[0,1,0]
	v_pk_fma_f32 v[14:15], v[48:49], v[34:35], v[14:15] op_sel:[0,1,0]
	ds_load_2addr_b32 v[30:31], v28 offset0:192 offset1:208
	v_mov_b32_e32 v34, v37
	s_wait_dscnt 0x6
	v_pk_fma_f32 v[22:23], v[50:51], v[32:33], v[22:23] op_sel_hi:[1,0,1]
	v_pk_fma_f32 v[14:15], v[50:51], v[36:37], v[14:15] op_sel_hi:[1,0,1]
	ds_load_2addr_b32 v[32:33], v28 offset0:224 offset1:240
	s_wait_dscnt 0x0
	s_barrier_signal -1
	v_pk_fma_f32 v[22:23], v[52:53], v[8:9], v[22:23] op_sel_hi:[1,0,1]
	v_pk_fma_f32 v[14:15], v[52:53], v[34:35], v[14:15] op_sel_hi:[1,0,1]
	v_dual_mov_b32 v8, v41 :: v_dual_mov_b32 v34, v45
	s_barrier_wait -1
	s_delay_alu instid0(VALU_DEP_3) | instskip(NEXT) | instid1(VALU_DEP_3)
	v_pk_fma_f32 v[22:23], v[54:55], v[38:39], v[22:23] op_sel_hi:[1,0,1]
	v_pk_fma_f32 v[14:15], v[54:55], v[42:43], v[14:15] op_sel_hi:[1,0,1]
	s_delay_alu instid0(VALU_DEP_2) | instskip(NEXT) | instid1(VALU_DEP_2)
	v_pk_fma_f32 v[22:23], v[46:47], v[38:39], v[22:23] op_sel:[0,1,0]
	v_pk_fma_f32 v[14:15], v[46:47], v[42:43], v[14:15] op_sel:[0,1,0]
	s_delay_alu instid0(VALU_DEP_2) | instskip(NEXT) | instid1(VALU_DEP_2)
	v_pk_fma_f32 v[22:23], v[30:31], v[40:41], v[22:23] op_sel_hi:[1,0,1]
	v_pk_fma_f32 v[14:15], v[30:31], v[44:45], v[14:15] op_sel_hi:[1,0,1]
	s_delay_alu instid0(VALU_DEP_2) | instskip(NEXT) | instid1(VALU_DEP_2)
	v_pk_fma_f32 v[22:23], v[32:33], v[8:9], v[22:23] op_sel_hi:[1,0,1]
	v_pk_fma_f32 v[14:15], v[32:33], v[34:35], v[14:15] op_sel_hi:[1,0,1]
	s_cbranch_scc0 .LBB312_13
.LBB312_9:                              ;   Parent Loop BB312_6 Depth=1
                                        ; =>  This Inner Loop Header: Depth=2
	v_add_nc_u32_e32 v8, s22, v24
	s_delay_alu instid0(VALU_DEP_1) | instskip(SKIP_2) | instid1(SALU_CYCLE_1)
	v_cmp_gt_i32_e32 vcc_lo, s9, v8
	v_mov_b32_e32 v8, 0
	s_and_b32 s24, s0, vcc_lo
	s_and_saveexec_b32 s23, s24
	s_cbranch_execz .LBB312_11
; %bb.10:                               ;   in Loop: Header=BB312_9 Depth=2
	flat_load_b32 v8, v[18:19]
.LBB312_11:                             ;   in Loop: Header=BB312_9 Depth=2
	s_wait_xcnt 0x0
	s_or_b32 exec_lo, exec_lo, s23
	v_add_nc_u32_e32 v30, s22, v25
	s_wait_loadcnt_dscnt 0x0
	ds_store_b32 v26, v8
	v_cmp_gt_i32_e32 vcc_lo, s9, v30
	v_mov_b32_e32 v30, 0
	s_and_b32 s24, vcc_lo, s1
	s_delay_alu instid0(SALU_CYCLE_1)
	s_and_saveexec_b32 s23, s24
	s_cbranch_execz .LBB312_8
; %bb.12:                               ;   in Loop: Header=BB312_9 Depth=2
	flat_load_b32 v30, v[20:21]
	s_branch .LBB312_8
.LBB312_13:                             ;   in Loop: Header=BB312_6 Depth=1
	s_wait_loadcnt 0x0
	v_add_nc_u64_e32 v[16:17], s[2:3], v[16:17]
	s_delay_alu instid0(VALU_DEP_1)
	v_lshl_add_u64 v[18:19], v[2:3], 2, v[16:17]
	s_wait_xcnt 0x0
	s_and_saveexec_b32 s22, s18
	s_cbranch_execz .LBB312_17
; %bb.14:                               ;   in Loop: Header=BB312_6 Depth=1
	v_mul_f32_e32 v8, s10, v22
	v_lshl_add_u64 v[20:21], v[0:1], 2, v[18:19]
	s_and_b32 vcc_lo, exec_lo, s14
	s_cbranch_vccz .LBB312_28
; %bb.15:                               ;   in Loop: Header=BB312_6 Depth=1
	flat_load_b32 v22, v[20:21]
	s_wait_loadcnt_dscnt 0x0
	v_fma_f32 v22, s11, v22, v8
	flat_store_b32 v[20:21], v22
	s_cbranch_execnz .LBB312_17
.LBB312_16:                             ;   in Loop: Header=BB312_6 Depth=1
	flat_store_b32 v[20:21], v8
.LBB312_17:                             ;   in Loop: Header=BB312_6 Depth=1
	s_wait_xcnt 0x0
	s_or_b32 exec_lo, exec_lo, s22
	s_and_saveexec_b32 s22, s19
	s_cbranch_execz .LBB312_21
; %bb.18:                               ;   in Loop: Header=BB312_6 Depth=1
	v_mul_f32_e32 v8, s10, v23
	v_lshl_add_u64 v[18:19], v[6:7], 2, v[18:19]
	s_and_not1_b32 vcc_lo, exec_lo, s14
	s_cbranch_vccnz .LBB312_29
; %bb.19:                               ;   in Loop: Header=BB312_6 Depth=1
	flat_load_b32 v20, v[18:19]
	s_wait_loadcnt_dscnt 0x0
	v_fma_f32 v20, s11, v20, v8
	flat_store_b32 v[18:19], v20
	s_cbranch_execnz .LBB312_21
.LBB312_20:                             ;   in Loop: Header=BB312_6 Depth=1
	flat_store_b32 v[18:19], v8
.LBB312_21:                             ;   in Loop: Header=BB312_6 Depth=1
	s_wait_xcnt 0x0
	s_or_b32 exec_lo, exec_lo, s22
	v_lshl_add_u64 v[16:17], v[4:5], 2, v[16:17]
	s_and_saveexec_b32 s22, s5
	s_cbranch_execz .LBB312_25
; %bb.22:                               ;   in Loop: Header=BB312_6 Depth=1
	v_mul_f32_e32 v8, s10, v14
	s_delay_alu instid0(VALU_DEP_2)
	v_lshl_add_u64 v[18:19], v[0:1], 2, v[16:17]
	s_and_not1_b32 vcc_lo, exec_lo, s14
	s_cbranch_vccnz .LBB312_30
; %bb.23:                               ;   in Loop: Header=BB312_6 Depth=1
	flat_load_b32 v14, v[18:19]
	s_wait_loadcnt_dscnt 0x0
	v_fma_f32 v14, s11, v14, v8
	flat_store_b32 v[18:19], v14
	s_cbranch_execnz .LBB312_25
.LBB312_24:                             ;   in Loop: Header=BB312_6 Depth=1
	flat_store_b32 v[18:19], v8
.LBB312_25:                             ;   in Loop: Header=BB312_6 Depth=1
	s_wait_xcnt 0x0
	s_or_b32 exec_lo, exec_lo, s22
	s_and_saveexec_b32 s22, s8
	s_cbranch_execz .LBB312_5
; %bb.26:                               ;   in Loop: Header=BB312_6 Depth=1
	v_mul_f32_e32 v8, s10, v15
	v_lshl_add_u64 v[14:15], v[6:7], 2, v[16:17]
	s_and_not1_b32 vcc_lo, exec_lo, s14
	s_cbranch_vccnz .LBB312_31
; %bb.27:                               ;   in Loop: Header=BB312_6 Depth=1
	flat_load_b32 v16, v[14:15]
	s_wait_loadcnt_dscnt 0x0
	v_fma_f32 v16, s11, v16, v8
	flat_store_b32 v[14:15], v16
	s_cbranch_execnz .LBB312_5
	s_branch .LBB312_32
.LBB312_28:                             ;   in Loop: Header=BB312_6 Depth=1
	s_branch .LBB312_16
.LBB312_29:                             ;   in Loop: Header=BB312_6 Depth=1
	s_branch .LBB312_20
.LBB312_30:                             ;   in Loop: Header=BB312_6 Depth=1
	s_branch .LBB312_24
.LBB312_31:                             ;   in Loop: Header=BB312_6 Depth=1
.LBB312_32:                             ;   in Loop: Header=BB312_6 Depth=1
	flat_store_b32 v[14:15], v8
	s_branch .LBB312_5
.LBB312_33:
	s_endpgm
	.section	.rodata,"a",@progbits
	.p2align	6, 0x0
	.amdhsa_kernel _ZL29rocblas_internal_gemmt_kernelIiLi16ELi32ELi8ELc67ELc78ELc85ELb0ELb0EffPKPKfPKPfEviT_T9_T10_S7_lS9_S7_lS8_T11_S7_li
		.amdhsa_group_segment_fixed_size 2048
		.amdhsa_private_segment_fixed_size 0
		.amdhsa_kernarg_size 100
		.amdhsa_user_sgpr_count 2
		.amdhsa_user_sgpr_dispatch_ptr 0
		.amdhsa_user_sgpr_queue_ptr 0
		.amdhsa_user_sgpr_kernarg_segment_ptr 1
		.amdhsa_user_sgpr_dispatch_id 0
		.amdhsa_user_sgpr_kernarg_preload_length 0
		.amdhsa_user_sgpr_kernarg_preload_offset 0
		.amdhsa_user_sgpr_private_segment_size 0
		.amdhsa_wavefront_size32 1
		.amdhsa_uses_dynamic_stack 0
		.amdhsa_enable_private_segment 0
		.amdhsa_system_sgpr_workgroup_id_x 1
		.amdhsa_system_sgpr_workgroup_id_y 1
		.amdhsa_system_sgpr_workgroup_id_z 1
		.amdhsa_system_sgpr_workgroup_info 0
		.amdhsa_system_vgpr_workitem_id 1
		.amdhsa_next_free_vgpr 56
		.amdhsa_next_free_sgpr 31
		.amdhsa_named_barrier_count 0
		.amdhsa_reserve_vcc 1
		.amdhsa_float_round_mode_32 0
		.amdhsa_float_round_mode_16_64 0
		.amdhsa_float_denorm_mode_32 3
		.amdhsa_float_denorm_mode_16_64 3
		.amdhsa_fp16_overflow 0
		.amdhsa_memory_ordered 1
		.amdhsa_forward_progress 1
		.amdhsa_inst_pref_size 14
		.amdhsa_round_robin_scheduling 0
		.amdhsa_exception_fp_ieee_invalid_op 0
		.amdhsa_exception_fp_denorm_src 0
		.amdhsa_exception_fp_ieee_div_zero 0
		.amdhsa_exception_fp_ieee_overflow 0
		.amdhsa_exception_fp_ieee_underflow 0
		.amdhsa_exception_fp_ieee_inexact 0
		.amdhsa_exception_int_div_zero 0
	.end_amdhsa_kernel
	.section	.text._ZL29rocblas_internal_gemmt_kernelIiLi16ELi32ELi8ELc67ELc78ELc85ELb0ELb0EffPKPKfPKPfEviT_T9_T10_S7_lS9_S7_lS8_T11_S7_li,"axG",@progbits,_ZL29rocblas_internal_gemmt_kernelIiLi16ELi32ELi8ELc67ELc78ELc85ELb0ELb0EffPKPKfPKPfEviT_T9_T10_S7_lS9_S7_lS8_T11_S7_li,comdat
.Lfunc_end312:
	.size	_ZL29rocblas_internal_gemmt_kernelIiLi16ELi32ELi8ELc67ELc78ELc85ELb0ELb0EffPKPKfPKPfEviT_T9_T10_S7_lS9_S7_lS8_T11_S7_li, .Lfunc_end312-_ZL29rocblas_internal_gemmt_kernelIiLi16ELi32ELi8ELc67ELc78ELc85ELb0ELb0EffPKPKfPKPfEviT_T9_T10_S7_lS9_S7_lS8_T11_S7_li
                                        ; -- End function
	.set _ZL29rocblas_internal_gemmt_kernelIiLi16ELi32ELi8ELc67ELc78ELc85ELb0ELb0EffPKPKfPKPfEviT_T9_T10_S7_lS9_S7_lS8_T11_S7_li.num_vgpr, 56
	.set _ZL29rocblas_internal_gemmt_kernelIiLi16ELi32ELi8ELc67ELc78ELc85ELb0ELb0EffPKPKfPKPfEviT_T9_T10_S7_lS9_S7_lS8_T11_S7_li.num_agpr, 0
	.set _ZL29rocblas_internal_gemmt_kernelIiLi16ELi32ELi8ELc67ELc78ELc85ELb0ELb0EffPKPKfPKPfEviT_T9_T10_S7_lS9_S7_lS8_T11_S7_li.numbered_sgpr, 31
	.set _ZL29rocblas_internal_gemmt_kernelIiLi16ELi32ELi8ELc67ELc78ELc85ELb0ELb0EffPKPKfPKPfEviT_T9_T10_S7_lS9_S7_lS8_T11_S7_li.num_named_barrier, 0
	.set _ZL29rocblas_internal_gemmt_kernelIiLi16ELi32ELi8ELc67ELc78ELc85ELb0ELb0EffPKPKfPKPfEviT_T9_T10_S7_lS9_S7_lS8_T11_S7_li.private_seg_size, 0
	.set _ZL29rocblas_internal_gemmt_kernelIiLi16ELi32ELi8ELc67ELc78ELc85ELb0ELb0EffPKPKfPKPfEviT_T9_T10_S7_lS9_S7_lS8_T11_S7_li.uses_vcc, 1
	.set _ZL29rocblas_internal_gemmt_kernelIiLi16ELi32ELi8ELc67ELc78ELc85ELb0ELb0EffPKPKfPKPfEviT_T9_T10_S7_lS9_S7_lS8_T11_S7_li.uses_flat_scratch, 0
	.set _ZL29rocblas_internal_gemmt_kernelIiLi16ELi32ELi8ELc67ELc78ELc85ELb0ELb0EffPKPKfPKPfEviT_T9_T10_S7_lS9_S7_lS8_T11_S7_li.has_dyn_sized_stack, 0
	.set _ZL29rocblas_internal_gemmt_kernelIiLi16ELi32ELi8ELc67ELc78ELc85ELb0ELb0EffPKPKfPKPfEviT_T9_T10_S7_lS9_S7_lS8_T11_S7_li.has_recursion, 0
	.set _ZL29rocblas_internal_gemmt_kernelIiLi16ELi32ELi8ELc67ELc78ELc85ELb0ELb0EffPKPKfPKPfEviT_T9_T10_S7_lS9_S7_lS8_T11_S7_li.has_indirect_call, 0
	.section	.AMDGPU.csdata,"",@progbits
; Kernel info:
; codeLenInByte = 1688
; TotalNumSgprs: 33
; NumVgprs: 56
; ScratchSize: 0
; MemoryBound: 0
; FloatMode: 240
; IeeeMode: 1
; LDSByteSize: 2048 bytes/workgroup (compile time only)
; SGPRBlocks: 0
; VGPRBlocks: 3
; NumSGPRsForWavesPerEU: 33
; NumVGPRsForWavesPerEU: 56
; NamedBarCnt: 0
; Occupancy: 16
; WaveLimiterHint : 1
; COMPUTE_PGM_RSRC2:SCRATCH_EN: 0
; COMPUTE_PGM_RSRC2:USER_SGPR: 2
; COMPUTE_PGM_RSRC2:TRAP_HANDLER: 0
; COMPUTE_PGM_RSRC2:TGID_X_EN: 1
; COMPUTE_PGM_RSRC2:TGID_Y_EN: 1
; COMPUTE_PGM_RSRC2:TGID_Z_EN: 1
; COMPUTE_PGM_RSRC2:TIDIG_COMP_CNT: 1
	.section	.text._ZL29rocblas_internal_gemmt_kernelIiLi16ELi32ELi8ELc67ELc84ELc85ELb0ELb0EffPKPKfPKPfEviT_T9_T10_S7_lS9_S7_lS8_T11_S7_li,"axG",@progbits,_ZL29rocblas_internal_gemmt_kernelIiLi16ELi32ELi8ELc67ELc84ELc85ELb0ELb0EffPKPKfPKPfEviT_T9_T10_S7_lS9_S7_lS8_T11_S7_li,comdat
	.globl	_ZL29rocblas_internal_gemmt_kernelIiLi16ELi32ELi8ELc67ELc84ELc85ELb0ELb0EffPKPKfPKPfEviT_T9_T10_S7_lS9_S7_lS8_T11_S7_li ; -- Begin function _ZL29rocblas_internal_gemmt_kernelIiLi16ELi32ELi8ELc67ELc84ELc85ELb0ELb0EffPKPKfPKPfEviT_T9_T10_S7_lS9_S7_lS8_T11_S7_li
	.p2align	8
	.type	_ZL29rocblas_internal_gemmt_kernelIiLi16ELi32ELi8ELc67ELc84ELc85ELb0ELb0EffPKPKfPKPfEviT_T9_T10_S7_lS9_S7_lS8_T11_S7_li,@function
_ZL29rocblas_internal_gemmt_kernelIiLi16ELi32ELi8ELc67ELc84ELc85ELb0ELb0EffPKPKfPKPfEviT_T9_T10_S7_lS9_S7_lS8_T11_S7_li: ; @_ZL29rocblas_internal_gemmt_kernelIiLi16ELi32ELi8ELc67ELc84ELc85ELb0ELb0EffPKPKfPKPfEviT_T9_T10_S7_lS9_S7_lS8_T11_S7_li
; %bb.0:
	s_clause 0x1
	s_load_b32 s11, s[0:1], 0x40
	s_load_b96 s[8:10], s[0:1], 0x0
	s_wait_kmcnt 0x0
	s_cmp_neq_f32 s11, 1.0
	s_cselect_b32 s2, -1, 0
	s_delay_alu instid0(SALU_CYCLE_1)
	s_and_b32 vcc_lo, exec_lo, s2
	s_cbranch_vccnz .LBB313_2
; %bb.1:
	s_cmp_lg_u32 s9, 0
	s_cselect_b32 s2, -1, 0
	s_cmp_neq_f32 s10, 0
	s_cselect_b32 s3, -1, 0
	s_delay_alu instid0(SALU_CYCLE_1)
	s_and_b32 s2, s2, s3
.LBB313_2:
	s_delay_alu instid0(SALU_CYCLE_1)
	s_and_not1_b32 vcc_lo, exec_lo, s2
	s_cbranch_vccnz .LBB313_33
; %bb.3:
	s_load_b32 s15, s[0:1], 0x60
	s_bfe_u32 s2, ttmp6, 0x40014
	s_lshr_b32 s3, ttmp7, 16
	s_add_co_i32 s2, s2, 1
	s_bfe_u32 s5, ttmp6, 0x40008
	s_mul_i32 s4, s3, s2
	s_getreg_b32 s2, hwreg(HW_REG_IB_STS2, 6, 4)
	s_add_co_i32 s5, s5, s4
	s_cmp_eq_u32 s2, 0
	s_mov_b32 s21, 0
	s_cselect_b32 s20, s3, s5
	s_wait_kmcnt 0x0
	s_cmp_ge_u32 s20, s15
	s_cbranch_scc1 .LBB313_33
; %bb.4:
	s_clause 0x2
	s_load_b96 s[12:14], s[0:1], 0x10
	s_load_b32 s22, s[0:1], 0x30
	s_load_b96 s[16:18], s[0:1], 0x48
	v_and_b32_e32 v2, 0x3ff, v0
	v_bfe_u32 v11, v0, 10, 10
	s_clause 0x2
	s_load_b128 s[4:7], s[0:1], 0x20
	s_load_b64 s[24:25], s[0:1], 0x38
	s_load_b64 s[26:27], s[0:1], 0x58
	s_wait_xcnt 0x0
	s_bfe_u32 s0, ttmp6, 0x4000c
	s_bfe_u32 s1, ttmp6, 0x40010
	s_and_b32 s28, ttmp7, 0xffff
	s_add_co_i32 s29, s0, 1
	s_add_co_i32 s30, s1, 1
	v_lshl_add_u32 v1, v11, 4, v2
	s_and_b32 s19, ttmp6, 15
	v_and_b32_e32 v0, 7, v0
	v_lshl_add_u32 v29, v11, 5, 0x400
	s_delay_alu instid0(VALU_DEP_3)
	v_dual_mov_b32 v3, 0 :: v_dual_bitop2_b32 v6, 31, v1 bitop3:0x40
	v_dual_lshrrev_b32 v7, 3, v1 :: v_dual_lshrrev_b32 v26, 5, v1
	v_lshlrev_b32_e32 v28, 2, v2
	s_wait_kmcnt 0x0
	s_ashr_i32 s1, s14, 31
	s_mov_b32 s0, s14
	s_mul_i32 s14, ttmp9, s29
	s_mul_i32 s29, s28, s30
	s_bfe_u32 s30, ttmp6, 0x40004
	s_ashr_i32 s23, s22, 31
	s_ashr_i32 s3, s18, 31
	s_add_co_i32 s19, s19, s14
	s_add_co_i32 s30, s30, s29
	s_cmp_eq_u32 s2, 0
	s_cselect_b32 s2, ttmp9, s19
	s_cselect_b32 s14, s28, s30
	s_lshl_b32 s19, s2, 5
	s_lshl_b32 s14, s14, 5
	v_dual_mov_b32 v1, v3 :: v_dual_bitop2_b32 v4, s19, v6 bitop3:0x54
	v_add_nc_u32_e32 v12, s14, v11
	v_add_nc_u32_e32 v14, s14, v7
	s_mov_b32 s2, s18
	s_delay_alu instid0(VALU_DEP_3) | instskip(SKIP_3) | instid1(VALU_DEP_4)
	v_ashrrev_i32_e32 v5, 31, v4
	v_mul_u64_e32 v[18:19], s[22:23], v[0:1]
	v_dual_add_nc_u32 v20, 16, v12 :: v_dual_ashrrev_i32 v13, 31, v12
	v_ashrrev_i32_e32 v15, 31, v14
	v_mul_u64_e32 v[16:17], s[0:1], v[4:5]
	v_dual_lshlrev_b32 v5, 2, v6 :: v_dual_lshlrev_b32 v6, 2, v0
	s_delay_alu instid0(VALU_DEP_4) | instskip(SKIP_2) | instid1(VALU_DEP_4)
	v_ashrrev_i32_e32 v21, 31, v20
	v_cmp_gt_i32_e64 s0, s8, v4
	v_add_nc_u32_e32 v4, s19, v2
	v_lshl_or_b32 v1, v26, 7, v5
	v_lshl_or_b32 v5, v7, 5, v6
	v_mul_u64_e32 v[6:7], s[2:3], v[12:13]
	v_mul_u64_e32 v[8:9], s[2:3], v[20:21]
	s_cmp_neq_f32 s10, 0
	v_add_nc_u32_e32 v10, 16, v4
	v_add_nc_u32_e32 v27, 0x400, v5
	v_cmp_gt_i32_e32 vcc_lo, s8, v12
	s_cselect_b32 s28, -1, 0
	s_cmp_gt_i32 s9, 0
	v_cmp_le_i32_e64 s2, v4, v12
	s_cselect_b32 s29, -1, 0
	s_cmp_neq_f32 s11, 0
	v_ashrrev_i32_e32 v5, 31, v4
	v_cmp_le_i32_e64 s3, v10, v12
	v_lshlrev_b32_e32 v2, 2, v26
	s_cselect_b32 s14, -1, 0
	s_lshl_b64 s[4:5], s[4:5], 2
	s_and_b32 s18, vcc_lo, s2
	s_and_b32 s19, vcc_lo, s3
	v_cmp_gt_i32_e32 vcc_lo, s8, v20
	v_cmp_le_i32_e64 s2, v4, v20
	v_cmp_gt_i32_e64 s1, s8, v14
	v_ashrrev_i32_e32 v11, 31, v10
	v_lshl_add_u64 v[12:13], v[16:17], 2, s[4:5]
	s_lshl_b64 s[4:5], s[24:25], 2
	s_and_b32 s8, vcc_lo, s2
	v_lshl_add_u64 v[16:17], v[18:19], 2, s[4:5]
	v_cmp_le_i32_e64 s2, v10, v20
	v_add_nc_u64_e32 v[12:13], v[12:13], v[2:3]
	s_and_b32 s24, s28, s29
	s_lshl_b64 s[4:5], s[26:27], 2
	v_lshl_add_u64 v[14:15], v[14:15], 2, v[16:17]
	s_and_b32 s25, vcc_lo, s2
	s_lshl_b64 s[2:3], s[22:23], 5
	s_branch .LBB313_6
.LBB313_5:                              ;   in Loop: Header=BB313_6 Depth=1
	s_wait_xcnt 0x0
	s_or_b32 exec_lo, exec_lo, s22
	s_add_co_i32 s20, s20, 0x10000
	s_delay_alu instid0(SALU_CYCLE_1)
	s_cmp_lt_u32 s20, s15
	s_cbranch_scc0 .LBB313_33
.LBB313_6:                              ; =>This Loop Header: Depth=1
                                        ;     Child Loop BB313_9 Depth 2
	v_dual_mov_b32 v2, s20 :: v_dual_mov_b32 v25, 0
	v_dual_mov_b32 v24, 0 :: v_dual_mov_b32 v17, 0
	v_mov_b32_e32 v16, 0
	global_load_b64 v[18:19], v2, s[16:17] scale_offset
	s_and_not1_b32 vcc_lo, exec_lo, s24
	s_cbranch_vccnz .LBB313_13
; %bb.7:                                ;   in Loop: Header=BB313_6 Depth=1
	s_lshl_b64 s[22:23], s[20:21], 3
	v_mov_b32_e32 v16, 0
	s_add_nc_u64 s[26:27], s[12:13], s[22:23]
	s_add_nc_u64 s[22:23], s[6:7], s[22:23]
	s_clause 0x1
	global_load_b64 v[20:21], v3, s[26:27]
	global_load_b64 v[22:23], v3, s[22:23]
	s_wait_xcnt 0x0
	s_mov_b32 s22, 0
	v_dual_mov_b32 v17, v16 :: v_dual_mov_b32 v24, v16
	v_mov_b32_e32 v25, v16
	s_wait_loadcnt 0x1
	v_add_nc_u64_e32 v[20:21], v[20:21], v[12:13]
	s_wait_loadcnt 0x0
	v_add_nc_u64_e32 v[22:23], v[22:23], v[14:15]
	s_branch .LBB313_9
.LBB313_8:                              ;   in Loop: Header=BB313_9 Depth=2
	s_wait_xcnt 0x0
	s_or_b32 exec_lo, exec_lo, s23
	s_wait_loadcnt_dscnt 0x0
	ds_store_b32 v27, v30
	s_wait_dscnt 0x0
	s_barrier_signal -1
	s_barrier_wait -1
	ds_load_b128 v[30:33], v29
	ds_load_2addr_b32 v[46:47], v28 offset1:16
	ds_load_b128 v[34:37], v29 offset:512
	ds_load_2addr_b32 v[48:49], v28 offset0:32 offset1:48
	ds_load_2addr_b32 v[50:51], v28 offset0:64 offset1:80
	;; [unrolled: 1-line block ×3, first 2 shown]
	ds_load_b128 v[38:41], v29 offset:16
	ds_load_2addr_b32 v[54:55], v28 offset0:128 offset1:144
	ds_load_b128 v[42:45], v29 offset:528
	v_add_nc_u64_e32 v[20:21], 32, v[20:21]
	v_add_nc_u64_e32 v[22:23], s[2:3], v[22:23]
	s_add_co_i32 s22, s22, 8
	s_delay_alu instid0(SALU_CYCLE_1)
	s_cmp_lt_i32 s22, s9
	s_wait_dscnt 0x8
	v_mov_b32_e32 v2, v33
	s_wait_dscnt 0x7
	v_pk_fma_f32 v[24:25], v[46:47], v[30:31], v[24:25] op_sel_hi:[1,0,1]
	s_wait_dscnt 0x6
	v_pk_fma_f32 v[16:17], v[46:47], v[34:35], v[16:17] op_sel_hi:[1,0,1]
	ds_load_2addr_b32 v[46:47], v28 offset0:160 offset1:176
	s_wait_dscnt 0x6
	v_pk_fma_f32 v[24:25], v[48:49], v[30:31], v[24:25] op_sel:[0,1,0]
	v_pk_fma_f32 v[16:17], v[48:49], v[34:35], v[16:17] op_sel:[0,1,0]
	ds_load_2addr_b32 v[30:31], v28 offset0:192 offset1:208
	v_mov_b32_e32 v34, v37
	s_wait_dscnt 0x6
	v_pk_fma_f32 v[24:25], v[50:51], v[32:33], v[24:25] op_sel_hi:[1,0,1]
	v_pk_fma_f32 v[16:17], v[50:51], v[36:37], v[16:17] op_sel_hi:[1,0,1]
	ds_load_2addr_b32 v[32:33], v28 offset0:224 offset1:240
	s_wait_dscnt 0x0
	s_barrier_signal -1
	v_pk_fma_f32 v[24:25], v[52:53], v[2:3], v[24:25] op_sel_hi:[1,0,1]
	v_pk_fma_f32 v[16:17], v[52:53], v[34:35], v[16:17] op_sel_hi:[1,0,1]
	v_dual_mov_b32 v2, v41 :: v_dual_mov_b32 v34, v45
	s_barrier_wait -1
	s_delay_alu instid0(VALU_DEP_3) | instskip(NEXT) | instid1(VALU_DEP_3)
	v_pk_fma_f32 v[24:25], v[54:55], v[38:39], v[24:25] op_sel_hi:[1,0,1]
	v_pk_fma_f32 v[16:17], v[54:55], v[42:43], v[16:17] op_sel_hi:[1,0,1]
	s_delay_alu instid0(VALU_DEP_2) | instskip(NEXT) | instid1(VALU_DEP_2)
	v_pk_fma_f32 v[24:25], v[46:47], v[38:39], v[24:25] op_sel:[0,1,0]
	v_pk_fma_f32 v[16:17], v[46:47], v[42:43], v[16:17] op_sel:[0,1,0]
	s_delay_alu instid0(VALU_DEP_2) | instskip(NEXT) | instid1(VALU_DEP_2)
	v_pk_fma_f32 v[24:25], v[30:31], v[40:41], v[24:25] op_sel_hi:[1,0,1]
	v_pk_fma_f32 v[16:17], v[30:31], v[44:45], v[16:17] op_sel_hi:[1,0,1]
	s_delay_alu instid0(VALU_DEP_2) | instskip(NEXT) | instid1(VALU_DEP_2)
	v_pk_fma_f32 v[24:25], v[32:33], v[2:3], v[24:25] op_sel_hi:[1,0,1]
	v_pk_fma_f32 v[16:17], v[32:33], v[34:35], v[16:17] op_sel_hi:[1,0,1]
	s_cbranch_scc0 .LBB313_13
.LBB313_9:                              ;   Parent Loop BB313_6 Depth=1
                                        ; =>  This Inner Loop Header: Depth=2
	v_add_nc_u32_e32 v2, s22, v26
	s_delay_alu instid0(VALU_DEP_1) | instskip(SKIP_2) | instid1(SALU_CYCLE_1)
	v_cmp_gt_i32_e32 vcc_lo, s9, v2
	v_mov_b32_e32 v2, 0
	s_and_b32 s26, s0, vcc_lo
	s_and_saveexec_b32 s23, s26
	s_cbranch_execz .LBB313_11
; %bb.10:                               ;   in Loop: Header=BB313_9 Depth=2
	flat_load_b32 v2, v[20:21]
.LBB313_11:                             ;   in Loop: Header=BB313_9 Depth=2
	s_wait_xcnt 0x0
	s_or_b32 exec_lo, exec_lo, s23
	v_add_nc_u32_e32 v30, s22, v0
	s_wait_loadcnt_dscnt 0x0
	ds_store_b32 v1, v2
	v_cmp_gt_i32_e32 vcc_lo, s9, v30
	v_mov_b32_e32 v30, 0
	s_and_b32 s26, vcc_lo, s1
	s_delay_alu instid0(SALU_CYCLE_1)
	s_and_saveexec_b32 s23, s26
	s_cbranch_execz .LBB313_8
; %bb.12:                               ;   in Loop: Header=BB313_9 Depth=2
	flat_load_b32 v30, v[22:23]
	s_branch .LBB313_8
.LBB313_13:                             ;   in Loop: Header=BB313_6 Depth=1
	s_wait_loadcnt 0x0
	v_add_nc_u64_e32 v[18:19], s[4:5], v[18:19]
	s_delay_alu instid0(VALU_DEP_1)
	v_lshl_add_u64 v[20:21], v[6:7], 2, v[18:19]
	s_wait_xcnt 0x0
	s_and_saveexec_b32 s22, s18
	s_cbranch_execz .LBB313_17
; %bb.14:                               ;   in Loop: Header=BB313_6 Depth=1
	v_mul_f32_e32 v2, s10, v24
	v_lshl_add_u64 v[22:23], v[4:5], 2, v[20:21]
	s_and_b32 vcc_lo, exec_lo, s14
	s_cbranch_vccz .LBB313_28
; %bb.15:                               ;   in Loop: Header=BB313_6 Depth=1
	flat_load_b32 v24, v[22:23]
	s_wait_loadcnt_dscnt 0x0
	v_fma_f32 v24, s11, v24, v2
	flat_store_b32 v[22:23], v24
	s_cbranch_execnz .LBB313_17
.LBB313_16:                             ;   in Loop: Header=BB313_6 Depth=1
	flat_store_b32 v[22:23], v2
.LBB313_17:                             ;   in Loop: Header=BB313_6 Depth=1
	s_wait_xcnt 0x0
	s_or_b32 exec_lo, exec_lo, s22
	s_and_saveexec_b32 s22, s19
	s_cbranch_execz .LBB313_21
; %bb.18:                               ;   in Loop: Header=BB313_6 Depth=1
	v_mul_f32_e32 v2, s10, v25
	v_lshl_add_u64 v[20:21], v[10:11], 2, v[20:21]
	s_and_not1_b32 vcc_lo, exec_lo, s14
	s_cbranch_vccnz .LBB313_29
; %bb.19:                               ;   in Loop: Header=BB313_6 Depth=1
	flat_load_b32 v22, v[20:21]
	s_wait_loadcnt_dscnt 0x0
	v_fma_f32 v22, s11, v22, v2
	flat_store_b32 v[20:21], v22
	s_cbranch_execnz .LBB313_21
.LBB313_20:                             ;   in Loop: Header=BB313_6 Depth=1
	flat_store_b32 v[20:21], v2
.LBB313_21:                             ;   in Loop: Header=BB313_6 Depth=1
	s_wait_xcnt 0x0
	s_or_b32 exec_lo, exec_lo, s22
	v_lshl_add_u64 v[18:19], v[8:9], 2, v[18:19]
	s_and_saveexec_b32 s22, s8
	s_cbranch_execz .LBB313_25
; %bb.22:                               ;   in Loop: Header=BB313_6 Depth=1
	v_mul_f32_e32 v2, s10, v16
	s_delay_alu instid0(VALU_DEP_2)
	v_lshl_add_u64 v[20:21], v[4:5], 2, v[18:19]
	s_and_not1_b32 vcc_lo, exec_lo, s14
	s_cbranch_vccnz .LBB313_30
; %bb.23:                               ;   in Loop: Header=BB313_6 Depth=1
	flat_load_b32 v16, v[20:21]
	s_wait_loadcnt_dscnt 0x0
	v_fma_f32 v16, s11, v16, v2
	flat_store_b32 v[20:21], v16
	s_cbranch_execnz .LBB313_25
.LBB313_24:                             ;   in Loop: Header=BB313_6 Depth=1
	flat_store_b32 v[20:21], v2
.LBB313_25:                             ;   in Loop: Header=BB313_6 Depth=1
	s_wait_xcnt 0x0
	s_or_b32 exec_lo, exec_lo, s22
	s_and_saveexec_b32 s22, s25
	s_cbranch_execz .LBB313_5
; %bb.26:                               ;   in Loop: Header=BB313_6 Depth=1
	v_mul_f32_e32 v2, s10, v17
	v_lshl_add_u64 v[16:17], v[10:11], 2, v[18:19]
	s_and_not1_b32 vcc_lo, exec_lo, s14
	s_cbranch_vccnz .LBB313_31
; %bb.27:                               ;   in Loop: Header=BB313_6 Depth=1
	flat_load_b32 v18, v[16:17]
	s_wait_loadcnt_dscnt 0x0
	v_fma_f32 v18, s11, v18, v2
	flat_store_b32 v[16:17], v18
	s_cbranch_execnz .LBB313_5
	s_branch .LBB313_32
.LBB313_28:                             ;   in Loop: Header=BB313_6 Depth=1
	s_branch .LBB313_16
.LBB313_29:                             ;   in Loop: Header=BB313_6 Depth=1
	s_branch .LBB313_20
.LBB313_30:                             ;   in Loop: Header=BB313_6 Depth=1
	s_branch .LBB313_24
.LBB313_31:                             ;   in Loop: Header=BB313_6 Depth=1
.LBB313_32:                             ;   in Loop: Header=BB313_6 Depth=1
	flat_store_b32 v[16:17], v2
	s_branch .LBB313_5
.LBB313_33:
	s_endpgm
	.section	.rodata,"a",@progbits
	.p2align	6, 0x0
	.amdhsa_kernel _ZL29rocblas_internal_gemmt_kernelIiLi16ELi32ELi8ELc67ELc84ELc85ELb0ELb0EffPKPKfPKPfEviT_T9_T10_S7_lS9_S7_lS8_T11_S7_li
		.amdhsa_group_segment_fixed_size 2048
		.amdhsa_private_segment_fixed_size 0
		.amdhsa_kernarg_size 100
		.amdhsa_user_sgpr_count 2
		.amdhsa_user_sgpr_dispatch_ptr 0
		.amdhsa_user_sgpr_queue_ptr 0
		.amdhsa_user_sgpr_kernarg_segment_ptr 1
		.amdhsa_user_sgpr_dispatch_id 0
		.amdhsa_user_sgpr_kernarg_preload_length 0
		.amdhsa_user_sgpr_kernarg_preload_offset 0
		.amdhsa_user_sgpr_private_segment_size 0
		.amdhsa_wavefront_size32 1
		.amdhsa_uses_dynamic_stack 0
		.amdhsa_enable_private_segment 0
		.amdhsa_system_sgpr_workgroup_id_x 1
		.amdhsa_system_sgpr_workgroup_id_y 1
		.amdhsa_system_sgpr_workgroup_id_z 1
		.amdhsa_system_sgpr_workgroup_info 0
		.amdhsa_system_vgpr_workitem_id 1
		.amdhsa_next_free_vgpr 56
		.amdhsa_next_free_sgpr 31
		.amdhsa_named_barrier_count 0
		.amdhsa_reserve_vcc 1
		.amdhsa_float_round_mode_32 0
		.amdhsa_float_round_mode_16_64 0
		.amdhsa_float_denorm_mode_32 3
		.amdhsa_float_denorm_mode_16_64 3
		.amdhsa_fp16_overflow 0
		.amdhsa_memory_ordered 1
		.amdhsa_forward_progress 1
		.amdhsa_inst_pref_size 13
		.amdhsa_round_robin_scheduling 0
		.amdhsa_exception_fp_ieee_invalid_op 0
		.amdhsa_exception_fp_denorm_src 0
		.amdhsa_exception_fp_ieee_div_zero 0
		.amdhsa_exception_fp_ieee_overflow 0
		.amdhsa_exception_fp_ieee_underflow 0
		.amdhsa_exception_fp_ieee_inexact 0
		.amdhsa_exception_int_div_zero 0
	.end_amdhsa_kernel
	.section	.text._ZL29rocblas_internal_gemmt_kernelIiLi16ELi32ELi8ELc67ELc84ELc85ELb0ELb0EffPKPKfPKPfEviT_T9_T10_S7_lS9_S7_lS8_T11_S7_li,"axG",@progbits,_ZL29rocblas_internal_gemmt_kernelIiLi16ELi32ELi8ELc67ELc84ELc85ELb0ELb0EffPKPKfPKPfEviT_T9_T10_S7_lS9_S7_lS8_T11_S7_li,comdat
.Lfunc_end313:
	.size	_ZL29rocblas_internal_gemmt_kernelIiLi16ELi32ELi8ELc67ELc84ELc85ELb0ELb0EffPKPKfPKPfEviT_T9_T10_S7_lS9_S7_lS8_T11_S7_li, .Lfunc_end313-_ZL29rocblas_internal_gemmt_kernelIiLi16ELi32ELi8ELc67ELc84ELc85ELb0ELb0EffPKPKfPKPfEviT_T9_T10_S7_lS9_S7_lS8_T11_S7_li
                                        ; -- End function
	.set _ZL29rocblas_internal_gemmt_kernelIiLi16ELi32ELi8ELc67ELc84ELc85ELb0ELb0EffPKPKfPKPfEviT_T9_T10_S7_lS9_S7_lS8_T11_S7_li.num_vgpr, 56
	.set _ZL29rocblas_internal_gemmt_kernelIiLi16ELi32ELi8ELc67ELc84ELc85ELb0ELb0EffPKPKfPKPfEviT_T9_T10_S7_lS9_S7_lS8_T11_S7_li.num_agpr, 0
	.set _ZL29rocblas_internal_gemmt_kernelIiLi16ELi32ELi8ELc67ELc84ELc85ELb0ELb0EffPKPKfPKPfEviT_T9_T10_S7_lS9_S7_lS8_T11_S7_li.numbered_sgpr, 31
	.set _ZL29rocblas_internal_gemmt_kernelIiLi16ELi32ELi8ELc67ELc84ELc85ELb0ELb0EffPKPKfPKPfEviT_T9_T10_S7_lS9_S7_lS8_T11_S7_li.num_named_barrier, 0
	.set _ZL29rocblas_internal_gemmt_kernelIiLi16ELi32ELi8ELc67ELc84ELc85ELb0ELb0EffPKPKfPKPfEviT_T9_T10_S7_lS9_S7_lS8_T11_S7_li.private_seg_size, 0
	.set _ZL29rocblas_internal_gemmt_kernelIiLi16ELi32ELi8ELc67ELc84ELc85ELb0ELb0EffPKPKfPKPfEviT_T9_T10_S7_lS9_S7_lS8_T11_S7_li.uses_vcc, 1
	.set _ZL29rocblas_internal_gemmt_kernelIiLi16ELi32ELi8ELc67ELc84ELc85ELb0ELb0EffPKPKfPKPfEviT_T9_T10_S7_lS9_S7_lS8_T11_S7_li.uses_flat_scratch, 0
	.set _ZL29rocblas_internal_gemmt_kernelIiLi16ELi32ELi8ELc67ELc84ELc85ELb0ELb0EffPKPKfPKPfEviT_T9_T10_S7_lS9_S7_lS8_T11_S7_li.has_dyn_sized_stack, 0
	.set _ZL29rocblas_internal_gemmt_kernelIiLi16ELi32ELi8ELc67ELc84ELc85ELb0ELb0EffPKPKfPKPfEviT_T9_T10_S7_lS9_S7_lS8_T11_S7_li.has_recursion, 0
	.set _ZL29rocblas_internal_gemmt_kernelIiLi16ELi32ELi8ELc67ELc84ELc85ELb0ELb0EffPKPKfPKPfEviT_T9_T10_S7_lS9_S7_lS8_T11_S7_li.has_indirect_call, 0
	.section	.AMDGPU.csdata,"",@progbits
; Kernel info:
; codeLenInByte = 1664
; TotalNumSgprs: 33
; NumVgprs: 56
; ScratchSize: 0
; MemoryBound: 0
; FloatMode: 240
; IeeeMode: 1
; LDSByteSize: 2048 bytes/workgroup (compile time only)
; SGPRBlocks: 0
; VGPRBlocks: 3
; NumSGPRsForWavesPerEU: 33
; NumVGPRsForWavesPerEU: 56
; NamedBarCnt: 0
; Occupancy: 16
; WaveLimiterHint : 1
; COMPUTE_PGM_RSRC2:SCRATCH_EN: 0
; COMPUTE_PGM_RSRC2:USER_SGPR: 2
; COMPUTE_PGM_RSRC2:TRAP_HANDLER: 0
; COMPUTE_PGM_RSRC2:TGID_X_EN: 1
; COMPUTE_PGM_RSRC2:TGID_Y_EN: 1
; COMPUTE_PGM_RSRC2:TGID_Z_EN: 1
; COMPUTE_PGM_RSRC2:TIDIG_COMP_CNT: 1
	.section	.text._ZL29rocblas_internal_gemmt_kernelIiLi16ELi32ELi8ELc67ELc67ELc85ELb0ELb0EffPKPKfPKPfEviT_T9_T10_S7_lS9_S7_lS8_T11_S7_li,"axG",@progbits,_ZL29rocblas_internal_gemmt_kernelIiLi16ELi32ELi8ELc67ELc67ELc85ELb0ELb0EffPKPKfPKPfEviT_T9_T10_S7_lS9_S7_lS8_T11_S7_li,comdat
	.globl	_ZL29rocblas_internal_gemmt_kernelIiLi16ELi32ELi8ELc67ELc67ELc85ELb0ELb0EffPKPKfPKPfEviT_T9_T10_S7_lS9_S7_lS8_T11_S7_li ; -- Begin function _ZL29rocblas_internal_gemmt_kernelIiLi16ELi32ELi8ELc67ELc67ELc85ELb0ELb0EffPKPKfPKPfEviT_T9_T10_S7_lS9_S7_lS8_T11_S7_li
	.p2align	8
	.type	_ZL29rocblas_internal_gemmt_kernelIiLi16ELi32ELi8ELc67ELc67ELc85ELb0ELb0EffPKPKfPKPfEviT_T9_T10_S7_lS9_S7_lS8_T11_S7_li,@function
_ZL29rocblas_internal_gemmt_kernelIiLi16ELi32ELi8ELc67ELc67ELc85ELb0ELb0EffPKPKfPKPfEviT_T9_T10_S7_lS9_S7_lS8_T11_S7_li: ; @_ZL29rocblas_internal_gemmt_kernelIiLi16ELi32ELi8ELc67ELc67ELc85ELb0ELb0EffPKPKfPKPfEviT_T9_T10_S7_lS9_S7_lS8_T11_S7_li
; %bb.0:
	s_clause 0x1
	s_load_b32 s11, s[0:1], 0x40
	s_load_b96 s[8:10], s[0:1], 0x0
	s_wait_kmcnt 0x0
	s_cmp_neq_f32 s11, 1.0
	s_cselect_b32 s2, -1, 0
	s_delay_alu instid0(SALU_CYCLE_1)
	s_and_b32 vcc_lo, exec_lo, s2
	s_cbranch_vccnz .LBB314_2
; %bb.1:
	s_cmp_lg_u32 s9, 0
	s_cselect_b32 s2, -1, 0
	s_cmp_neq_f32 s10, 0
	s_cselect_b32 s3, -1, 0
	s_delay_alu instid0(SALU_CYCLE_1)
	s_and_b32 s2, s2, s3
.LBB314_2:
	s_delay_alu instid0(SALU_CYCLE_1)
	s_and_not1_b32 vcc_lo, exec_lo, s2
	s_cbranch_vccnz .LBB314_33
; %bb.3:
	s_load_b32 s15, s[0:1], 0x60
	s_bfe_u32 s2, ttmp6, 0x40014
	s_lshr_b32 s3, ttmp7, 16
	s_add_co_i32 s2, s2, 1
	s_bfe_u32 s5, ttmp6, 0x40008
	s_mul_i32 s4, s3, s2
	s_getreg_b32 s2, hwreg(HW_REG_IB_STS2, 6, 4)
	s_add_co_i32 s5, s5, s4
	s_cmp_eq_u32 s2, 0
	s_mov_b32 s21, 0
	s_cselect_b32 s20, s3, s5
	s_wait_kmcnt 0x0
	s_cmp_ge_u32 s20, s15
	s_cbranch_scc1 .LBB314_33
; %bb.4:
	s_clause 0x2
	s_load_b96 s[12:14], s[0:1], 0x10
	s_load_b32 s22, s[0:1], 0x30
	s_load_b96 s[16:18], s[0:1], 0x48
	v_and_b32_e32 v2, 0x3ff, v0
	v_bfe_u32 v11, v0, 10, 10
	s_clause 0x2
	s_load_b128 s[4:7], s[0:1], 0x20
	s_load_b64 s[24:25], s[0:1], 0x38
	s_load_b64 s[26:27], s[0:1], 0x58
	s_wait_xcnt 0x0
	s_bfe_u32 s0, ttmp6, 0x4000c
	s_bfe_u32 s1, ttmp6, 0x40010
	s_and_b32 s28, ttmp7, 0xffff
	s_add_co_i32 s29, s0, 1
	s_add_co_i32 s30, s1, 1
	v_lshl_add_u32 v1, v11, 4, v2
	s_and_b32 s19, ttmp6, 15
	v_and_b32_e32 v0, 7, v0
	v_lshl_add_u32 v29, v11, 5, 0x400
	s_delay_alu instid0(VALU_DEP_3)
	v_dual_mov_b32 v3, 0 :: v_dual_bitop2_b32 v6, 31, v1 bitop3:0x40
	v_dual_lshrrev_b32 v7, 3, v1 :: v_dual_lshrrev_b32 v26, 5, v1
	v_lshlrev_b32_e32 v28, 2, v2
	s_wait_kmcnt 0x0
	s_ashr_i32 s1, s14, 31
	s_mov_b32 s0, s14
	s_mul_i32 s14, ttmp9, s29
	s_mul_i32 s29, s28, s30
	s_bfe_u32 s30, ttmp6, 0x40004
	s_ashr_i32 s23, s22, 31
	s_ashr_i32 s3, s18, 31
	s_add_co_i32 s19, s19, s14
	s_add_co_i32 s30, s30, s29
	s_cmp_eq_u32 s2, 0
	s_cselect_b32 s2, ttmp9, s19
	s_cselect_b32 s14, s28, s30
	s_lshl_b32 s19, s2, 5
	s_lshl_b32 s14, s14, 5
	v_dual_mov_b32 v1, v3 :: v_dual_bitop2_b32 v4, s19, v6 bitop3:0x54
	v_add_nc_u32_e32 v12, s14, v11
	v_add_nc_u32_e32 v14, s14, v7
	s_mov_b32 s2, s18
	s_delay_alu instid0(VALU_DEP_3) | instskip(SKIP_3) | instid1(VALU_DEP_4)
	v_ashrrev_i32_e32 v5, 31, v4
	v_mul_u64_e32 v[18:19], s[22:23], v[0:1]
	v_dual_add_nc_u32 v20, 16, v12 :: v_dual_ashrrev_i32 v13, 31, v12
	v_ashrrev_i32_e32 v15, 31, v14
	v_mul_u64_e32 v[16:17], s[0:1], v[4:5]
	v_dual_lshlrev_b32 v5, 2, v6 :: v_dual_lshlrev_b32 v6, 2, v0
	s_delay_alu instid0(VALU_DEP_4) | instskip(SKIP_2) | instid1(VALU_DEP_4)
	v_ashrrev_i32_e32 v21, 31, v20
	v_cmp_gt_i32_e64 s0, s8, v4
	v_add_nc_u32_e32 v4, s19, v2
	v_lshl_or_b32 v1, v26, 7, v5
	v_lshl_or_b32 v5, v7, 5, v6
	v_mul_u64_e32 v[6:7], s[2:3], v[12:13]
	v_mul_u64_e32 v[8:9], s[2:3], v[20:21]
	s_cmp_neq_f32 s10, 0
	v_add_nc_u32_e32 v10, 16, v4
	v_add_nc_u32_e32 v27, 0x400, v5
	v_cmp_gt_i32_e32 vcc_lo, s8, v12
	s_cselect_b32 s28, -1, 0
	s_cmp_gt_i32 s9, 0
	v_cmp_le_i32_e64 s2, v4, v12
	s_cselect_b32 s29, -1, 0
	s_cmp_neq_f32 s11, 0
	v_ashrrev_i32_e32 v5, 31, v4
	v_cmp_le_i32_e64 s3, v10, v12
	v_lshlrev_b32_e32 v2, 2, v26
	s_cselect_b32 s14, -1, 0
	s_lshl_b64 s[4:5], s[4:5], 2
	s_and_b32 s18, vcc_lo, s2
	s_and_b32 s19, vcc_lo, s3
	v_cmp_gt_i32_e32 vcc_lo, s8, v20
	v_cmp_le_i32_e64 s2, v4, v20
	v_cmp_gt_i32_e64 s1, s8, v14
	v_ashrrev_i32_e32 v11, 31, v10
	v_lshl_add_u64 v[12:13], v[16:17], 2, s[4:5]
	s_lshl_b64 s[4:5], s[24:25], 2
	s_and_b32 s8, vcc_lo, s2
	v_lshl_add_u64 v[16:17], v[18:19], 2, s[4:5]
	v_cmp_le_i32_e64 s2, v10, v20
	v_add_nc_u64_e32 v[12:13], v[12:13], v[2:3]
	s_and_b32 s24, s28, s29
	s_lshl_b64 s[4:5], s[26:27], 2
	v_lshl_add_u64 v[14:15], v[14:15], 2, v[16:17]
	s_and_b32 s25, vcc_lo, s2
	s_lshl_b64 s[2:3], s[22:23], 5
	s_branch .LBB314_6
.LBB314_5:                              ;   in Loop: Header=BB314_6 Depth=1
	s_wait_xcnt 0x0
	s_or_b32 exec_lo, exec_lo, s22
	s_add_co_i32 s20, s20, 0x10000
	s_delay_alu instid0(SALU_CYCLE_1)
	s_cmp_lt_u32 s20, s15
	s_cbranch_scc0 .LBB314_33
.LBB314_6:                              ; =>This Loop Header: Depth=1
                                        ;     Child Loop BB314_9 Depth 2
	v_dual_mov_b32 v2, s20 :: v_dual_mov_b32 v25, 0
	v_dual_mov_b32 v24, 0 :: v_dual_mov_b32 v17, 0
	v_mov_b32_e32 v16, 0
	global_load_b64 v[18:19], v2, s[16:17] scale_offset
	s_and_not1_b32 vcc_lo, exec_lo, s24
	s_cbranch_vccnz .LBB314_13
; %bb.7:                                ;   in Loop: Header=BB314_6 Depth=1
	s_lshl_b64 s[22:23], s[20:21], 3
	v_mov_b32_e32 v16, 0
	s_add_nc_u64 s[26:27], s[12:13], s[22:23]
	s_add_nc_u64 s[22:23], s[6:7], s[22:23]
	s_clause 0x1
	global_load_b64 v[20:21], v3, s[26:27]
	global_load_b64 v[22:23], v3, s[22:23]
	s_wait_xcnt 0x0
	s_mov_b32 s22, 0
	v_dual_mov_b32 v17, v16 :: v_dual_mov_b32 v24, v16
	v_mov_b32_e32 v25, v16
	s_wait_loadcnt 0x1
	v_add_nc_u64_e32 v[20:21], v[20:21], v[12:13]
	s_wait_loadcnt 0x0
	v_add_nc_u64_e32 v[22:23], v[22:23], v[14:15]
	s_branch .LBB314_9
.LBB314_8:                              ;   in Loop: Header=BB314_9 Depth=2
	s_wait_xcnt 0x0
	s_or_b32 exec_lo, exec_lo, s23
	s_wait_loadcnt_dscnt 0x0
	ds_store_b32 v27, v30
	s_wait_dscnt 0x0
	s_barrier_signal -1
	s_barrier_wait -1
	ds_load_b128 v[30:33], v29
	ds_load_2addr_b32 v[46:47], v28 offset1:16
	ds_load_b128 v[34:37], v29 offset:512
	ds_load_2addr_b32 v[48:49], v28 offset0:32 offset1:48
	ds_load_2addr_b32 v[50:51], v28 offset0:64 offset1:80
	;; [unrolled: 1-line block ×3, first 2 shown]
	ds_load_b128 v[38:41], v29 offset:16
	ds_load_2addr_b32 v[54:55], v28 offset0:128 offset1:144
	ds_load_b128 v[42:45], v29 offset:528
	v_add_nc_u64_e32 v[20:21], 32, v[20:21]
	v_add_nc_u64_e32 v[22:23], s[2:3], v[22:23]
	s_add_co_i32 s22, s22, 8
	s_delay_alu instid0(SALU_CYCLE_1)
	s_cmp_lt_i32 s22, s9
	s_wait_dscnt 0x8
	v_mov_b32_e32 v2, v33
	s_wait_dscnt 0x7
	v_pk_fma_f32 v[24:25], v[46:47], v[30:31], v[24:25] op_sel_hi:[1,0,1]
	s_wait_dscnt 0x6
	v_pk_fma_f32 v[16:17], v[46:47], v[34:35], v[16:17] op_sel_hi:[1,0,1]
	ds_load_2addr_b32 v[46:47], v28 offset0:160 offset1:176
	s_wait_dscnt 0x6
	v_pk_fma_f32 v[24:25], v[48:49], v[30:31], v[24:25] op_sel:[0,1,0]
	v_pk_fma_f32 v[16:17], v[48:49], v[34:35], v[16:17] op_sel:[0,1,0]
	ds_load_2addr_b32 v[30:31], v28 offset0:192 offset1:208
	v_mov_b32_e32 v34, v37
	s_wait_dscnt 0x6
	v_pk_fma_f32 v[24:25], v[50:51], v[32:33], v[24:25] op_sel_hi:[1,0,1]
	v_pk_fma_f32 v[16:17], v[50:51], v[36:37], v[16:17] op_sel_hi:[1,0,1]
	ds_load_2addr_b32 v[32:33], v28 offset0:224 offset1:240
	s_wait_dscnt 0x0
	s_barrier_signal -1
	v_pk_fma_f32 v[24:25], v[52:53], v[2:3], v[24:25] op_sel_hi:[1,0,1]
	v_pk_fma_f32 v[16:17], v[52:53], v[34:35], v[16:17] op_sel_hi:[1,0,1]
	v_dual_mov_b32 v2, v41 :: v_dual_mov_b32 v34, v45
	s_barrier_wait -1
	s_delay_alu instid0(VALU_DEP_3) | instskip(NEXT) | instid1(VALU_DEP_3)
	v_pk_fma_f32 v[24:25], v[54:55], v[38:39], v[24:25] op_sel_hi:[1,0,1]
	v_pk_fma_f32 v[16:17], v[54:55], v[42:43], v[16:17] op_sel_hi:[1,0,1]
	s_delay_alu instid0(VALU_DEP_2) | instskip(NEXT) | instid1(VALU_DEP_2)
	v_pk_fma_f32 v[24:25], v[46:47], v[38:39], v[24:25] op_sel:[0,1,0]
	v_pk_fma_f32 v[16:17], v[46:47], v[42:43], v[16:17] op_sel:[0,1,0]
	s_delay_alu instid0(VALU_DEP_2) | instskip(NEXT) | instid1(VALU_DEP_2)
	v_pk_fma_f32 v[24:25], v[30:31], v[40:41], v[24:25] op_sel_hi:[1,0,1]
	v_pk_fma_f32 v[16:17], v[30:31], v[44:45], v[16:17] op_sel_hi:[1,0,1]
	s_delay_alu instid0(VALU_DEP_2) | instskip(NEXT) | instid1(VALU_DEP_2)
	v_pk_fma_f32 v[24:25], v[32:33], v[2:3], v[24:25] op_sel_hi:[1,0,1]
	v_pk_fma_f32 v[16:17], v[32:33], v[34:35], v[16:17] op_sel_hi:[1,0,1]
	s_cbranch_scc0 .LBB314_13
.LBB314_9:                              ;   Parent Loop BB314_6 Depth=1
                                        ; =>  This Inner Loop Header: Depth=2
	v_add_nc_u32_e32 v2, s22, v26
	s_delay_alu instid0(VALU_DEP_1) | instskip(SKIP_2) | instid1(SALU_CYCLE_1)
	v_cmp_gt_i32_e32 vcc_lo, s9, v2
	v_mov_b32_e32 v2, 0
	s_and_b32 s26, s0, vcc_lo
	s_and_saveexec_b32 s23, s26
	s_cbranch_execz .LBB314_11
; %bb.10:                               ;   in Loop: Header=BB314_9 Depth=2
	flat_load_b32 v2, v[20:21]
.LBB314_11:                             ;   in Loop: Header=BB314_9 Depth=2
	s_wait_xcnt 0x0
	s_or_b32 exec_lo, exec_lo, s23
	v_add_nc_u32_e32 v30, s22, v0
	s_wait_loadcnt_dscnt 0x0
	ds_store_b32 v1, v2
	v_cmp_gt_i32_e32 vcc_lo, s9, v30
	v_mov_b32_e32 v30, 0
	s_and_b32 s26, vcc_lo, s1
	s_delay_alu instid0(SALU_CYCLE_1)
	s_and_saveexec_b32 s23, s26
	s_cbranch_execz .LBB314_8
; %bb.12:                               ;   in Loop: Header=BB314_9 Depth=2
	flat_load_b32 v30, v[22:23]
	s_branch .LBB314_8
.LBB314_13:                             ;   in Loop: Header=BB314_6 Depth=1
	s_wait_loadcnt 0x0
	v_add_nc_u64_e32 v[18:19], s[4:5], v[18:19]
	s_delay_alu instid0(VALU_DEP_1)
	v_lshl_add_u64 v[20:21], v[6:7], 2, v[18:19]
	s_wait_xcnt 0x0
	s_and_saveexec_b32 s22, s18
	s_cbranch_execz .LBB314_17
; %bb.14:                               ;   in Loop: Header=BB314_6 Depth=1
	v_mul_f32_e32 v2, s10, v24
	v_lshl_add_u64 v[22:23], v[4:5], 2, v[20:21]
	s_and_b32 vcc_lo, exec_lo, s14
	s_cbranch_vccz .LBB314_28
; %bb.15:                               ;   in Loop: Header=BB314_6 Depth=1
	flat_load_b32 v24, v[22:23]
	s_wait_loadcnt_dscnt 0x0
	v_fma_f32 v24, s11, v24, v2
	flat_store_b32 v[22:23], v24
	s_cbranch_execnz .LBB314_17
.LBB314_16:                             ;   in Loop: Header=BB314_6 Depth=1
	flat_store_b32 v[22:23], v2
.LBB314_17:                             ;   in Loop: Header=BB314_6 Depth=1
	s_wait_xcnt 0x0
	s_or_b32 exec_lo, exec_lo, s22
	s_and_saveexec_b32 s22, s19
	s_cbranch_execz .LBB314_21
; %bb.18:                               ;   in Loop: Header=BB314_6 Depth=1
	v_mul_f32_e32 v2, s10, v25
	v_lshl_add_u64 v[20:21], v[10:11], 2, v[20:21]
	s_and_not1_b32 vcc_lo, exec_lo, s14
	s_cbranch_vccnz .LBB314_29
; %bb.19:                               ;   in Loop: Header=BB314_6 Depth=1
	flat_load_b32 v22, v[20:21]
	s_wait_loadcnt_dscnt 0x0
	v_fma_f32 v22, s11, v22, v2
	flat_store_b32 v[20:21], v22
	s_cbranch_execnz .LBB314_21
.LBB314_20:                             ;   in Loop: Header=BB314_6 Depth=1
	flat_store_b32 v[20:21], v2
.LBB314_21:                             ;   in Loop: Header=BB314_6 Depth=1
	s_wait_xcnt 0x0
	s_or_b32 exec_lo, exec_lo, s22
	v_lshl_add_u64 v[18:19], v[8:9], 2, v[18:19]
	s_and_saveexec_b32 s22, s8
	s_cbranch_execz .LBB314_25
; %bb.22:                               ;   in Loop: Header=BB314_6 Depth=1
	v_mul_f32_e32 v2, s10, v16
	s_delay_alu instid0(VALU_DEP_2)
	v_lshl_add_u64 v[20:21], v[4:5], 2, v[18:19]
	s_and_not1_b32 vcc_lo, exec_lo, s14
	s_cbranch_vccnz .LBB314_30
; %bb.23:                               ;   in Loop: Header=BB314_6 Depth=1
	flat_load_b32 v16, v[20:21]
	s_wait_loadcnt_dscnt 0x0
	v_fma_f32 v16, s11, v16, v2
	flat_store_b32 v[20:21], v16
	s_cbranch_execnz .LBB314_25
.LBB314_24:                             ;   in Loop: Header=BB314_6 Depth=1
	flat_store_b32 v[20:21], v2
.LBB314_25:                             ;   in Loop: Header=BB314_6 Depth=1
	s_wait_xcnt 0x0
	s_or_b32 exec_lo, exec_lo, s22
	s_and_saveexec_b32 s22, s25
	s_cbranch_execz .LBB314_5
; %bb.26:                               ;   in Loop: Header=BB314_6 Depth=1
	v_mul_f32_e32 v2, s10, v17
	v_lshl_add_u64 v[16:17], v[10:11], 2, v[18:19]
	s_and_not1_b32 vcc_lo, exec_lo, s14
	s_cbranch_vccnz .LBB314_31
; %bb.27:                               ;   in Loop: Header=BB314_6 Depth=1
	flat_load_b32 v18, v[16:17]
	s_wait_loadcnt_dscnt 0x0
	v_fma_f32 v18, s11, v18, v2
	flat_store_b32 v[16:17], v18
	s_cbranch_execnz .LBB314_5
	s_branch .LBB314_32
.LBB314_28:                             ;   in Loop: Header=BB314_6 Depth=1
	s_branch .LBB314_16
.LBB314_29:                             ;   in Loop: Header=BB314_6 Depth=1
	s_branch .LBB314_20
.LBB314_30:                             ;   in Loop: Header=BB314_6 Depth=1
	s_branch .LBB314_24
.LBB314_31:                             ;   in Loop: Header=BB314_6 Depth=1
.LBB314_32:                             ;   in Loop: Header=BB314_6 Depth=1
	flat_store_b32 v[16:17], v2
	s_branch .LBB314_5
.LBB314_33:
	s_endpgm
	.section	.rodata,"a",@progbits
	.p2align	6, 0x0
	.amdhsa_kernel _ZL29rocblas_internal_gemmt_kernelIiLi16ELi32ELi8ELc67ELc67ELc85ELb0ELb0EffPKPKfPKPfEviT_T9_T10_S7_lS9_S7_lS8_T11_S7_li
		.amdhsa_group_segment_fixed_size 2048
		.amdhsa_private_segment_fixed_size 0
		.amdhsa_kernarg_size 100
		.amdhsa_user_sgpr_count 2
		.amdhsa_user_sgpr_dispatch_ptr 0
		.amdhsa_user_sgpr_queue_ptr 0
		.amdhsa_user_sgpr_kernarg_segment_ptr 1
		.amdhsa_user_sgpr_dispatch_id 0
		.amdhsa_user_sgpr_kernarg_preload_length 0
		.amdhsa_user_sgpr_kernarg_preload_offset 0
		.amdhsa_user_sgpr_private_segment_size 0
		.amdhsa_wavefront_size32 1
		.amdhsa_uses_dynamic_stack 0
		.amdhsa_enable_private_segment 0
		.amdhsa_system_sgpr_workgroup_id_x 1
		.amdhsa_system_sgpr_workgroup_id_y 1
		.amdhsa_system_sgpr_workgroup_id_z 1
		.amdhsa_system_sgpr_workgroup_info 0
		.amdhsa_system_vgpr_workitem_id 1
		.amdhsa_next_free_vgpr 56
		.amdhsa_next_free_sgpr 31
		.amdhsa_named_barrier_count 0
		.amdhsa_reserve_vcc 1
		.amdhsa_float_round_mode_32 0
		.amdhsa_float_round_mode_16_64 0
		.amdhsa_float_denorm_mode_32 3
		.amdhsa_float_denorm_mode_16_64 3
		.amdhsa_fp16_overflow 0
		.amdhsa_memory_ordered 1
		.amdhsa_forward_progress 1
		.amdhsa_inst_pref_size 13
		.amdhsa_round_robin_scheduling 0
		.amdhsa_exception_fp_ieee_invalid_op 0
		.amdhsa_exception_fp_denorm_src 0
		.amdhsa_exception_fp_ieee_div_zero 0
		.amdhsa_exception_fp_ieee_overflow 0
		.amdhsa_exception_fp_ieee_underflow 0
		.amdhsa_exception_fp_ieee_inexact 0
		.amdhsa_exception_int_div_zero 0
	.end_amdhsa_kernel
	.section	.text._ZL29rocblas_internal_gemmt_kernelIiLi16ELi32ELi8ELc67ELc67ELc85ELb0ELb0EffPKPKfPKPfEviT_T9_T10_S7_lS9_S7_lS8_T11_S7_li,"axG",@progbits,_ZL29rocblas_internal_gemmt_kernelIiLi16ELi32ELi8ELc67ELc67ELc85ELb0ELb0EffPKPKfPKPfEviT_T9_T10_S7_lS9_S7_lS8_T11_S7_li,comdat
.Lfunc_end314:
	.size	_ZL29rocblas_internal_gemmt_kernelIiLi16ELi32ELi8ELc67ELc67ELc85ELb0ELb0EffPKPKfPKPfEviT_T9_T10_S7_lS9_S7_lS8_T11_S7_li, .Lfunc_end314-_ZL29rocblas_internal_gemmt_kernelIiLi16ELi32ELi8ELc67ELc67ELc85ELb0ELb0EffPKPKfPKPfEviT_T9_T10_S7_lS9_S7_lS8_T11_S7_li
                                        ; -- End function
	.set _ZL29rocblas_internal_gemmt_kernelIiLi16ELi32ELi8ELc67ELc67ELc85ELb0ELb0EffPKPKfPKPfEviT_T9_T10_S7_lS9_S7_lS8_T11_S7_li.num_vgpr, 56
	.set _ZL29rocblas_internal_gemmt_kernelIiLi16ELi32ELi8ELc67ELc67ELc85ELb0ELb0EffPKPKfPKPfEviT_T9_T10_S7_lS9_S7_lS8_T11_S7_li.num_agpr, 0
	.set _ZL29rocblas_internal_gemmt_kernelIiLi16ELi32ELi8ELc67ELc67ELc85ELb0ELb0EffPKPKfPKPfEviT_T9_T10_S7_lS9_S7_lS8_T11_S7_li.numbered_sgpr, 31
	.set _ZL29rocblas_internal_gemmt_kernelIiLi16ELi32ELi8ELc67ELc67ELc85ELb0ELb0EffPKPKfPKPfEviT_T9_T10_S7_lS9_S7_lS8_T11_S7_li.num_named_barrier, 0
	.set _ZL29rocblas_internal_gemmt_kernelIiLi16ELi32ELi8ELc67ELc67ELc85ELb0ELb0EffPKPKfPKPfEviT_T9_T10_S7_lS9_S7_lS8_T11_S7_li.private_seg_size, 0
	.set _ZL29rocblas_internal_gemmt_kernelIiLi16ELi32ELi8ELc67ELc67ELc85ELb0ELb0EffPKPKfPKPfEviT_T9_T10_S7_lS9_S7_lS8_T11_S7_li.uses_vcc, 1
	.set _ZL29rocblas_internal_gemmt_kernelIiLi16ELi32ELi8ELc67ELc67ELc85ELb0ELb0EffPKPKfPKPfEviT_T9_T10_S7_lS9_S7_lS8_T11_S7_li.uses_flat_scratch, 0
	.set _ZL29rocblas_internal_gemmt_kernelIiLi16ELi32ELi8ELc67ELc67ELc85ELb0ELb0EffPKPKfPKPfEviT_T9_T10_S7_lS9_S7_lS8_T11_S7_li.has_dyn_sized_stack, 0
	.set _ZL29rocblas_internal_gemmt_kernelIiLi16ELi32ELi8ELc67ELc67ELc85ELb0ELb0EffPKPKfPKPfEviT_T9_T10_S7_lS9_S7_lS8_T11_S7_li.has_recursion, 0
	.set _ZL29rocblas_internal_gemmt_kernelIiLi16ELi32ELi8ELc67ELc67ELc85ELb0ELb0EffPKPKfPKPfEviT_T9_T10_S7_lS9_S7_lS8_T11_S7_li.has_indirect_call, 0
	.section	.AMDGPU.csdata,"",@progbits
; Kernel info:
; codeLenInByte = 1664
; TotalNumSgprs: 33
; NumVgprs: 56
; ScratchSize: 0
; MemoryBound: 0
; FloatMode: 240
; IeeeMode: 1
; LDSByteSize: 2048 bytes/workgroup (compile time only)
; SGPRBlocks: 0
; VGPRBlocks: 3
; NumSGPRsForWavesPerEU: 33
; NumVGPRsForWavesPerEU: 56
; NamedBarCnt: 0
; Occupancy: 16
; WaveLimiterHint : 1
; COMPUTE_PGM_RSRC2:SCRATCH_EN: 0
; COMPUTE_PGM_RSRC2:USER_SGPR: 2
; COMPUTE_PGM_RSRC2:TRAP_HANDLER: 0
; COMPUTE_PGM_RSRC2:TGID_X_EN: 1
; COMPUTE_PGM_RSRC2:TGID_Y_EN: 1
; COMPUTE_PGM_RSRC2:TGID_Z_EN: 1
; COMPUTE_PGM_RSRC2:TIDIG_COMP_CNT: 1
	.section	.text._ZL29rocblas_internal_gemmt_kernelIiLi16ELi32ELi8ELc78ELc78ELc76ELb0ELb0EffPKPKfPKPfEviT_T9_T10_S7_lS9_S7_lS8_T11_S7_li,"axG",@progbits,_ZL29rocblas_internal_gemmt_kernelIiLi16ELi32ELi8ELc78ELc78ELc76ELb0ELb0EffPKPKfPKPfEviT_T9_T10_S7_lS9_S7_lS8_T11_S7_li,comdat
	.globl	_ZL29rocblas_internal_gemmt_kernelIiLi16ELi32ELi8ELc78ELc78ELc76ELb0ELb0EffPKPKfPKPfEviT_T9_T10_S7_lS9_S7_lS8_T11_S7_li ; -- Begin function _ZL29rocblas_internal_gemmt_kernelIiLi16ELi32ELi8ELc78ELc78ELc76ELb0ELb0EffPKPKfPKPfEviT_T9_T10_S7_lS9_S7_lS8_T11_S7_li
	.p2align	8
	.type	_ZL29rocblas_internal_gemmt_kernelIiLi16ELi32ELi8ELc78ELc78ELc76ELb0ELb0EffPKPKfPKPfEviT_T9_T10_S7_lS9_S7_lS8_T11_S7_li,@function
_ZL29rocblas_internal_gemmt_kernelIiLi16ELi32ELi8ELc78ELc78ELc76ELb0ELb0EffPKPKfPKPfEviT_T9_T10_S7_lS9_S7_lS8_T11_S7_li: ; @_ZL29rocblas_internal_gemmt_kernelIiLi16ELi32ELi8ELc78ELc78ELc76ELb0ELb0EffPKPKfPKPfEviT_T9_T10_S7_lS9_S7_lS8_T11_S7_li
; %bb.0:
	s_clause 0x1
	s_load_b32 s7, s[0:1], 0x40
	s_load_b96 s[4:6], s[0:1], 0x0
	s_wait_kmcnt 0x0
	s_cmp_neq_f32 s7, 1.0
	s_cselect_b32 s2, -1, 0
	s_delay_alu instid0(SALU_CYCLE_1)
	s_and_b32 vcc_lo, exec_lo, s2
	s_cbranch_vccnz .LBB315_2
; %bb.1:
	s_cmp_lg_u32 s5, 0
	s_cselect_b32 s2, -1, 0
	s_cmp_neq_f32 s6, 0
	s_cselect_b32 s3, -1, 0
	s_delay_alu instid0(SALU_CYCLE_1)
	s_and_b32 s2, s2, s3
.LBB315_2:
	s_delay_alu instid0(SALU_CYCLE_1)
	s_and_not1_b32 vcc_lo, exec_lo, s2
	s_cbranch_vccnz .LBB315_33
; %bb.3:
	s_load_b32 s19, s[0:1], 0x60
	s_bfe_u32 s2, ttmp6, 0x40014
	s_lshr_b32 s3, ttmp7, 16
	s_add_co_i32 s2, s2, 1
	s_bfe_u32 s8, ttmp6, 0x40008
	s_mul_i32 s2, s3, s2
	s_getreg_b32 s26, hwreg(HW_REG_IB_STS2, 6, 4)
	s_add_co_i32 s8, s8, s2
	s_cmp_eq_u32 s26, 0
	s_mov_b32 s21, 0
	s_cselect_b32 s20, s3, s8
	s_wait_kmcnt 0x0
	s_cmp_ge_u32 s20, s19
	s_cbranch_scc1 .LBB315_33
; %bb.4:
	s_clause 0x2
	s_load_b96 s[12:14], s[0:1], 0x10
	s_load_b32 s2, s[0:1], 0x30
	s_load_b96 s[16:18], s[0:1], 0x48
	v_and_b32_e32 v3, 0x3ff, v0
	v_bfe_u32 v9, v0, 10, 10
	s_clause 0x2
	s_load_b128 s[8:11], s[0:1], 0x20
	s_load_b64 s[22:23], s[0:1], 0x38
	s_load_b64 s[24:25], s[0:1], 0x58
	s_wait_xcnt 0x0
	s_bfe_u32 s1, ttmp6, 0x4000c
	s_bfe_u32 s29, ttmp6, 0x40010
	s_and_b32 s28, ttmp7, 0xffff
	s_add_co_i32 s1, s1, 1
	s_add_co_i32 s29, s29, 1
	v_lshl_add_u32 v1, v9, 4, v3
	s_and_b32 s0, ttmp6, 15
	s_mul_i32 s1, ttmp9, s1
	s_mul_i32 s29, s28, s29
	s_bfe_u32 s30, ttmp6, 0x40004
	s_add_co_i32 s0, s0, s1
	s_add_co_i32 s30, s30, s29
	v_dual_lshrrev_b32 v2, 3, v1 :: v_dual_bitop2_b32 v6, 31, v1 bitop3:0x40
	s_wait_kmcnt 0x0
	s_ashr_i32 s15, s14, 31
	s_ashr_i32 s3, s2, 31
	;; [unrolled: 1-line block ×3, first 2 shown]
	s_cmp_eq_u32 s26, 0
	v_dual_lshrrev_b32 v0, 5, v1 :: v_dual_bitop2_b32 v24, 7, v0 bitop3:0x40
	s_cselect_b32 s1, s28, s30
	s_cselect_b32 s0, ttmp9, s0
	s_lshl_b32 s1, s1, 5
	s_lshl_b32 s28, s0, 5
	v_dual_mov_b32 v1, 0 :: v_dual_add_nc_u32 v4, s1, v2
	v_dual_add_nc_u32 v14, s1, v9 :: v_dual_bitop2_b32 v10, s28, v6 bitop3:0x54
	s_mov_b32 s26, s18
	s_delay_alu instid0(VALU_DEP_2) | instskip(NEXT) | instid1(VALU_DEP_3)
	v_ashrrev_i32_e32 v5, 31, v4
	v_mul_u64_e32 v[12:13], s[14:15], v[0:1]
	v_cmp_gt_i32_e64 s1, s4, v4
	s_cmp_neq_f32 s6, 0
	v_lshlrev_b32_e32 v20, 2, v24
	v_mul_u64_e32 v[16:17], s[2:3], v[4:5]
	v_lshlrev_b32_e32 v5, 2, v6
	v_dual_add_nc_u32 v18, 16, v14 :: v_dual_ashrrev_i32 v15, 31, v14
	s_delay_alu instid0(VALU_DEP_4) | instskip(SKIP_1) | instid1(VALU_DEP_4)
	v_lshl_or_b32 v8, v2, 5, v20
	v_add_nc_u32_e32 v2, s28, v3
	v_lshl_or_b32 v25, v0, 7, v5
	s_delay_alu instid0(VALU_DEP_4) | instskip(SKIP_3) | instid1(VALU_DEP_2)
	v_dual_ashrrev_i32 v19, 31, v18 :: v_dual_lshlrev_b32 v27, 2, v3
	v_mul_u64_e32 v[4:5], s[26:27], v[14:15]
	s_cselect_b32 s29, -1, 0
	s_cmp_gt_i32 s5, 0
	v_mul_u64_e32 v[6:7], s[26:27], v[18:19]
	s_cselect_b32 s30, -1, 0
	s_cmp_neq_f32 s7, 0
	v_dual_mov_b32 v21, v1 :: v_dual_add_nc_u32 v26, 0x400, v8
	v_dual_add_nc_u32 v8, 16, v2 :: v_dual_ashrrev_i32 v3, 31, v2
	v_cmp_le_i32_e32 vcc_lo, v14, v2
	v_cmp_gt_i32_e64 s2, s4, v2
	s_cselect_b32 s18, -1, 0
	s_lshl_b64 s[8:9], s[8:9], 2
	v_cmp_le_i32_e64 s3, v14, v8
	v_ashrrev_i32_e32 v11, 31, v10
	s_and_b32 s26, vcc_lo, s2
	v_cmp_le_i32_e32 vcc_lo, v18, v2
	v_cmp_gt_i32_e64 s0, s4, v10
	v_lshl_add_u64 v[12:13], v[12:13], 2, s[8:9]
	s_lshl_b64 s[8:9], s[22:23], 2
	v_cmp_gt_i32_e64 s4, s4, v8
	v_lshl_add_u32 v28, v9, 5, 0x400
	v_lshl_add_u64 v[14:15], v[16:17], 2, s[8:9]
	v_ashrrev_i32_e32 v9, 31, v8
	s_and_b32 s22, vcc_lo, s2
	v_cmp_le_i32_e32 vcc_lo, v18, v8
	v_lshl_add_u64 v[10:11], v[10:11], 2, v[12:13]
	v_add_nc_u64_e32 v[12:13], v[14:15], v[20:21]
	s_and_b32 s27, s3, s4
	s_and_b32 s23, s29, s30
	s_and_b32 s4, vcc_lo, s4
	s_lshl_b64 s[2:3], s[14:15], 5
	s_lshl_b64 s[8:9], s[24:25], 2
	s_branch .LBB315_6
.LBB315_5:                              ;   in Loop: Header=BB315_6 Depth=1
	s_wait_xcnt 0x0
	s_or_b32 exec_lo, exec_lo, s14
	s_add_co_i32 s20, s20, 0x10000
	s_delay_alu instid0(SALU_CYCLE_1)
	s_cmp_lt_u32 s20, s19
	s_cbranch_scc0 .LBB315_33
.LBB315_6:                              ; =>This Loop Header: Depth=1
                                        ;     Child Loop BB315_9 Depth 2
	v_dual_mov_b32 v14, s20 :: v_dual_mov_b32 v23, 0
	v_dual_mov_b32 v22, 0 :: v_dual_mov_b32 v15, 0
	s_and_not1_b32 vcc_lo, exec_lo, s23
	global_load_b64 v[16:17], v14, s[16:17] scale_offset
	s_wait_xcnt 0x0
	v_mov_b32_e32 v14, 0
	s_cbranch_vccnz .LBB315_13
; %bb.7:                                ;   in Loop: Header=BB315_6 Depth=1
	s_lshl_b64 s[14:15], s[20:21], 3
	v_mov_b32_e32 v14, 0
	s_add_nc_u64 s[24:25], s[12:13], s[14:15]
	s_add_nc_u64 s[14:15], s[10:11], s[14:15]
	s_clause 0x1
	global_load_b64 v[18:19], v1, s[24:25]
	global_load_b64 v[20:21], v1, s[14:15]
	s_wait_xcnt 0x0
	s_mov_b32 s14, 0
	v_dual_mov_b32 v15, v14 :: v_dual_mov_b32 v22, v14
	v_mov_b32_e32 v23, v14
	s_wait_loadcnt 0x1
	v_add_nc_u64_e32 v[18:19], v[18:19], v[10:11]
	s_wait_loadcnt 0x0
	v_add_nc_u64_e32 v[20:21], v[20:21], v[12:13]
	s_branch .LBB315_9
.LBB315_8:                              ;   in Loop: Header=BB315_9 Depth=2
	s_wait_xcnt 0x0
	s_or_b32 exec_lo, exec_lo, s15
	s_wait_loadcnt_dscnt 0x0
	ds_store_b32 v26, v30
	s_wait_dscnt 0x0
	s_barrier_signal -1
	s_barrier_wait -1
	ds_load_b128 v[30:33], v28
	ds_load_2addr_b32 v[46:47], v27 offset1:16
	ds_load_b128 v[34:37], v28 offset:512
	ds_load_2addr_b32 v[48:49], v27 offset0:32 offset1:48
	ds_load_2addr_b32 v[50:51], v27 offset0:64 offset1:80
	;; [unrolled: 1-line block ×3, first 2 shown]
	ds_load_b128 v[38:41], v28 offset:16
	ds_load_2addr_b32 v[54:55], v27 offset0:128 offset1:144
	ds_load_b128 v[42:45], v28 offset:528
	v_add_nc_u64_e32 v[18:19], s[2:3], v[18:19]
	v_add_nc_u64_e32 v[20:21], 32, v[20:21]
	s_add_co_i32 s14, s14, 8
	s_delay_alu instid0(SALU_CYCLE_1)
	s_cmp_lt_i32 s14, s5
	s_wait_dscnt 0x7
	v_pk_fma_f32 v[22:23], v[46:47], v[30:31], v[22:23] op_sel_hi:[1,0,1]
	s_wait_dscnt 0x6
	v_pk_fma_f32 v[14:15], v[46:47], v[34:35], v[14:15] op_sel_hi:[1,0,1]
	ds_load_2addr_b32 v[46:47], v27 offset0:160 offset1:176
	s_wait_dscnt 0x6
	v_pk_fma_f32 v[22:23], v[48:49], v[30:31], v[22:23] op_sel:[0,1,0]
	v_pk_fma_f32 v[14:15], v[48:49], v[34:35], v[14:15] op_sel:[0,1,0]
	ds_load_2addr_b32 v[30:31], v27 offset0:192 offset1:208
	v_dual_mov_b32 v34, v33 :: v_dual_mov_b32 v48, v37
	s_wait_dscnt 0x6
	v_pk_fma_f32 v[22:23], v[50:51], v[32:33], v[22:23] op_sel_hi:[1,0,1]
	v_pk_fma_f32 v[14:15], v[50:51], v[36:37], v[14:15] op_sel_hi:[1,0,1]
	ds_load_2addr_b32 v[32:33], v27 offset0:224 offset1:240
	s_wait_dscnt 0x3
	v_mov_b32_e32 v36, v45
	s_wait_dscnt 0x0
	v_pk_fma_f32 v[22:23], v[52:53], v[34:35], v[22:23] op_sel_hi:[1,0,1]
	v_pk_fma_f32 v[14:15], v[52:53], v[48:49], v[14:15] op_sel_hi:[1,0,1]
	v_mov_b32_e32 v34, v41
	s_barrier_signal -1
	s_barrier_wait -1
	v_pk_fma_f32 v[22:23], v[54:55], v[38:39], v[22:23] op_sel_hi:[1,0,1]
	v_pk_fma_f32 v[14:15], v[54:55], v[42:43], v[14:15] op_sel_hi:[1,0,1]
	s_delay_alu instid0(VALU_DEP_2) | instskip(NEXT) | instid1(VALU_DEP_2)
	v_pk_fma_f32 v[22:23], v[46:47], v[38:39], v[22:23] op_sel:[0,1,0]
	v_pk_fma_f32 v[14:15], v[46:47], v[42:43], v[14:15] op_sel:[0,1,0]
	s_delay_alu instid0(VALU_DEP_2) | instskip(NEXT) | instid1(VALU_DEP_2)
	v_pk_fma_f32 v[22:23], v[30:31], v[40:41], v[22:23] op_sel_hi:[1,0,1]
	v_pk_fma_f32 v[14:15], v[30:31], v[44:45], v[14:15] op_sel_hi:[1,0,1]
	s_delay_alu instid0(VALU_DEP_2) | instskip(NEXT) | instid1(VALU_DEP_2)
	v_pk_fma_f32 v[22:23], v[32:33], v[34:35], v[22:23] op_sel_hi:[1,0,1]
	v_pk_fma_f32 v[14:15], v[32:33], v[36:37], v[14:15] op_sel_hi:[1,0,1]
	s_cbranch_scc0 .LBB315_13
.LBB315_9:                              ;   Parent Loop BB315_6 Depth=1
                                        ; =>  This Inner Loop Header: Depth=2
	v_add_nc_u32_e32 v29, s14, v0
	s_delay_alu instid0(VALU_DEP_1) | instskip(SKIP_2) | instid1(SALU_CYCLE_1)
	v_cmp_gt_i32_e32 vcc_lo, s5, v29
	v_mov_b32_e32 v29, 0
	s_and_b32 s24, s0, vcc_lo
	s_and_saveexec_b32 s15, s24
	s_cbranch_execz .LBB315_11
; %bb.10:                               ;   in Loop: Header=BB315_9 Depth=2
	flat_load_b32 v29, v[18:19]
.LBB315_11:                             ;   in Loop: Header=BB315_9 Depth=2
	s_wait_xcnt 0x0
	s_or_b32 exec_lo, exec_lo, s15
	v_add_nc_u32_e32 v30, s14, v24
	s_wait_loadcnt_dscnt 0x0
	ds_store_b32 v25, v29
	v_cmp_gt_i32_e32 vcc_lo, s5, v30
	v_mov_b32_e32 v30, 0
	s_and_b32 s24, vcc_lo, s1
	s_delay_alu instid0(SALU_CYCLE_1)
	s_and_saveexec_b32 s15, s24
	s_cbranch_execz .LBB315_8
; %bb.12:                               ;   in Loop: Header=BB315_9 Depth=2
	flat_load_b32 v30, v[20:21]
	s_branch .LBB315_8
.LBB315_13:                             ;   in Loop: Header=BB315_6 Depth=1
	s_wait_loadcnt 0x0
	v_add_nc_u64_e32 v[16:17], s[8:9], v[16:17]
	s_delay_alu instid0(VALU_DEP_1)
	v_lshl_add_u64 v[18:19], v[4:5], 2, v[16:17]
	s_and_saveexec_b32 s14, s26
	s_cbranch_execz .LBB315_17
; %bb.14:                               ;   in Loop: Header=BB315_6 Depth=1
	v_mul_f32_e32 v22, s6, v22
	s_delay_alu instid0(VALU_DEP_2)
	v_lshl_add_u64 v[20:21], v[2:3], 2, v[18:19]
	s_and_b32 vcc_lo, exec_lo, s18
	s_cbranch_vccz .LBB315_28
; %bb.15:                               ;   in Loop: Header=BB315_6 Depth=1
	flat_load_b32 v29, v[20:21]
	s_wait_loadcnt_dscnt 0x0
	v_fma_f32 v29, s7, v29, v22
	flat_store_b32 v[20:21], v29
	s_cbranch_execnz .LBB315_17
.LBB315_16:                             ;   in Loop: Header=BB315_6 Depth=1
	flat_store_b32 v[20:21], v22
.LBB315_17:                             ;   in Loop: Header=BB315_6 Depth=1
	s_wait_xcnt 0x0
	s_or_b32 exec_lo, exec_lo, s14
	s_and_saveexec_b32 s14, s27
	s_cbranch_execz .LBB315_21
; %bb.18:                               ;   in Loop: Header=BB315_6 Depth=1
	v_mul_f32_e32 v20, s6, v23
	v_lshl_add_u64 v[18:19], v[8:9], 2, v[18:19]
	s_and_not1_b32 vcc_lo, exec_lo, s18
	s_cbranch_vccnz .LBB315_29
; %bb.19:                               ;   in Loop: Header=BB315_6 Depth=1
	flat_load_b32 v21, v[18:19]
	s_wait_loadcnt_dscnt 0x0
	v_fma_f32 v21, s7, v21, v20
	flat_store_b32 v[18:19], v21
	s_cbranch_execnz .LBB315_21
.LBB315_20:                             ;   in Loop: Header=BB315_6 Depth=1
	flat_store_b32 v[18:19], v20
.LBB315_21:                             ;   in Loop: Header=BB315_6 Depth=1
	s_wait_xcnt 0x0
	s_or_b32 exec_lo, exec_lo, s14
	v_lshl_add_u64 v[16:17], v[6:7], 2, v[16:17]
	s_and_saveexec_b32 s14, s22
	s_cbranch_execz .LBB315_25
; %bb.22:                               ;   in Loop: Header=BB315_6 Depth=1
	v_mul_f32_e32 v14, s6, v14
	s_delay_alu instid0(VALU_DEP_2)
	v_lshl_add_u64 v[18:19], v[2:3], 2, v[16:17]
	s_and_not1_b32 vcc_lo, exec_lo, s18
	s_cbranch_vccnz .LBB315_30
; %bb.23:                               ;   in Loop: Header=BB315_6 Depth=1
	flat_load_b32 v20, v[18:19]
	s_wait_loadcnt_dscnt 0x0
	v_fma_f32 v20, s7, v20, v14
	flat_store_b32 v[18:19], v20
	s_cbranch_execnz .LBB315_25
.LBB315_24:                             ;   in Loop: Header=BB315_6 Depth=1
	flat_store_b32 v[18:19], v14
.LBB315_25:                             ;   in Loop: Header=BB315_6 Depth=1
	s_wait_xcnt 0x0
	s_or_b32 exec_lo, exec_lo, s14
	s_and_saveexec_b32 s14, s4
	s_cbranch_execz .LBB315_5
; %bb.26:                               ;   in Loop: Header=BB315_6 Depth=1
	v_mul_f32_e32 v18, s6, v15
	v_lshl_add_u64 v[14:15], v[8:9], 2, v[16:17]
	s_and_not1_b32 vcc_lo, exec_lo, s18
	s_cbranch_vccnz .LBB315_31
; %bb.27:                               ;   in Loop: Header=BB315_6 Depth=1
	flat_load_b32 v16, v[14:15]
	s_wait_loadcnt_dscnt 0x0
	v_fma_f32 v16, s7, v16, v18
	flat_store_b32 v[14:15], v16
	s_cbranch_execnz .LBB315_5
	s_branch .LBB315_32
.LBB315_28:                             ;   in Loop: Header=BB315_6 Depth=1
	s_branch .LBB315_16
.LBB315_29:                             ;   in Loop: Header=BB315_6 Depth=1
	s_branch .LBB315_20
.LBB315_30:                             ;   in Loop: Header=BB315_6 Depth=1
	s_branch .LBB315_24
.LBB315_31:                             ;   in Loop: Header=BB315_6 Depth=1
.LBB315_32:                             ;   in Loop: Header=BB315_6 Depth=1
	flat_store_b32 v[14:15], v18
	s_branch .LBB315_5
.LBB315_33:
	s_endpgm
	.section	.rodata,"a",@progbits
	.p2align	6, 0x0
	.amdhsa_kernel _ZL29rocblas_internal_gemmt_kernelIiLi16ELi32ELi8ELc78ELc78ELc76ELb0ELb0EffPKPKfPKPfEviT_T9_T10_S7_lS9_S7_lS8_T11_S7_li
		.amdhsa_group_segment_fixed_size 2048
		.amdhsa_private_segment_fixed_size 0
		.amdhsa_kernarg_size 100
		.amdhsa_user_sgpr_count 2
		.amdhsa_user_sgpr_dispatch_ptr 0
		.amdhsa_user_sgpr_queue_ptr 0
		.amdhsa_user_sgpr_kernarg_segment_ptr 1
		.amdhsa_user_sgpr_dispatch_id 0
		.amdhsa_user_sgpr_kernarg_preload_length 0
		.amdhsa_user_sgpr_kernarg_preload_offset 0
		.amdhsa_user_sgpr_private_segment_size 0
		.amdhsa_wavefront_size32 1
		.amdhsa_uses_dynamic_stack 0
		.amdhsa_enable_private_segment 0
		.amdhsa_system_sgpr_workgroup_id_x 1
		.amdhsa_system_sgpr_workgroup_id_y 1
		.amdhsa_system_sgpr_workgroup_id_z 1
		.amdhsa_system_sgpr_workgroup_info 0
		.amdhsa_system_vgpr_workitem_id 1
		.amdhsa_next_free_vgpr 56
		.amdhsa_next_free_sgpr 31
		.amdhsa_named_barrier_count 0
		.amdhsa_reserve_vcc 1
		.amdhsa_float_round_mode_32 0
		.amdhsa_float_round_mode_16_64 0
		.amdhsa_float_denorm_mode_32 3
		.amdhsa_float_denorm_mode_16_64 3
		.amdhsa_fp16_overflow 0
		.amdhsa_memory_ordered 1
		.amdhsa_forward_progress 1
		.amdhsa_inst_pref_size 13
		.amdhsa_round_robin_scheduling 0
		.amdhsa_exception_fp_ieee_invalid_op 0
		.amdhsa_exception_fp_denorm_src 0
		.amdhsa_exception_fp_ieee_div_zero 0
		.amdhsa_exception_fp_ieee_overflow 0
		.amdhsa_exception_fp_ieee_underflow 0
		.amdhsa_exception_fp_ieee_inexact 0
		.amdhsa_exception_int_div_zero 0
	.end_amdhsa_kernel
	.section	.text._ZL29rocblas_internal_gemmt_kernelIiLi16ELi32ELi8ELc78ELc78ELc76ELb0ELb0EffPKPKfPKPfEviT_T9_T10_S7_lS9_S7_lS8_T11_S7_li,"axG",@progbits,_ZL29rocblas_internal_gemmt_kernelIiLi16ELi32ELi8ELc78ELc78ELc76ELb0ELb0EffPKPKfPKPfEviT_T9_T10_S7_lS9_S7_lS8_T11_S7_li,comdat
.Lfunc_end315:
	.size	_ZL29rocblas_internal_gemmt_kernelIiLi16ELi32ELi8ELc78ELc78ELc76ELb0ELb0EffPKPKfPKPfEviT_T9_T10_S7_lS9_S7_lS8_T11_S7_li, .Lfunc_end315-_ZL29rocblas_internal_gemmt_kernelIiLi16ELi32ELi8ELc78ELc78ELc76ELb0ELb0EffPKPKfPKPfEviT_T9_T10_S7_lS9_S7_lS8_T11_S7_li
                                        ; -- End function
	.set _ZL29rocblas_internal_gemmt_kernelIiLi16ELi32ELi8ELc78ELc78ELc76ELb0ELb0EffPKPKfPKPfEviT_T9_T10_S7_lS9_S7_lS8_T11_S7_li.num_vgpr, 56
	.set _ZL29rocblas_internal_gemmt_kernelIiLi16ELi32ELi8ELc78ELc78ELc76ELb0ELb0EffPKPKfPKPfEviT_T9_T10_S7_lS9_S7_lS8_T11_S7_li.num_agpr, 0
	.set _ZL29rocblas_internal_gemmt_kernelIiLi16ELi32ELi8ELc78ELc78ELc76ELb0ELb0EffPKPKfPKPfEviT_T9_T10_S7_lS9_S7_lS8_T11_S7_li.numbered_sgpr, 31
	.set _ZL29rocblas_internal_gemmt_kernelIiLi16ELi32ELi8ELc78ELc78ELc76ELb0ELb0EffPKPKfPKPfEviT_T9_T10_S7_lS9_S7_lS8_T11_S7_li.num_named_barrier, 0
	.set _ZL29rocblas_internal_gemmt_kernelIiLi16ELi32ELi8ELc78ELc78ELc76ELb0ELb0EffPKPKfPKPfEviT_T9_T10_S7_lS9_S7_lS8_T11_S7_li.private_seg_size, 0
	.set _ZL29rocblas_internal_gemmt_kernelIiLi16ELi32ELi8ELc78ELc78ELc76ELb0ELb0EffPKPKfPKPfEviT_T9_T10_S7_lS9_S7_lS8_T11_S7_li.uses_vcc, 1
	.set _ZL29rocblas_internal_gemmt_kernelIiLi16ELi32ELi8ELc78ELc78ELc76ELb0ELb0EffPKPKfPKPfEviT_T9_T10_S7_lS9_S7_lS8_T11_S7_li.uses_flat_scratch, 0
	.set _ZL29rocblas_internal_gemmt_kernelIiLi16ELi32ELi8ELc78ELc78ELc76ELb0ELb0EffPKPKfPKPfEviT_T9_T10_S7_lS9_S7_lS8_T11_S7_li.has_dyn_sized_stack, 0
	.set _ZL29rocblas_internal_gemmt_kernelIiLi16ELi32ELi8ELc78ELc78ELc76ELb0ELb0EffPKPKfPKPfEviT_T9_T10_S7_lS9_S7_lS8_T11_S7_li.has_recursion, 0
	.set _ZL29rocblas_internal_gemmt_kernelIiLi16ELi32ELi8ELc78ELc78ELc76ELb0ELb0EffPKPKfPKPfEviT_T9_T10_S7_lS9_S7_lS8_T11_S7_li.has_indirect_call, 0
	.section	.AMDGPU.csdata,"",@progbits
; Kernel info:
; codeLenInByte = 1656
; TotalNumSgprs: 33
; NumVgprs: 56
; ScratchSize: 0
; MemoryBound: 0
; FloatMode: 240
; IeeeMode: 1
; LDSByteSize: 2048 bytes/workgroup (compile time only)
; SGPRBlocks: 0
; VGPRBlocks: 3
; NumSGPRsForWavesPerEU: 33
; NumVGPRsForWavesPerEU: 56
; NamedBarCnt: 0
; Occupancy: 16
; WaveLimiterHint : 1
; COMPUTE_PGM_RSRC2:SCRATCH_EN: 0
; COMPUTE_PGM_RSRC2:USER_SGPR: 2
; COMPUTE_PGM_RSRC2:TRAP_HANDLER: 0
; COMPUTE_PGM_RSRC2:TGID_X_EN: 1
; COMPUTE_PGM_RSRC2:TGID_Y_EN: 1
; COMPUTE_PGM_RSRC2:TGID_Z_EN: 1
; COMPUTE_PGM_RSRC2:TIDIG_COMP_CNT: 1
	.section	.text._ZL29rocblas_internal_gemmt_kernelIiLi16ELi32ELi8ELc78ELc84ELc76ELb0ELb0EffPKPKfPKPfEviT_T9_T10_S7_lS9_S7_lS8_T11_S7_li,"axG",@progbits,_ZL29rocblas_internal_gemmt_kernelIiLi16ELi32ELi8ELc78ELc84ELc76ELb0ELb0EffPKPKfPKPfEviT_T9_T10_S7_lS9_S7_lS8_T11_S7_li,comdat
	.globl	_ZL29rocblas_internal_gemmt_kernelIiLi16ELi32ELi8ELc78ELc84ELc76ELb0ELb0EffPKPKfPKPfEviT_T9_T10_S7_lS9_S7_lS8_T11_S7_li ; -- Begin function _ZL29rocblas_internal_gemmt_kernelIiLi16ELi32ELi8ELc78ELc84ELc76ELb0ELb0EffPKPKfPKPfEviT_T9_T10_S7_lS9_S7_lS8_T11_S7_li
	.p2align	8
	.type	_ZL29rocblas_internal_gemmt_kernelIiLi16ELi32ELi8ELc78ELc84ELc76ELb0ELb0EffPKPKfPKPfEviT_T9_T10_S7_lS9_S7_lS8_T11_S7_li,@function
_ZL29rocblas_internal_gemmt_kernelIiLi16ELi32ELi8ELc78ELc84ELc76ELb0ELb0EffPKPKfPKPfEviT_T9_T10_S7_lS9_S7_lS8_T11_S7_li: ; @_ZL29rocblas_internal_gemmt_kernelIiLi16ELi32ELi8ELc78ELc84ELc76ELb0ELb0EffPKPKfPKPfEviT_T9_T10_S7_lS9_S7_lS8_T11_S7_li
; %bb.0:
	s_clause 0x1
	s_load_b32 s7, s[0:1], 0x40
	s_load_b96 s[4:6], s[0:1], 0x0
	s_wait_kmcnt 0x0
	s_cmp_neq_f32 s7, 1.0
	s_cselect_b32 s2, -1, 0
	s_delay_alu instid0(SALU_CYCLE_1)
	s_and_b32 vcc_lo, exec_lo, s2
	s_cbranch_vccnz .LBB316_2
; %bb.1:
	s_cmp_lg_u32 s5, 0
	s_cselect_b32 s2, -1, 0
	s_cmp_neq_f32 s6, 0
	s_cselect_b32 s3, -1, 0
	s_delay_alu instid0(SALU_CYCLE_1)
	s_and_b32 s2, s2, s3
.LBB316_2:
	s_delay_alu instid0(SALU_CYCLE_1)
	s_and_not1_b32 vcc_lo, exec_lo, s2
	s_cbranch_vccnz .LBB316_33
; %bb.3:
	s_load_b32 s19, s[0:1], 0x60
	s_bfe_u32 s2, ttmp6, 0x40014
	s_lshr_b32 s3, ttmp7, 16
	s_add_co_i32 s2, s2, 1
	s_bfe_u32 s9, ttmp6, 0x40008
	s_mul_i32 s8, s3, s2
	s_getreg_b32 s2, hwreg(HW_REG_IB_STS2, 6, 4)
	s_add_co_i32 s9, s9, s8
	s_cmp_eq_u32 s2, 0
	s_mov_b32 s21, 0
	s_cselect_b32 s20, s3, s9
	s_wait_kmcnt 0x0
	s_cmp_ge_u32 s20, s19
	s_cbranch_scc1 .LBB316_33
; %bb.4:
	s_clause 0x5
	s_load_b96 s[12:14], s[0:1], 0x10
	s_load_b32 s22, s[0:1], 0x30
	s_load_b96 s[16:18], s[0:1], 0x48
	s_load_b128 s[8:11], s[0:1], 0x20
	s_load_b64 s[24:25], s[0:1], 0x38
	s_load_b64 s[26:27], s[0:1], 0x58
	s_wait_xcnt 0x0
	s_bfe_u32 s1, ttmp6, 0x4000c
	s_bfe_u32 s3, ttmp6, 0x40010
	v_and_b32_e32 v5, 0x3ff, v0
	v_bfe_u32 v11, v0, 10, 10
	s_add_co_i32 s1, s1, 1
	s_add_co_i32 s3, s3, 1
	s_and_b32 s0, ttmp6, 15
	s_mul_i32 s1, ttmp9, s1
	s_bfe_u32 s30, ttmp6, 0x40004
	v_lshl_add_u32 v1, v11, 4, v5
	s_add_co_i32 s0, s0, s1
	v_and_b32_e32 v0, 7, v0
	v_lshl_add_u32 v28, v11, 5, 0x400
	v_lshlrev_b32_e32 v27, 2, v5
	v_dual_lshrrev_b32 v4, 3, v1 :: v_dual_bitop2_b32 v6, 31, v1 bitop3:0x40
	s_wait_kmcnt 0x0
	s_ashr_i32 s15, s14, 31
	s_ashr_i32 s23, s22, 31
	;; [unrolled: 1-line block ×3, first 2 shown]
	s_mov_b32 s28, s18
	s_and_b32 s18, ttmp7, 0xffff
	v_lshrrev_b32_e32 v2, 5, v1
	s_mul_i32 s3, s18, s3
	s_delay_alu instid0(SALU_CYCLE_1) | instskip(SKIP_4) | instid1(SALU_CYCLE_1)
	s_add_co_i32 s30, s30, s3
	s_cmp_eq_u32 s2, 0
	s_cselect_b32 s0, ttmp9, s0
	s_cselect_b32 s1, s18, s30
	s_lshl_b32 s2, s0, 5
	v_dual_mov_b32 v3, 0 :: v_dual_bitop2_b32 v12, s2, v6 bitop3:0x54
	s_lshl_b32 s0, s1, 5
	s_delay_alu instid0(SALU_CYCLE_1) | instskip(NEXT) | instid1(VALU_DEP_2)
	v_dual_lshlrev_b32 v6, 2, v6 :: v_dual_add_nc_u32 v16, s0, v11
	v_dual_mov_b32 v1, v3 :: v_dual_add_nc_u32 v14, s0, v4
	v_mul_u64_e32 v[18:19], s[14:15], v[2:3]
	s_cmp_neq_f32 s6, 0
	s_delay_alu instid0(VALU_DEP_3) | instskip(SKIP_3) | instid1(VALU_DEP_4)
	v_dual_add_nc_u32 v22, 16, v16 :: v_dual_ashrrev_i32 v17, 31, v16
	v_lshlrev_b32_e32 v7, 2, v0
	v_mul_u64_e32 v[20:21], s[22:23], v[0:1]
	v_lshl_or_b32 v1, v2, 7, v6
	v_ashrrev_i32_e32 v23, 31, v22
	s_cselect_b32 s30, -1, 0
	v_lshl_or_b32 v6, v4, 5, v7
	v_dual_add_nc_u32 v4, s2, v5 :: v_dual_ashrrev_i32 v15, 31, v14
	s_delay_alu instid0(VALU_DEP_3) | instskip(SKIP_1) | instid1(VALU_DEP_3)
	v_mul_u64_e32 v[8:9], s[28:29], v[22:23]
	s_cmp_gt_i32 s5, 0
	v_add_nc_u32_e32 v26, 0x400, v6
	v_mul_u64_e32 v[6:7], s[28:29], v[16:17]
	s_cselect_b32 s31, -1, 0
	s_cmp_neq_f32 s7, 0
	v_add_nc_u32_e32 v10, 16, v4
	v_cmp_gt_i32_e64 s0, s4, v12
	v_cmp_gt_i32_e64 s1, s4, v14
	s_cselect_b32 s18, -1, 0
	s_lshl_b64 s[8:9], s[8:9], 2
	v_cmp_le_i32_e32 vcc_lo, v16, v4
	v_cmp_gt_i32_e64 s2, s4, v4
	v_cmp_le_i32_e64 s3, v16, v10
	v_cmp_gt_i32_e64 s4, s4, v10
	v_ashrrev_i32_e32 v13, 31, v12
	v_dual_ashrrev_i32 v5, 31, v4 :: v_dual_ashrrev_i32 v11, 31, v10
	s_and_b32 s28, vcc_lo, s2
	s_and_b32 s29, s3, s4
	v_lshl_add_u64 v[16:17], v[18:19], 2, s[8:9]
	s_lshl_b64 s[8:9], s[24:25], 2
	v_cmp_le_i32_e32 vcc_lo, v22, v4
	v_cmp_le_i32_e64 s3, v22, v10
	s_and_b32 s25, s30, s31
	v_lshl_add_u64 v[18:19], v[20:21], 2, s[8:9]
	v_lshl_add_u64 v[12:13], v[12:13], 2, v[16:17]
	s_and_b32 s24, vcc_lo, s2
	s_and_b32 s4, s3, s4
	s_lshl_b64 s[2:3], s[14:15], 5
	v_lshl_add_u64 v[14:15], v[14:15], 2, v[18:19]
	s_lshl_b64 s[8:9], s[22:23], 5
	s_lshl_b64 s[14:15], s[26:27], 2
	s_branch .LBB316_6
.LBB316_5:                              ;   in Loop: Header=BB316_6 Depth=1
	s_wait_xcnt 0x0
	s_or_b32 exec_lo, exec_lo, s22
	s_add_co_i32 s20, s20, 0x10000
	s_delay_alu instid0(SALU_CYCLE_1)
	s_cmp_lt_u32 s20, s19
	s_cbranch_scc0 .LBB316_33
.LBB316_6:                              ; =>This Loop Header: Depth=1
                                        ;     Child Loop BB316_9 Depth 2
	v_dual_mov_b32 v16, s20 :: v_dual_mov_b32 v25, 0
	v_dual_mov_b32 v24, 0 :: v_dual_mov_b32 v17, 0
	s_and_not1_b32 vcc_lo, exec_lo, s25
	global_load_b64 v[18:19], v16, s[16:17] scale_offset
	s_wait_xcnt 0x0
	v_mov_b32_e32 v16, 0
	s_cbranch_vccnz .LBB316_13
; %bb.7:                                ;   in Loop: Header=BB316_6 Depth=1
	s_lshl_b64 s[22:23], s[20:21], 3
	v_mov_b32_e32 v16, 0
	s_add_nc_u64 s[26:27], s[12:13], s[22:23]
	s_add_nc_u64 s[22:23], s[10:11], s[22:23]
	s_clause 0x1
	global_load_b64 v[20:21], v3, s[26:27]
	global_load_b64 v[22:23], v3, s[22:23]
	s_wait_xcnt 0x0
	s_mov_b32 s22, 0
	v_dual_mov_b32 v17, v16 :: v_dual_mov_b32 v24, v16
	v_mov_b32_e32 v25, v16
	s_wait_loadcnt 0x1
	v_add_nc_u64_e32 v[20:21], v[20:21], v[12:13]
	s_wait_loadcnt 0x0
	v_add_nc_u64_e32 v[22:23], v[22:23], v[14:15]
	s_branch .LBB316_9
.LBB316_8:                              ;   in Loop: Header=BB316_9 Depth=2
	s_wait_xcnt 0x0
	s_or_b32 exec_lo, exec_lo, s23
	s_wait_loadcnt_dscnt 0x0
	ds_store_b32 v26, v30
	s_wait_dscnt 0x0
	s_barrier_signal -1
	s_barrier_wait -1
	ds_load_b128 v[30:33], v28
	ds_load_2addr_b32 v[46:47], v27 offset1:16
	ds_load_b128 v[34:37], v28 offset:512
	ds_load_2addr_b32 v[48:49], v27 offset0:32 offset1:48
	ds_load_2addr_b32 v[50:51], v27 offset0:64 offset1:80
	;; [unrolled: 1-line block ×3, first 2 shown]
	ds_load_b128 v[38:41], v28 offset:16
	ds_load_2addr_b32 v[54:55], v27 offset0:128 offset1:144
	ds_load_b128 v[42:45], v28 offset:528
	v_add_nc_u64_e32 v[20:21], s[2:3], v[20:21]
	v_add_nc_u64_e32 v[22:23], s[8:9], v[22:23]
	s_add_co_i32 s22, s22, 8
	s_delay_alu instid0(SALU_CYCLE_1)
	s_cmp_lt_i32 s22, s5
	s_wait_dscnt 0x7
	v_pk_fma_f32 v[24:25], v[46:47], v[30:31], v[24:25] op_sel_hi:[1,0,1]
	s_wait_dscnt 0x6
	v_pk_fma_f32 v[16:17], v[46:47], v[34:35], v[16:17] op_sel_hi:[1,0,1]
	ds_load_2addr_b32 v[46:47], v27 offset0:160 offset1:176
	s_wait_dscnt 0x6
	v_pk_fma_f32 v[24:25], v[48:49], v[30:31], v[24:25] op_sel:[0,1,0]
	v_pk_fma_f32 v[16:17], v[48:49], v[34:35], v[16:17] op_sel:[0,1,0]
	ds_load_2addr_b32 v[30:31], v27 offset0:192 offset1:208
	v_dual_mov_b32 v34, v33 :: v_dual_mov_b32 v48, v37
	s_wait_dscnt 0x6
	v_pk_fma_f32 v[24:25], v[50:51], v[32:33], v[24:25] op_sel_hi:[1,0,1]
	v_pk_fma_f32 v[16:17], v[50:51], v[36:37], v[16:17] op_sel_hi:[1,0,1]
	ds_load_2addr_b32 v[32:33], v27 offset0:224 offset1:240
	s_wait_dscnt 0x3
	v_mov_b32_e32 v36, v45
	s_wait_dscnt 0x0
	v_pk_fma_f32 v[24:25], v[52:53], v[34:35], v[24:25] op_sel_hi:[1,0,1]
	v_pk_fma_f32 v[16:17], v[52:53], v[48:49], v[16:17] op_sel_hi:[1,0,1]
	v_mov_b32_e32 v34, v41
	s_barrier_signal -1
	s_barrier_wait -1
	v_pk_fma_f32 v[24:25], v[54:55], v[38:39], v[24:25] op_sel_hi:[1,0,1]
	v_pk_fma_f32 v[16:17], v[54:55], v[42:43], v[16:17] op_sel_hi:[1,0,1]
	s_delay_alu instid0(VALU_DEP_2) | instskip(NEXT) | instid1(VALU_DEP_2)
	v_pk_fma_f32 v[24:25], v[46:47], v[38:39], v[24:25] op_sel:[0,1,0]
	v_pk_fma_f32 v[16:17], v[46:47], v[42:43], v[16:17] op_sel:[0,1,0]
	s_delay_alu instid0(VALU_DEP_2) | instskip(NEXT) | instid1(VALU_DEP_2)
	v_pk_fma_f32 v[24:25], v[30:31], v[40:41], v[24:25] op_sel_hi:[1,0,1]
	v_pk_fma_f32 v[16:17], v[30:31], v[44:45], v[16:17] op_sel_hi:[1,0,1]
	s_delay_alu instid0(VALU_DEP_2) | instskip(NEXT) | instid1(VALU_DEP_2)
	v_pk_fma_f32 v[24:25], v[32:33], v[34:35], v[24:25] op_sel_hi:[1,0,1]
	v_pk_fma_f32 v[16:17], v[32:33], v[36:37], v[16:17] op_sel_hi:[1,0,1]
	s_cbranch_scc0 .LBB316_13
.LBB316_9:                              ;   Parent Loop BB316_6 Depth=1
                                        ; =>  This Inner Loop Header: Depth=2
	v_add_nc_u32_e32 v29, s22, v2
	s_delay_alu instid0(VALU_DEP_1) | instskip(SKIP_2) | instid1(SALU_CYCLE_1)
	v_cmp_gt_i32_e32 vcc_lo, s5, v29
	v_mov_b32_e32 v29, 0
	s_and_b32 s26, s0, vcc_lo
	s_and_saveexec_b32 s23, s26
	s_cbranch_execz .LBB316_11
; %bb.10:                               ;   in Loop: Header=BB316_9 Depth=2
	flat_load_b32 v29, v[20:21]
.LBB316_11:                             ;   in Loop: Header=BB316_9 Depth=2
	s_wait_xcnt 0x0
	s_or_b32 exec_lo, exec_lo, s23
	v_add_nc_u32_e32 v30, s22, v0
	s_wait_loadcnt_dscnt 0x0
	ds_store_b32 v1, v29
	v_cmp_gt_i32_e32 vcc_lo, s5, v30
	v_mov_b32_e32 v30, 0
	s_and_b32 s26, vcc_lo, s1
	s_delay_alu instid0(SALU_CYCLE_1)
	s_and_saveexec_b32 s23, s26
	s_cbranch_execz .LBB316_8
; %bb.12:                               ;   in Loop: Header=BB316_9 Depth=2
	flat_load_b32 v30, v[22:23]
	s_branch .LBB316_8
.LBB316_13:                             ;   in Loop: Header=BB316_6 Depth=1
	s_wait_loadcnt 0x0
	v_add_nc_u64_e32 v[18:19], s[14:15], v[18:19]
	s_delay_alu instid0(VALU_DEP_1)
	v_lshl_add_u64 v[20:21], v[6:7], 2, v[18:19]
	s_and_saveexec_b32 s22, s28
	s_cbranch_execz .LBB316_17
; %bb.14:                               ;   in Loop: Header=BB316_6 Depth=1
	v_mul_f32_e32 v24, s6, v24
	s_delay_alu instid0(VALU_DEP_2)
	v_lshl_add_u64 v[22:23], v[4:5], 2, v[20:21]
	s_and_b32 vcc_lo, exec_lo, s18
	s_cbranch_vccz .LBB316_28
; %bb.15:                               ;   in Loop: Header=BB316_6 Depth=1
	flat_load_b32 v29, v[22:23]
	s_wait_loadcnt_dscnt 0x0
	v_fma_f32 v29, s7, v29, v24
	flat_store_b32 v[22:23], v29
	s_cbranch_execnz .LBB316_17
.LBB316_16:                             ;   in Loop: Header=BB316_6 Depth=1
	flat_store_b32 v[22:23], v24
.LBB316_17:                             ;   in Loop: Header=BB316_6 Depth=1
	s_wait_xcnt 0x0
	s_or_b32 exec_lo, exec_lo, s22
	s_and_saveexec_b32 s22, s29
	s_cbranch_execz .LBB316_21
; %bb.18:                               ;   in Loop: Header=BB316_6 Depth=1
	v_mul_f32_e32 v22, s6, v25
	v_lshl_add_u64 v[20:21], v[10:11], 2, v[20:21]
	s_and_not1_b32 vcc_lo, exec_lo, s18
	s_cbranch_vccnz .LBB316_29
; %bb.19:                               ;   in Loop: Header=BB316_6 Depth=1
	flat_load_b32 v23, v[20:21]
	s_wait_loadcnt_dscnt 0x0
	v_fma_f32 v23, s7, v23, v22
	flat_store_b32 v[20:21], v23
	s_cbranch_execnz .LBB316_21
.LBB316_20:                             ;   in Loop: Header=BB316_6 Depth=1
	flat_store_b32 v[20:21], v22
.LBB316_21:                             ;   in Loop: Header=BB316_6 Depth=1
	s_wait_xcnt 0x0
	s_or_b32 exec_lo, exec_lo, s22
	v_lshl_add_u64 v[18:19], v[8:9], 2, v[18:19]
	s_and_saveexec_b32 s22, s24
	s_cbranch_execz .LBB316_25
; %bb.22:                               ;   in Loop: Header=BB316_6 Depth=1
	v_mul_f32_e32 v16, s6, v16
	s_delay_alu instid0(VALU_DEP_2)
	v_lshl_add_u64 v[20:21], v[4:5], 2, v[18:19]
	s_and_not1_b32 vcc_lo, exec_lo, s18
	s_cbranch_vccnz .LBB316_30
; %bb.23:                               ;   in Loop: Header=BB316_6 Depth=1
	flat_load_b32 v22, v[20:21]
	s_wait_loadcnt_dscnt 0x0
	v_fma_f32 v22, s7, v22, v16
	flat_store_b32 v[20:21], v22
	s_cbranch_execnz .LBB316_25
.LBB316_24:                             ;   in Loop: Header=BB316_6 Depth=1
	flat_store_b32 v[20:21], v16
.LBB316_25:                             ;   in Loop: Header=BB316_6 Depth=1
	s_wait_xcnt 0x0
	s_or_b32 exec_lo, exec_lo, s22
	s_and_saveexec_b32 s22, s4
	s_cbranch_execz .LBB316_5
; %bb.26:                               ;   in Loop: Header=BB316_6 Depth=1
	v_mul_f32_e32 v20, s6, v17
	v_lshl_add_u64 v[16:17], v[10:11], 2, v[18:19]
	s_and_not1_b32 vcc_lo, exec_lo, s18
	s_cbranch_vccnz .LBB316_31
; %bb.27:                               ;   in Loop: Header=BB316_6 Depth=1
	flat_load_b32 v18, v[16:17]
	s_wait_loadcnt_dscnt 0x0
	v_fma_f32 v18, s7, v18, v20
	flat_store_b32 v[16:17], v18
	s_cbranch_execnz .LBB316_5
	s_branch .LBB316_32
.LBB316_28:                             ;   in Loop: Header=BB316_6 Depth=1
	s_branch .LBB316_16
.LBB316_29:                             ;   in Loop: Header=BB316_6 Depth=1
	s_branch .LBB316_20
.LBB316_30:                             ;   in Loop: Header=BB316_6 Depth=1
	s_branch .LBB316_24
.LBB316_31:                             ;   in Loop: Header=BB316_6 Depth=1
.LBB316_32:                             ;   in Loop: Header=BB316_6 Depth=1
	flat_store_b32 v[16:17], v20
	s_branch .LBB316_5
.LBB316_33:
	s_endpgm
	.section	.rodata,"a",@progbits
	.p2align	6, 0x0
	.amdhsa_kernel _ZL29rocblas_internal_gemmt_kernelIiLi16ELi32ELi8ELc78ELc84ELc76ELb0ELb0EffPKPKfPKPfEviT_T9_T10_S7_lS9_S7_lS8_T11_S7_li
		.amdhsa_group_segment_fixed_size 2048
		.amdhsa_private_segment_fixed_size 0
		.amdhsa_kernarg_size 100
		.amdhsa_user_sgpr_count 2
		.amdhsa_user_sgpr_dispatch_ptr 0
		.amdhsa_user_sgpr_queue_ptr 0
		.amdhsa_user_sgpr_kernarg_segment_ptr 1
		.amdhsa_user_sgpr_dispatch_id 0
		.amdhsa_user_sgpr_kernarg_preload_length 0
		.amdhsa_user_sgpr_kernarg_preload_offset 0
		.amdhsa_user_sgpr_private_segment_size 0
		.amdhsa_wavefront_size32 1
		.amdhsa_uses_dynamic_stack 0
		.amdhsa_enable_private_segment 0
		.amdhsa_system_sgpr_workgroup_id_x 1
		.amdhsa_system_sgpr_workgroup_id_y 1
		.amdhsa_system_sgpr_workgroup_id_z 1
		.amdhsa_system_sgpr_workgroup_info 0
		.amdhsa_system_vgpr_workitem_id 1
		.amdhsa_next_free_vgpr 56
		.amdhsa_next_free_sgpr 32
		.amdhsa_named_barrier_count 0
		.amdhsa_reserve_vcc 1
		.amdhsa_float_round_mode_32 0
		.amdhsa_float_round_mode_16_64 0
		.amdhsa_float_denorm_mode_32 3
		.amdhsa_float_denorm_mode_16_64 3
		.amdhsa_fp16_overflow 0
		.amdhsa_memory_ordered 1
		.amdhsa_forward_progress 1
		.amdhsa_inst_pref_size 14
		.amdhsa_round_robin_scheduling 0
		.amdhsa_exception_fp_ieee_invalid_op 0
		.amdhsa_exception_fp_denorm_src 0
		.amdhsa_exception_fp_ieee_div_zero 0
		.amdhsa_exception_fp_ieee_overflow 0
		.amdhsa_exception_fp_ieee_underflow 0
		.amdhsa_exception_fp_ieee_inexact 0
		.amdhsa_exception_int_div_zero 0
	.end_amdhsa_kernel
	.section	.text._ZL29rocblas_internal_gemmt_kernelIiLi16ELi32ELi8ELc78ELc84ELc76ELb0ELb0EffPKPKfPKPfEviT_T9_T10_S7_lS9_S7_lS8_T11_S7_li,"axG",@progbits,_ZL29rocblas_internal_gemmt_kernelIiLi16ELi32ELi8ELc78ELc84ELc76ELb0ELb0EffPKPKfPKPfEviT_T9_T10_S7_lS9_S7_lS8_T11_S7_li,comdat
.Lfunc_end316:
	.size	_ZL29rocblas_internal_gemmt_kernelIiLi16ELi32ELi8ELc78ELc84ELc76ELb0ELb0EffPKPKfPKPfEviT_T9_T10_S7_lS9_S7_lS8_T11_S7_li, .Lfunc_end316-_ZL29rocblas_internal_gemmt_kernelIiLi16ELi32ELi8ELc78ELc84ELc76ELb0ELb0EffPKPKfPKPfEviT_T9_T10_S7_lS9_S7_lS8_T11_S7_li
                                        ; -- End function
	.set _ZL29rocblas_internal_gemmt_kernelIiLi16ELi32ELi8ELc78ELc84ELc76ELb0ELb0EffPKPKfPKPfEviT_T9_T10_S7_lS9_S7_lS8_T11_S7_li.num_vgpr, 56
	.set _ZL29rocblas_internal_gemmt_kernelIiLi16ELi32ELi8ELc78ELc84ELc76ELb0ELb0EffPKPKfPKPfEviT_T9_T10_S7_lS9_S7_lS8_T11_S7_li.num_agpr, 0
	.set _ZL29rocblas_internal_gemmt_kernelIiLi16ELi32ELi8ELc78ELc84ELc76ELb0ELb0EffPKPKfPKPfEviT_T9_T10_S7_lS9_S7_lS8_T11_S7_li.numbered_sgpr, 32
	.set _ZL29rocblas_internal_gemmt_kernelIiLi16ELi32ELi8ELc78ELc84ELc76ELb0ELb0EffPKPKfPKPfEviT_T9_T10_S7_lS9_S7_lS8_T11_S7_li.num_named_barrier, 0
	.set _ZL29rocblas_internal_gemmt_kernelIiLi16ELi32ELi8ELc78ELc84ELc76ELb0ELb0EffPKPKfPKPfEviT_T9_T10_S7_lS9_S7_lS8_T11_S7_li.private_seg_size, 0
	.set _ZL29rocblas_internal_gemmt_kernelIiLi16ELi32ELi8ELc78ELc84ELc76ELb0ELb0EffPKPKfPKPfEviT_T9_T10_S7_lS9_S7_lS8_T11_S7_li.uses_vcc, 1
	.set _ZL29rocblas_internal_gemmt_kernelIiLi16ELi32ELi8ELc78ELc84ELc76ELb0ELb0EffPKPKfPKPfEviT_T9_T10_S7_lS9_S7_lS8_T11_S7_li.uses_flat_scratch, 0
	.set _ZL29rocblas_internal_gemmt_kernelIiLi16ELi32ELi8ELc78ELc84ELc76ELb0ELb0EffPKPKfPKPfEviT_T9_T10_S7_lS9_S7_lS8_T11_S7_li.has_dyn_sized_stack, 0
	.set _ZL29rocblas_internal_gemmt_kernelIiLi16ELi32ELi8ELc78ELc84ELc76ELb0ELb0EffPKPKfPKPfEviT_T9_T10_S7_lS9_S7_lS8_T11_S7_li.has_recursion, 0
	.set _ZL29rocblas_internal_gemmt_kernelIiLi16ELi32ELi8ELc78ELc84ELc76ELb0ELb0EffPKPKfPKPfEviT_T9_T10_S7_lS9_S7_lS8_T11_S7_li.has_indirect_call, 0
	.section	.AMDGPU.csdata,"",@progbits
; Kernel info:
; codeLenInByte = 1668
; TotalNumSgprs: 34
; NumVgprs: 56
; ScratchSize: 0
; MemoryBound: 0
; FloatMode: 240
; IeeeMode: 1
; LDSByteSize: 2048 bytes/workgroup (compile time only)
; SGPRBlocks: 0
; VGPRBlocks: 3
; NumSGPRsForWavesPerEU: 34
; NumVGPRsForWavesPerEU: 56
; NamedBarCnt: 0
; Occupancy: 16
; WaveLimiterHint : 1
; COMPUTE_PGM_RSRC2:SCRATCH_EN: 0
; COMPUTE_PGM_RSRC2:USER_SGPR: 2
; COMPUTE_PGM_RSRC2:TRAP_HANDLER: 0
; COMPUTE_PGM_RSRC2:TGID_X_EN: 1
; COMPUTE_PGM_RSRC2:TGID_Y_EN: 1
; COMPUTE_PGM_RSRC2:TGID_Z_EN: 1
; COMPUTE_PGM_RSRC2:TIDIG_COMP_CNT: 1
	.section	.text._ZL29rocblas_internal_gemmt_kernelIiLi16ELi32ELi8ELc78ELc67ELc76ELb0ELb0EffPKPKfPKPfEviT_T9_T10_S7_lS9_S7_lS8_T11_S7_li,"axG",@progbits,_ZL29rocblas_internal_gemmt_kernelIiLi16ELi32ELi8ELc78ELc67ELc76ELb0ELb0EffPKPKfPKPfEviT_T9_T10_S7_lS9_S7_lS8_T11_S7_li,comdat
	.globl	_ZL29rocblas_internal_gemmt_kernelIiLi16ELi32ELi8ELc78ELc67ELc76ELb0ELb0EffPKPKfPKPfEviT_T9_T10_S7_lS9_S7_lS8_T11_S7_li ; -- Begin function _ZL29rocblas_internal_gemmt_kernelIiLi16ELi32ELi8ELc78ELc67ELc76ELb0ELb0EffPKPKfPKPfEviT_T9_T10_S7_lS9_S7_lS8_T11_S7_li
	.p2align	8
	.type	_ZL29rocblas_internal_gemmt_kernelIiLi16ELi32ELi8ELc78ELc67ELc76ELb0ELb0EffPKPKfPKPfEviT_T9_T10_S7_lS9_S7_lS8_T11_S7_li,@function
_ZL29rocblas_internal_gemmt_kernelIiLi16ELi32ELi8ELc78ELc67ELc76ELb0ELb0EffPKPKfPKPfEviT_T9_T10_S7_lS9_S7_lS8_T11_S7_li: ; @_ZL29rocblas_internal_gemmt_kernelIiLi16ELi32ELi8ELc78ELc67ELc76ELb0ELb0EffPKPKfPKPfEviT_T9_T10_S7_lS9_S7_lS8_T11_S7_li
; %bb.0:
	s_clause 0x1
	s_load_b32 s7, s[0:1], 0x40
	s_load_b96 s[4:6], s[0:1], 0x0
	s_wait_kmcnt 0x0
	s_cmp_neq_f32 s7, 1.0
	s_cselect_b32 s2, -1, 0
	s_delay_alu instid0(SALU_CYCLE_1)
	s_and_b32 vcc_lo, exec_lo, s2
	s_cbranch_vccnz .LBB317_2
; %bb.1:
	s_cmp_lg_u32 s5, 0
	s_cselect_b32 s2, -1, 0
	s_cmp_neq_f32 s6, 0
	s_cselect_b32 s3, -1, 0
	s_delay_alu instid0(SALU_CYCLE_1)
	s_and_b32 s2, s2, s3
.LBB317_2:
	s_delay_alu instid0(SALU_CYCLE_1)
	s_and_not1_b32 vcc_lo, exec_lo, s2
	s_cbranch_vccnz .LBB317_33
; %bb.3:
	s_load_b32 s19, s[0:1], 0x60
	s_bfe_u32 s2, ttmp6, 0x40014
	s_lshr_b32 s3, ttmp7, 16
	s_add_co_i32 s2, s2, 1
	s_bfe_u32 s9, ttmp6, 0x40008
	s_mul_i32 s8, s3, s2
	s_getreg_b32 s2, hwreg(HW_REG_IB_STS2, 6, 4)
	s_add_co_i32 s9, s9, s8
	s_cmp_eq_u32 s2, 0
	s_mov_b32 s21, 0
	s_cselect_b32 s20, s3, s9
	s_wait_kmcnt 0x0
	s_cmp_ge_u32 s20, s19
	s_cbranch_scc1 .LBB317_33
; %bb.4:
	s_clause 0x5
	s_load_b96 s[12:14], s[0:1], 0x10
	s_load_b32 s22, s[0:1], 0x30
	s_load_b96 s[16:18], s[0:1], 0x48
	s_load_b128 s[8:11], s[0:1], 0x20
	s_load_b64 s[24:25], s[0:1], 0x38
	s_load_b64 s[26:27], s[0:1], 0x58
	s_wait_xcnt 0x0
	s_bfe_u32 s1, ttmp6, 0x4000c
	s_bfe_u32 s3, ttmp6, 0x40010
	v_and_b32_e32 v5, 0x3ff, v0
	v_bfe_u32 v11, v0, 10, 10
	s_add_co_i32 s1, s1, 1
	s_add_co_i32 s3, s3, 1
	s_and_b32 s0, ttmp6, 15
	s_mul_i32 s1, ttmp9, s1
	s_bfe_u32 s30, ttmp6, 0x40004
	v_lshl_add_u32 v1, v11, 4, v5
	s_add_co_i32 s0, s0, s1
	v_and_b32_e32 v0, 7, v0
	v_lshl_add_u32 v28, v11, 5, 0x400
	v_lshlrev_b32_e32 v27, 2, v5
	v_dual_lshrrev_b32 v4, 3, v1 :: v_dual_bitop2_b32 v6, 31, v1 bitop3:0x40
	s_wait_kmcnt 0x0
	s_ashr_i32 s15, s14, 31
	s_ashr_i32 s23, s22, 31
	;; [unrolled: 1-line block ×3, first 2 shown]
	s_mov_b32 s28, s18
	s_and_b32 s18, ttmp7, 0xffff
	v_lshrrev_b32_e32 v2, 5, v1
	s_mul_i32 s3, s18, s3
	s_delay_alu instid0(SALU_CYCLE_1) | instskip(SKIP_4) | instid1(SALU_CYCLE_1)
	s_add_co_i32 s30, s30, s3
	s_cmp_eq_u32 s2, 0
	s_cselect_b32 s0, ttmp9, s0
	s_cselect_b32 s1, s18, s30
	s_lshl_b32 s2, s0, 5
	v_dual_mov_b32 v3, 0 :: v_dual_bitop2_b32 v12, s2, v6 bitop3:0x54
	s_lshl_b32 s0, s1, 5
	s_delay_alu instid0(SALU_CYCLE_1) | instskip(NEXT) | instid1(VALU_DEP_2)
	v_dual_lshlrev_b32 v6, 2, v6 :: v_dual_add_nc_u32 v16, s0, v11
	v_dual_mov_b32 v1, v3 :: v_dual_add_nc_u32 v14, s0, v4
	v_mul_u64_e32 v[18:19], s[14:15], v[2:3]
	s_cmp_neq_f32 s6, 0
	s_delay_alu instid0(VALU_DEP_3) | instskip(SKIP_3) | instid1(VALU_DEP_4)
	v_dual_add_nc_u32 v22, 16, v16 :: v_dual_ashrrev_i32 v17, 31, v16
	v_lshlrev_b32_e32 v7, 2, v0
	v_mul_u64_e32 v[20:21], s[22:23], v[0:1]
	v_lshl_or_b32 v1, v2, 7, v6
	v_ashrrev_i32_e32 v23, 31, v22
	s_cselect_b32 s30, -1, 0
	v_lshl_or_b32 v6, v4, 5, v7
	v_dual_add_nc_u32 v4, s2, v5 :: v_dual_ashrrev_i32 v15, 31, v14
	s_delay_alu instid0(VALU_DEP_3) | instskip(SKIP_1) | instid1(VALU_DEP_3)
	v_mul_u64_e32 v[8:9], s[28:29], v[22:23]
	s_cmp_gt_i32 s5, 0
	v_add_nc_u32_e32 v26, 0x400, v6
	v_mul_u64_e32 v[6:7], s[28:29], v[16:17]
	s_cselect_b32 s31, -1, 0
	s_cmp_neq_f32 s7, 0
	v_add_nc_u32_e32 v10, 16, v4
	v_cmp_gt_i32_e64 s0, s4, v12
	v_cmp_gt_i32_e64 s1, s4, v14
	s_cselect_b32 s18, -1, 0
	s_lshl_b64 s[8:9], s[8:9], 2
	v_cmp_le_i32_e32 vcc_lo, v16, v4
	v_cmp_gt_i32_e64 s2, s4, v4
	v_cmp_le_i32_e64 s3, v16, v10
	v_cmp_gt_i32_e64 s4, s4, v10
	v_ashrrev_i32_e32 v13, 31, v12
	v_dual_ashrrev_i32 v5, 31, v4 :: v_dual_ashrrev_i32 v11, 31, v10
	s_and_b32 s28, vcc_lo, s2
	s_and_b32 s29, s3, s4
	v_lshl_add_u64 v[16:17], v[18:19], 2, s[8:9]
	s_lshl_b64 s[8:9], s[24:25], 2
	v_cmp_le_i32_e32 vcc_lo, v22, v4
	v_cmp_le_i32_e64 s3, v22, v10
	s_and_b32 s25, s30, s31
	v_lshl_add_u64 v[18:19], v[20:21], 2, s[8:9]
	v_lshl_add_u64 v[12:13], v[12:13], 2, v[16:17]
	s_and_b32 s24, vcc_lo, s2
	s_and_b32 s4, s3, s4
	s_lshl_b64 s[2:3], s[14:15], 5
	v_lshl_add_u64 v[14:15], v[14:15], 2, v[18:19]
	s_lshl_b64 s[8:9], s[22:23], 5
	s_lshl_b64 s[14:15], s[26:27], 2
	s_branch .LBB317_6
.LBB317_5:                              ;   in Loop: Header=BB317_6 Depth=1
	s_wait_xcnt 0x0
	s_or_b32 exec_lo, exec_lo, s22
	s_add_co_i32 s20, s20, 0x10000
	s_delay_alu instid0(SALU_CYCLE_1)
	s_cmp_lt_u32 s20, s19
	s_cbranch_scc0 .LBB317_33
.LBB317_6:                              ; =>This Loop Header: Depth=1
                                        ;     Child Loop BB317_9 Depth 2
	v_dual_mov_b32 v16, s20 :: v_dual_mov_b32 v25, 0
	v_dual_mov_b32 v24, 0 :: v_dual_mov_b32 v17, 0
	s_and_not1_b32 vcc_lo, exec_lo, s25
	global_load_b64 v[18:19], v16, s[16:17] scale_offset
	s_wait_xcnt 0x0
	v_mov_b32_e32 v16, 0
	s_cbranch_vccnz .LBB317_13
; %bb.7:                                ;   in Loop: Header=BB317_6 Depth=1
	s_lshl_b64 s[22:23], s[20:21], 3
	v_mov_b32_e32 v16, 0
	s_add_nc_u64 s[26:27], s[12:13], s[22:23]
	s_add_nc_u64 s[22:23], s[10:11], s[22:23]
	s_clause 0x1
	global_load_b64 v[20:21], v3, s[26:27]
	global_load_b64 v[22:23], v3, s[22:23]
	s_wait_xcnt 0x0
	s_mov_b32 s22, 0
	v_dual_mov_b32 v17, v16 :: v_dual_mov_b32 v24, v16
	v_mov_b32_e32 v25, v16
	s_wait_loadcnt 0x1
	v_add_nc_u64_e32 v[20:21], v[20:21], v[12:13]
	s_wait_loadcnt 0x0
	v_add_nc_u64_e32 v[22:23], v[22:23], v[14:15]
	s_branch .LBB317_9
.LBB317_8:                              ;   in Loop: Header=BB317_9 Depth=2
	s_wait_xcnt 0x0
	s_or_b32 exec_lo, exec_lo, s23
	s_wait_loadcnt_dscnt 0x0
	ds_store_b32 v26, v30
	s_wait_dscnt 0x0
	s_barrier_signal -1
	s_barrier_wait -1
	ds_load_b128 v[30:33], v28
	ds_load_2addr_b32 v[46:47], v27 offset1:16
	ds_load_b128 v[34:37], v28 offset:512
	ds_load_2addr_b32 v[48:49], v27 offset0:32 offset1:48
	ds_load_2addr_b32 v[50:51], v27 offset0:64 offset1:80
	;; [unrolled: 1-line block ×3, first 2 shown]
	ds_load_b128 v[38:41], v28 offset:16
	ds_load_2addr_b32 v[54:55], v27 offset0:128 offset1:144
	ds_load_b128 v[42:45], v28 offset:528
	v_add_nc_u64_e32 v[20:21], s[2:3], v[20:21]
	v_add_nc_u64_e32 v[22:23], s[8:9], v[22:23]
	s_add_co_i32 s22, s22, 8
	s_delay_alu instid0(SALU_CYCLE_1)
	s_cmp_lt_i32 s22, s5
	s_wait_dscnt 0x7
	v_pk_fma_f32 v[24:25], v[46:47], v[30:31], v[24:25] op_sel_hi:[1,0,1]
	s_wait_dscnt 0x6
	v_pk_fma_f32 v[16:17], v[46:47], v[34:35], v[16:17] op_sel_hi:[1,0,1]
	ds_load_2addr_b32 v[46:47], v27 offset0:160 offset1:176
	s_wait_dscnt 0x6
	v_pk_fma_f32 v[24:25], v[48:49], v[30:31], v[24:25] op_sel:[0,1,0]
	v_pk_fma_f32 v[16:17], v[48:49], v[34:35], v[16:17] op_sel:[0,1,0]
	ds_load_2addr_b32 v[30:31], v27 offset0:192 offset1:208
	v_dual_mov_b32 v34, v33 :: v_dual_mov_b32 v48, v37
	s_wait_dscnt 0x6
	v_pk_fma_f32 v[24:25], v[50:51], v[32:33], v[24:25] op_sel_hi:[1,0,1]
	v_pk_fma_f32 v[16:17], v[50:51], v[36:37], v[16:17] op_sel_hi:[1,0,1]
	ds_load_2addr_b32 v[32:33], v27 offset0:224 offset1:240
	s_wait_dscnt 0x3
	v_mov_b32_e32 v36, v45
	s_wait_dscnt 0x0
	v_pk_fma_f32 v[24:25], v[52:53], v[34:35], v[24:25] op_sel_hi:[1,0,1]
	v_pk_fma_f32 v[16:17], v[52:53], v[48:49], v[16:17] op_sel_hi:[1,0,1]
	v_mov_b32_e32 v34, v41
	s_barrier_signal -1
	s_barrier_wait -1
	v_pk_fma_f32 v[24:25], v[54:55], v[38:39], v[24:25] op_sel_hi:[1,0,1]
	v_pk_fma_f32 v[16:17], v[54:55], v[42:43], v[16:17] op_sel_hi:[1,0,1]
	s_delay_alu instid0(VALU_DEP_2) | instskip(NEXT) | instid1(VALU_DEP_2)
	v_pk_fma_f32 v[24:25], v[46:47], v[38:39], v[24:25] op_sel:[0,1,0]
	v_pk_fma_f32 v[16:17], v[46:47], v[42:43], v[16:17] op_sel:[0,1,0]
	s_delay_alu instid0(VALU_DEP_2) | instskip(NEXT) | instid1(VALU_DEP_2)
	v_pk_fma_f32 v[24:25], v[30:31], v[40:41], v[24:25] op_sel_hi:[1,0,1]
	v_pk_fma_f32 v[16:17], v[30:31], v[44:45], v[16:17] op_sel_hi:[1,0,1]
	s_delay_alu instid0(VALU_DEP_2) | instskip(NEXT) | instid1(VALU_DEP_2)
	v_pk_fma_f32 v[24:25], v[32:33], v[34:35], v[24:25] op_sel_hi:[1,0,1]
	v_pk_fma_f32 v[16:17], v[32:33], v[36:37], v[16:17] op_sel_hi:[1,0,1]
	s_cbranch_scc0 .LBB317_13
.LBB317_9:                              ;   Parent Loop BB317_6 Depth=1
                                        ; =>  This Inner Loop Header: Depth=2
	v_add_nc_u32_e32 v29, s22, v2
	s_delay_alu instid0(VALU_DEP_1) | instskip(SKIP_2) | instid1(SALU_CYCLE_1)
	v_cmp_gt_i32_e32 vcc_lo, s5, v29
	v_mov_b32_e32 v29, 0
	s_and_b32 s26, s0, vcc_lo
	s_and_saveexec_b32 s23, s26
	s_cbranch_execz .LBB317_11
; %bb.10:                               ;   in Loop: Header=BB317_9 Depth=2
	flat_load_b32 v29, v[20:21]
.LBB317_11:                             ;   in Loop: Header=BB317_9 Depth=2
	s_wait_xcnt 0x0
	s_or_b32 exec_lo, exec_lo, s23
	v_add_nc_u32_e32 v30, s22, v0
	s_wait_loadcnt_dscnt 0x0
	ds_store_b32 v1, v29
	v_cmp_gt_i32_e32 vcc_lo, s5, v30
	v_mov_b32_e32 v30, 0
	s_and_b32 s26, vcc_lo, s1
	s_delay_alu instid0(SALU_CYCLE_1)
	s_and_saveexec_b32 s23, s26
	s_cbranch_execz .LBB317_8
; %bb.12:                               ;   in Loop: Header=BB317_9 Depth=2
	flat_load_b32 v30, v[22:23]
	s_branch .LBB317_8
.LBB317_13:                             ;   in Loop: Header=BB317_6 Depth=1
	s_wait_loadcnt 0x0
	v_add_nc_u64_e32 v[18:19], s[14:15], v[18:19]
	s_delay_alu instid0(VALU_DEP_1)
	v_lshl_add_u64 v[20:21], v[6:7], 2, v[18:19]
	s_and_saveexec_b32 s22, s28
	s_cbranch_execz .LBB317_17
; %bb.14:                               ;   in Loop: Header=BB317_6 Depth=1
	v_mul_f32_e32 v24, s6, v24
	s_delay_alu instid0(VALU_DEP_2)
	v_lshl_add_u64 v[22:23], v[4:5], 2, v[20:21]
	s_and_b32 vcc_lo, exec_lo, s18
	s_cbranch_vccz .LBB317_28
; %bb.15:                               ;   in Loop: Header=BB317_6 Depth=1
	flat_load_b32 v29, v[22:23]
	s_wait_loadcnt_dscnt 0x0
	v_fma_f32 v29, s7, v29, v24
	flat_store_b32 v[22:23], v29
	s_cbranch_execnz .LBB317_17
.LBB317_16:                             ;   in Loop: Header=BB317_6 Depth=1
	flat_store_b32 v[22:23], v24
.LBB317_17:                             ;   in Loop: Header=BB317_6 Depth=1
	s_wait_xcnt 0x0
	s_or_b32 exec_lo, exec_lo, s22
	s_and_saveexec_b32 s22, s29
	s_cbranch_execz .LBB317_21
; %bb.18:                               ;   in Loop: Header=BB317_6 Depth=1
	v_mul_f32_e32 v22, s6, v25
	v_lshl_add_u64 v[20:21], v[10:11], 2, v[20:21]
	s_and_not1_b32 vcc_lo, exec_lo, s18
	s_cbranch_vccnz .LBB317_29
; %bb.19:                               ;   in Loop: Header=BB317_6 Depth=1
	flat_load_b32 v23, v[20:21]
	s_wait_loadcnt_dscnt 0x0
	v_fma_f32 v23, s7, v23, v22
	flat_store_b32 v[20:21], v23
	s_cbranch_execnz .LBB317_21
.LBB317_20:                             ;   in Loop: Header=BB317_6 Depth=1
	flat_store_b32 v[20:21], v22
.LBB317_21:                             ;   in Loop: Header=BB317_6 Depth=1
	s_wait_xcnt 0x0
	s_or_b32 exec_lo, exec_lo, s22
	v_lshl_add_u64 v[18:19], v[8:9], 2, v[18:19]
	s_and_saveexec_b32 s22, s24
	s_cbranch_execz .LBB317_25
; %bb.22:                               ;   in Loop: Header=BB317_6 Depth=1
	v_mul_f32_e32 v16, s6, v16
	s_delay_alu instid0(VALU_DEP_2)
	v_lshl_add_u64 v[20:21], v[4:5], 2, v[18:19]
	s_and_not1_b32 vcc_lo, exec_lo, s18
	s_cbranch_vccnz .LBB317_30
; %bb.23:                               ;   in Loop: Header=BB317_6 Depth=1
	flat_load_b32 v22, v[20:21]
	s_wait_loadcnt_dscnt 0x0
	v_fma_f32 v22, s7, v22, v16
	flat_store_b32 v[20:21], v22
	s_cbranch_execnz .LBB317_25
.LBB317_24:                             ;   in Loop: Header=BB317_6 Depth=1
	flat_store_b32 v[20:21], v16
.LBB317_25:                             ;   in Loop: Header=BB317_6 Depth=1
	s_wait_xcnt 0x0
	s_or_b32 exec_lo, exec_lo, s22
	s_and_saveexec_b32 s22, s4
	s_cbranch_execz .LBB317_5
; %bb.26:                               ;   in Loop: Header=BB317_6 Depth=1
	v_mul_f32_e32 v20, s6, v17
	v_lshl_add_u64 v[16:17], v[10:11], 2, v[18:19]
	s_and_not1_b32 vcc_lo, exec_lo, s18
	s_cbranch_vccnz .LBB317_31
; %bb.27:                               ;   in Loop: Header=BB317_6 Depth=1
	flat_load_b32 v18, v[16:17]
	s_wait_loadcnt_dscnt 0x0
	v_fma_f32 v18, s7, v18, v20
	flat_store_b32 v[16:17], v18
	s_cbranch_execnz .LBB317_5
	s_branch .LBB317_32
.LBB317_28:                             ;   in Loop: Header=BB317_6 Depth=1
	s_branch .LBB317_16
.LBB317_29:                             ;   in Loop: Header=BB317_6 Depth=1
	s_branch .LBB317_20
.LBB317_30:                             ;   in Loop: Header=BB317_6 Depth=1
	s_branch .LBB317_24
.LBB317_31:                             ;   in Loop: Header=BB317_6 Depth=1
.LBB317_32:                             ;   in Loop: Header=BB317_6 Depth=1
	flat_store_b32 v[16:17], v20
	s_branch .LBB317_5
.LBB317_33:
	s_endpgm
	.section	.rodata,"a",@progbits
	.p2align	6, 0x0
	.amdhsa_kernel _ZL29rocblas_internal_gemmt_kernelIiLi16ELi32ELi8ELc78ELc67ELc76ELb0ELb0EffPKPKfPKPfEviT_T9_T10_S7_lS9_S7_lS8_T11_S7_li
		.amdhsa_group_segment_fixed_size 2048
		.amdhsa_private_segment_fixed_size 0
		.amdhsa_kernarg_size 100
		.amdhsa_user_sgpr_count 2
		.amdhsa_user_sgpr_dispatch_ptr 0
		.amdhsa_user_sgpr_queue_ptr 0
		.amdhsa_user_sgpr_kernarg_segment_ptr 1
		.amdhsa_user_sgpr_dispatch_id 0
		.amdhsa_user_sgpr_kernarg_preload_length 0
		.amdhsa_user_sgpr_kernarg_preload_offset 0
		.amdhsa_user_sgpr_private_segment_size 0
		.amdhsa_wavefront_size32 1
		.amdhsa_uses_dynamic_stack 0
		.amdhsa_enable_private_segment 0
		.amdhsa_system_sgpr_workgroup_id_x 1
		.amdhsa_system_sgpr_workgroup_id_y 1
		.amdhsa_system_sgpr_workgroup_id_z 1
		.amdhsa_system_sgpr_workgroup_info 0
		.amdhsa_system_vgpr_workitem_id 1
		.amdhsa_next_free_vgpr 56
		.amdhsa_next_free_sgpr 32
		.amdhsa_named_barrier_count 0
		.amdhsa_reserve_vcc 1
		.amdhsa_float_round_mode_32 0
		.amdhsa_float_round_mode_16_64 0
		.amdhsa_float_denorm_mode_32 3
		.amdhsa_float_denorm_mode_16_64 3
		.amdhsa_fp16_overflow 0
		.amdhsa_memory_ordered 1
		.amdhsa_forward_progress 1
		.amdhsa_inst_pref_size 14
		.amdhsa_round_robin_scheduling 0
		.amdhsa_exception_fp_ieee_invalid_op 0
		.amdhsa_exception_fp_denorm_src 0
		.amdhsa_exception_fp_ieee_div_zero 0
		.amdhsa_exception_fp_ieee_overflow 0
		.amdhsa_exception_fp_ieee_underflow 0
		.amdhsa_exception_fp_ieee_inexact 0
		.amdhsa_exception_int_div_zero 0
	.end_amdhsa_kernel
	.section	.text._ZL29rocblas_internal_gemmt_kernelIiLi16ELi32ELi8ELc78ELc67ELc76ELb0ELb0EffPKPKfPKPfEviT_T9_T10_S7_lS9_S7_lS8_T11_S7_li,"axG",@progbits,_ZL29rocblas_internal_gemmt_kernelIiLi16ELi32ELi8ELc78ELc67ELc76ELb0ELb0EffPKPKfPKPfEviT_T9_T10_S7_lS9_S7_lS8_T11_S7_li,comdat
.Lfunc_end317:
	.size	_ZL29rocblas_internal_gemmt_kernelIiLi16ELi32ELi8ELc78ELc67ELc76ELb0ELb0EffPKPKfPKPfEviT_T9_T10_S7_lS9_S7_lS8_T11_S7_li, .Lfunc_end317-_ZL29rocblas_internal_gemmt_kernelIiLi16ELi32ELi8ELc78ELc67ELc76ELb0ELb0EffPKPKfPKPfEviT_T9_T10_S7_lS9_S7_lS8_T11_S7_li
                                        ; -- End function
	.set _ZL29rocblas_internal_gemmt_kernelIiLi16ELi32ELi8ELc78ELc67ELc76ELb0ELb0EffPKPKfPKPfEviT_T9_T10_S7_lS9_S7_lS8_T11_S7_li.num_vgpr, 56
	.set _ZL29rocblas_internal_gemmt_kernelIiLi16ELi32ELi8ELc78ELc67ELc76ELb0ELb0EffPKPKfPKPfEviT_T9_T10_S7_lS9_S7_lS8_T11_S7_li.num_agpr, 0
	.set _ZL29rocblas_internal_gemmt_kernelIiLi16ELi32ELi8ELc78ELc67ELc76ELb0ELb0EffPKPKfPKPfEviT_T9_T10_S7_lS9_S7_lS8_T11_S7_li.numbered_sgpr, 32
	.set _ZL29rocblas_internal_gemmt_kernelIiLi16ELi32ELi8ELc78ELc67ELc76ELb0ELb0EffPKPKfPKPfEviT_T9_T10_S7_lS9_S7_lS8_T11_S7_li.num_named_barrier, 0
	.set _ZL29rocblas_internal_gemmt_kernelIiLi16ELi32ELi8ELc78ELc67ELc76ELb0ELb0EffPKPKfPKPfEviT_T9_T10_S7_lS9_S7_lS8_T11_S7_li.private_seg_size, 0
	.set _ZL29rocblas_internal_gemmt_kernelIiLi16ELi32ELi8ELc78ELc67ELc76ELb0ELb0EffPKPKfPKPfEviT_T9_T10_S7_lS9_S7_lS8_T11_S7_li.uses_vcc, 1
	.set _ZL29rocblas_internal_gemmt_kernelIiLi16ELi32ELi8ELc78ELc67ELc76ELb0ELb0EffPKPKfPKPfEviT_T9_T10_S7_lS9_S7_lS8_T11_S7_li.uses_flat_scratch, 0
	.set _ZL29rocblas_internal_gemmt_kernelIiLi16ELi32ELi8ELc78ELc67ELc76ELb0ELb0EffPKPKfPKPfEviT_T9_T10_S7_lS9_S7_lS8_T11_S7_li.has_dyn_sized_stack, 0
	.set _ZL29rocblas_internal_gemmt_kernelIiLi16ELi32ELi8ELc78ELc67ELc76ELb0ELb0EffPKPKfPKPfEviT_T9_T10_S7_lS9_S7_lS8_T11_S7_li.has_recursion, 0
	.set _ZL29rocblas_internal_gemmt_kernelIiLi16ELi32ELi8ELc78ELc67ELc76ELb0ELb0EffPKPKfPKPfEviT_T9_T10_S7_lS9_S7_lS8_T11_S7_li.has_indirect_call, 0
	.section	.AMDGPU.csdata,"",@progbits
; Kernel info:
; codeLenInByte = 1668
; TotalNumSgprs: 34
; NumVgprs: 56
; ScratchSize: 0
; MemoryBound: 0
; FloatMode: 240
; IeeeMode: 1
; LDSByteSize: 2048 bytes/workgroup (compile time only)
; SGPRBlocks: 0
; VGPRBlocks: 3
; NumSGPRsForWavesPerEU: 34
; NumVGPRsForWavesPerEU: 56
; NamedBarCnt: 0
; Occupancy: 16
; WaveLimiterHint : 1
; COMPUTE_PGM_RSRC2:SCRATCH_EN: 0
; COMPUTE_PGM_RSRC2:USER_SGPR: 2
; COMPUTE_PGM_RSRC2:TRAP_HANDLER: 0
; COMPUTE_PGM_RSRC2:TGID_X_EN: 1
; COMPUTE_PGM_RSRC2:TGID_Y_EN: 1
; COMPUTE_PGM_RSRC2:TGID_Z_EN: 1
; COMPUTE_PGM_RSRC2:TIDIG_COMP_CNT: 1
	.section	.text._ZL29rocblas_internal_gemmt_kernelIiLi16ELi32ELi8ELc84ELc78ELc76ELb0ELb0EffPKPKfPKPfEviT_T9_T10_S7_lS9_S7_lS8_T11_S7_li,"axG",@progbits,_ZL29rocblas_internal_gemmt_kernelIiLi16ELi32ELi8ELc84ELc78ELc76ELb0ELb0EffPKPKfPKPfEviT_T9_T10_S7_lS9_S7_lS8_T11_S7_li,comdat
	.globl	_ZL29rocblas_internal_gemmt_kernelIiLi16ELi32ELi8ELc84ELc78ELc76ELb0ELb0EffPKPKfPKPfEviT_T9_T10_S7_lS9_S7_lS8_T11_S7_li ; -- Begin function _ZL29rocblas_internal_gemmt_kernelIiLi16ELi32ELi8ELc84ELc78ELc76ELb0ELb0EffPKPKfPKPfEviT_T9_T10_S7_lS9_S7_lS8_T11_S7_li
	.p2align	8
	.type	_ZL29rocblas_internal_gemmt_kernelIiLi16ELi32ELi8ELc84ELc78ELc76ELb0ELb0EffPKPKfPKPfEviT_T9_T10_S7_lS9_S7_lS8_T11_S7_li,@function
_ZL29rocblas_internal_gemmt_kernelIiLi16ELi32ELi8ELc84ELc78ELc76ELb0ELb0EffPKPKfPKPfEviT_T9_T10_S7_lS9_S7_lS8_T11_S7_li: ; @_ZL29rocblas_internal_gemmt_kernelIiLi16ELi32ELi8ELc84ELc78ELc76ELb0ELb0EffPKPKfPKPfEviT_T9_T10_S7_lS9_S7_lS8_T11_S7_li
; %bb.0:
	s_clause 0x1
	s_load_b32 s7, s[0:1], 0x40
	s_load_b96 s[4:6], s[0:1], 0x0
	s_wait_kmcnt 0x0
	s_cmp_neq_f32 s7, 1.0
	s_cselect_b32 s2, -1, 0
	s_delay_alu instid0(SALU_CYCLE_1)
	s_and_b32 vcc_lo, exec_lo, s2
	s_cbranch_vccnz .LBB318_2
; %bb.1:
	s_cmp_lg_u32 s5, 0
	s_cselect_b32 s2, -1, 0
	s_cmp_neq_f32 s6, 0
	s_cselect_b32 s3, -1, 0
	s_delay_alu instid0(SALU_CYCLE_1)
	s_and_b32 s2, s2, s3
.LBB318_2:
	s_delay_alu instid0(SALU_CYCLE_1)
	s_and_not1_b32 vcc_lo, exec_lo, s2
	s_cbranch_vccnz .LBB318_33
; %bb.3:
	s_load_b32 s15, s[0:1], 0x60
	s_bfe_u32 s2, ttmp6, 0x40014
	s_lshr_b32 s3, ttmp7, 16
	s_add_co_i32 s2, s2, 1
	s_bfe_u32 s8, ttmp6, 0x40008
	s_mul_i32 s2, s3, s2
	s_getreg_b32 s19, hwreg(HW_REG_IB_STS2, 6, 4)
	s_add_co_i32 s8, s8, s2
	s_cmp_eq_u32 s19, 0
	s_mov_b32 s21, 0
	s_cselect_b32 s20, s3, s8
	s_wait_kmcnt 0x0
	s_cmp_ge_u32 s20, s15
	s_cbranch_scc1 .LBB318_33
; %bb.4:
	s_clause 0x2
	s_load_b96 s[12:14], s[0:1], 0x10
	s_load_b32 s2, s[0:1], 0x30
	s_load_b96 s[16:18], s[0:1], 0x48
	v_and_b32_e32 v1, 0x3ff, v0
	v_bfe_u32 v7, v0, 10, 10
	s_clause 0x2
	s_load_b128 s[8:11], s[0:1], 0x20
	s_load_b64 s[22:23], s[0:1], 0x38
	s_load_b64 s[24:25], s[0:1], 0x58
	s_wait_xcnt 0x0
	s_bfe_u32 s1, ttmp6, 0x4000c
	s_bfe_u32 s3, ttmp6, 0x40010
	s_and_b32 s26, ttmp7, 0xffff
	s_add_co_i32 s1, s1, 1
	s_add_co_i32 s3, s3, 1
	v_lshl_add_u32 v2, v7, 4, v1
	s_and_b32 s0, ttmp6, 15
	s_mul_i32 s28, ttmp9, s1
	s_mul_i32 s29, s26, s3
	s_bfe_u32 s30, ttmp6, 0x40004
	s_add_co_i32 s0, s0, s28
	s_add_co_i32 s30, s30, s29
	v_dual_lshrrev_b32 v6, 3, v2 :: v_dual_bitop2_b32 v9, 31, v2 bitop3:0x40
	s_wait_kmcnt 0x0
	s_ashr_i32 s1, s14, 31
	s_ashr_i32 s3, s2, 31
	;; [unrolled: 1-line block ×3, first 2 shown]
	s_cmp_eq_u32 s19, 0
	v_lshl_add_u32 v29, v7, 5, 0x400
	s_cselect_b32 s0, ttmp9, s0
	s_cselect_b32 s19, s26, s30
	s_lshl_b32 s28, s0, 5
	s_delay_alu instid0(SALU_CYCLE_1) | instskip(SKIP_1) | instid1(SALU_CYCLE_1)
	v_dual_lshrrev_b32 v24, 5, v2 :: v_dual_bitop2_b32 v2, s28, v9 bitop3:0x54
	s_lshl_b32 s19, s19, 5
	v_dual_add_nc_u32 v4, s19, v6 :: v_dual_bitop2_b32 v25, 7, v0 bitop3:0x40
	s_mov_b32 s0, s14
	s_delay_alu instid0(VALU_DEP_2) | instskip(NEXT) | instid1(VALU_DEP_2)
	v_dual_ashrrev_i32 v3, 31, v2 :: v_dual_add_nc_u32 v8, s19, v7
	v_dual_lshlrev_b32 v0, 2, v9 :: v_dual_ashrrev_i32 v5, 31, v4
	s_delay_alu instid0(VALU_DEP_3) | instskip(NEXT) | instid1(VALU_DEP_3)
	v_lshlrev_b32_e32 v16, 2, v25
	v_mul_u64_e32 v[10:11], s[0:1], v[2:3]
	s_delay_alu instid0(VALU_DEP_4) | instskip(NEXT) | instid1(VALU_DEP_4)
	v_dual_add_nc_u32 v14, 16, v8 :: v_dual_ashrrev_i32 v9, 31, v8
	v_mul_u64_e32 v[12:13], s[2:3], v[4:5]
	s_mov_b32 s26, s18
	v_cmp_gt_i32_e64 s0, s4, v2
	s_delay_alu instid0(VALU_DEP_3)
	v_ashrrev_i32_e32 v15, 31, v14
	v_cmp_gt_i32_e64 s1, s4, v4
	v_mul_u64_e32 v[2:3], s[26:27], v[8:9]
	s_cmp_neq_f32 s6, 0
	v_lshl_or_b32 v26, v24, 7, v0
	v_mul_u64_e32 v[4:5], s[26:27], v[14:15]
	v_lshl_or_b32 v6, v6, 5, v16
	s_cselect_b32 s29, -1, 0
	s_cmp_gt_i32 s5, 0
	v_dual_add_nc_u32 v0, s28, v1 :: v_dual_lshlrev_b32 v28, 2, v1
	s_cselect_b32 s30, -1, 0
	s_cmp_neq_f32 s7, 0
	v_add_nc_u32_e32 v27, 0x400, v6
	s_delay_alu instid0(VALU_DEP_2)
	v_dual_add_nc_u32 v6, 16, v0 :: v_dual_ashrrev_i32 v1, 31, v0
	v_mov_b32_e32 v9, 0
	s_cselect_b32 s14, -1, 0
	s_lshl_b64 s[8:9], s[8:9], 2
	v_cmp_le_i32_e32 vcc_lo, v8, v0
	v_cmp_gt_i32_e64 s2, s4, v0
	v_cmp_le_i32_e64 s3, v8, v6
	v_cmp_gt_i32_e64 s4, s4, v6
	v_dual_mov_b32 v17, v9 :: v_dual_lshlrev_b32 v8, 2, v24
	v_ashrrev_i32_e32 v7, 31, v6
	v_lshl_add_u64 v[10:11], v[10:11], 2, s[8:9]
	s_lshl_b64 s[8:9], s[22:23], 2
	s_and_b32 s18, vcc_lo, s2
	v_lshl_add_u64 v[12:13], v[12:13], 2, s[8:9]
	s_and_b32 s19, s3, s4
	v_cmp_le_i32_e32 vcc_lo, v14, v0
	v_cmp_le_i32_e64 s3, v14, v6
	v_add_nc_u64_e32 v[10:11], v[10:11], v[8:9]
	v_add_nc_u64_e32 v[12:13], v[12:13], v[16:17]
	s_and_b32 s8, s29, s30
	s_and_b32 s9, vcc_lo, s2
	s_and_b32 s4, s3, s4
	s_lshl_b64 s[2:3], s[24:25], 2
	s_branch .LBB318_6
.LBB318_5:                              ;   in Loop: Header=BB318_6 Depth=1
	s_wait_xcnt 0x0
	s_or_b32 exec_lo, exec_lo, s22
	s_add_co_i32 s20, s20, 0x10000
	s_delay_alu instid0(SALU_CYCLE_1)
	s_cmp_lt_u32 s20, s15
	s_cbranch_scc0 .LBB318_33
.LBB318_6:                              ; =>This Loop Header: Depth=1
                                        ;     Child Loop BB318_9 Depth 2
	v_dual_mov_b32 v8, s20 :: v_dual_mov_b32 v23, 0
	v_dual_mov_b32 v22, 0 :: v_dual_mov_b32 v15, 0
	v_mov_b32_e32 v14, 0
	global_load_b64 v[16:17], v8, s[16:17] scale_offset
	s_and_not1_b32 vcc_lo, exec_lo, s8
	s_cbranch_vccnz .LBB318_13
; %bb.7:                                ;   in Loop: Header=BB318_6 Depth=1
	s_lshl_b64 s[22:23], s[20:21], 3
	v_mov_b32_e32 v14, 0
	s_add_nc_u64 s[24:25], s[12:13], s[22:23]
	s_add_nc_u64 s[22:23], s[10:11], s[22:23]
	s_clause 0x1
	global_load_b64 v[18:19], v9, s[24:25]
	global_load_b64 v[20:21], v9, s[22:23]
	s_wait_xcnt 0x0
	s_mov_b32 s22, 0
	v_dual_mov_b32 v15, v14 :: v_dual_mov_b32 v22, v14
	v_mov_b32_e32 v23, v14
	s_wait_loadcnt 0x1
	v_add_nc_u64_e32 v[18:19], v[18:19], v[10:11]
	s_wait_loadcnt 0x0
	v_add_nc_u64_e32 v[20:21], v[20:21], v[12:13]
	s_branch .LBB318_9
.LBB318_8:                              ;   in Loop: Header=BB318_9 Depth=2
	s_wait_xcnt 0x0
	s_or_b32 exec_lo, exec_lo, s23
	s_wait_loadcnt_dscnt 0x0
	ds_store_b32 v27, v30
	s_wait_dscnt 0x0
	s_barrier_signal -1
	s_barrier_wait -1
	ds_load_b128 v[30:33], v29
	ds_load_2addr_b32 v[46:47], v28 offset1:16
	ds_load_b128 v[34:37], v29 offset:512
	ds_load_2addr_b32 v[48:49], v28 offset0:32 offset1:48
	ds_load_2addr_b32 v[50:51], v28 offset0:64 offset1:80
	;; [unrolled: 1-line block ×3, first 2 shown]
	ds_load_b128 v[38:41], v29 offset:16
	ds_load_2addr_b32 v[54:55], v28 offset0:128 offset1:144
	ds_load_b128 v[42:45], v29 offset:528
	v_add_nc_u64_e32 v[18:19], 32, v[18:19]
	v_add_nc_u64_e32 v[20:21], 32, v[20:21]
	s_add_co_i32 s22, s22, 8
	s_delay_alu instid0(SALU_CYCLE_1)
	s_cmp_lt_i32 s22, s5
	s_wait_dscnt 0x8
	v_mov_b32_e32 v8, v33
	s_wait_dscnt 0x7
	v_pk_fma_f32 v[22:23], v[46:47], v[30:31], v[22:23] op_sel_hi:[1,0,1]
	s_wait_dscnt 0x6
	v_pk_fma_f32 v[14:15], v[46:47], v[34:35], v[14:15] op_sel_hi:[1,0,1]
	ds_load_2addr_b32 v[46:47], v28 offset0:160 offset1:176
	s_wait_dscnt 0x6
	v_pk_fma_f32 v[22:23], v[48:49], v[30:31], v[22:23] op_sel:[0,1,0]
	v_pk_fma_f32 v[14:15], v[48:49], v[34:35], v[14:15] op_sel:[0,1,0]
	ds_load_2addr_b32 v[30:31], v28 offset0:192 offset1:208
	v_mov_b32_e32 v34, v37
	s_wait_dscnt 0x6
	v_pk_fma_f32 v[22:23], v[50:51], v[32:33], v[22:23] op_sel_hi:[1,0,1]
	v_pk_fma_f32 v[14:15], v[50:51], v[36:37], v[14:15] op_sel_hi:[1,0,1]
	ds_load_2addr_b32 v[32:33], v28 offset0:224 offset1:240
	s_wait_dscnt 0x0
	s_barrier_signal -1
	v_pk_fma_f32 v[22:23], v[52:53], v[8:9], v[22:23] op_sel_hi:[1,0,1]
	v_pk_fma_f32 v[14:15], v[52:53], v[34:35], v[14:15] op_sel_hi:[1,0,1]
	v_dual_mov_b32 v8, v41 :: v_dual_mov_b32 v34, v45
	s_barrier_wait -1
	s_delay_alu instid0(VALU_DEP_3) | instskip(NEXT) | instid1(VALU_DEP_3)
	v_pk_fma_f32 v[22:23], v[54:55], v[38:39], v[22:23] op_sel_hi:[1,0,1]
	v_pk_fma_f32 v[14:15], v[54:55], v[42:43], v[14:15] op_sel_hi:[1,0,1]
	s_delay_alu instid0(VALU_DEP_2) | instskip(NEXT) | instid1(VALU_DEP_2)
	v_pk_fma_f32 v[22:23], v[46:47], v[38:39], v[22:23] op_sel:[0,1,0]
	v_pk_fma_f32 v[14:15], v[46:47], v[42:43], v[14:15] op_sel:[0,1,0]
	s_delay_alu instid0(VALU_DEP_2) | instskip(NEXT) | instid1(VALU_DEP_2)
	v_pk_fma_f32 v[22:23], v[30:31], v[40:41], v[22:23] op_sel_hi:[1,0,1]
	v_pk_fma_f32 v[14:15], v[30:31], v[44:45], v[14:15] op_sel_hi:[1,0,1]
	s_delay_alu instid0(VALU_DEP_2) | instskip(NEXT) | instid1(VALU_DEP_2)
	v_pk_fma_f32 v[22:23], v[32:33], v[8:9], v[22:23] op_sel_hi:[1,0,1]
	v_pk_fma_f32 v[14:15], v[32:33], v[34:35], v[14:15] op_sel_hi:[1,0,1]
	s_cbranch_scc0 .LBB318_13
.LBB318_9:                              ;   Parent Loop BB318_6 Depth=1
                                        ; =>  This Inner Loop Header: Depth=2
	v_add_nc_u32_e32 v8, s22, v24
	s_delay_alu instid0(VALU_DEP_1) | instskip(SKIP_2) | instid1(SALU_CYCLE_1)
	v_cmp_gt_i32_e32 vcc_lo, s5, v8
	v_mov_b32_e32 v8, 0
	s_and_b32 s24, s0, vcc_lo
	s_and_saveexec_b32 s23, s24
	s_cbranch_execz .LBB318_11
; %bb.10:                               ;   in Loop: Header=BB318_9 Depth=2
	flat_load_b32 v8, v[18:19]
.LBB318_11:                             ;   in Loop: Header=BB318_9 Depth=2
	s_wait_xcnt 0x0
	s_or_b32 exec_lo, exec_lo, s23
	v_add_nc_u32_e32 v30, s22, v25
	s_wait_loadcnt_dscnt 0x0
	ds_store_b32 v26, v8
	v_cmp_gt_i32_e32 vcc_lo, s5, v30
	v_mov_b32_e32 v30, 0
	s_and_b32 s24, vcc_lo, s1
	s_delay_alu instid0(SALU_CYCLE_1)
	s_and_saveexec_b32 s23, s24
	s_cbranch_execz .LBB318_8
; %bb.12:                               ;   in Loop: Header=BB318_9 Depth=2
	flat_load_b32 v30, v[20:21]
	s_branch .LBB318_8
.LBB318_13:                             ;   in Loop: Header=BB318_6 Depth=1
	s_wait_loadcnt 0x0
	v_add_nc_u64_e32 v[16:17], s[2:3], v[16:17]
	s_delay_alu instid0(VALU_DEP_1)
	v_lshl_add_u64 v[18:19], v[2:3], 2, v[16:17]
	s_wait_xcnt 0x0
	s_and_saveexec_b32 s22, s18
	s_cbranch_execz .LBB318_17
; %bb.14:                               ;   in Loop: Header=BB318_6 Depth=1
	v_mul_f32_e32 v8, s6, v22
	v_lshl_add_u64 v[20:21], v[0:1], 2, v[18:19]
	s_and_b32 vcc_lo, exec_lo, s14
	s_cbranch_vccz .LBB318_28
; %bb.15:                               ;   in Loop: Header=BB318_6 Depth=1
	flat_load_b32 v22, v[20:21]
	s_wait_loadcnt_dscnt 0x0
	v_fma_f32 v22, s7, v22, v8
	flat_store_b32 v[20:21], v22
	s_cbranch_execnz .LBB318_17
.LBB318_16:                             ;   in Loop: Header=BB318_6 Depth=1
	flat_store_b32 v[20:21], v8
.LBB318_17:                             ;   in Loop: Header=BB318_6 Depth=1
	s_wait_xcnt 0x0
	s_or_b32 exec_lo, exec_lo, s22
	s_and_saveexec_b32 s22, s19
	s_cbranch_execz .LBB318_21
; %bb.18:                               ;   in Loop: Header=BB318_6 Depth=1
	v_mul_f32_e32 v8, s6, v23
	v_lshl_add_u64 v[18:19], v[6:7], 2, v[18:19]
	s_and_not1_b32 vcc_lo, exec_lo, s14
	s_cbranch_vccnz .LBB318_29
; %bb.19:                               ;   in Loop: Header=BB318_6 Depth=1
	flat_load_b32 v20, v[18:19]
	s_wait_loadcnt_dscnt 0x0
	v_fma_f32 v20, s7, v20, v8
	flat_store_b32 v[18:19], v20
	s_cbranch_execnz .LBB318_21
.LBB318_20:                             ;   in Loop: Header=BB318_6 Depth=1
	flat_store_b32 v[18:19], v8
.LBB318_21:                             ;   in Loop: Header=BB318_6 Depth=1
	s_wait_xcnt 0x0
	s_or_b32 exec_lo, exec_lo, s22
	v_lshl_add_u64 v[16:17], v[4:5], 2, v[16:17]
	s_and_saveexec_b32 s22, s9
	s_cbranch_execz .LBB318_25
; %bb.22:                               ;   in Loop: Header=BB318_6 Depth=1
	v_mul_f32_e32 v8, s6, v14
	s_delay_alu instid0(VALU_DEP_2)
	v_lshl_add_u64 v[18:19], v[0:1], 2, v[16:17]
	s_and_not1_b32 vcc_lo, exec_lo, s14
	s_cbranch_vccnz .LBB318_30
; %bb.23:                               ;   in Loop: Header=BB318_6 Depth=1
	flat_load_b32 v14, v[18:19]
	s_wait_loadcnt_dscnt 0x0
	v_fma_f32 v14, s7, v14, v8
	flat_store_b32 v[18:19], v14
	s_cbranch_execnz .LBB318_25
.LBB318_24:                             ;   in Loop: Header=BB318_6 Depth=1
	flat_store_b32 v[18:19], v8
.LBB318_25:                             ;   in Loop: Header=BB318_6 Depth=1
	s_wait_xcnt 0x0
	s_or_b32 exec_lo, exec_lo, s22
	s_and_saveexec_b32 s22, s4
	s_cbranch_execz .LBB318_5
; %bb.26:                               ;   in Loop: Header=BB318_6 Depth=1
	v_mul_f32_e32 v8, s6, v15
	v_lshl_add_u64 v[14:15], v[6:7], 2, v[16:17]
	s_and_not1_b32 vcc_lo, exec_lo, s14
	s_cbranch_vccnz .LBB318_31
; %bb.27:                               ;   in Loop: Header=BB318_6 Depth=1
	flat_load_b32 v16, v[14:15]
	s_wait_loadcnt_dscnt 0x0
	v_fma_f32 v16, s7, v16, v8
	flat_store_b32 v[14:15], v16
	s_cbranch_execnz .LBB318_5
	s_branch .LBB318_32
.LBB318_28:                             ;   in Loop: Header=BB318_6 Depth=1
	s_branch .LBB318_16
.LBB318_29:                             ;   in Loop: Header=BB318_6 Depth=1
	s_branch .LBB318_20
.LBB318_30:                             ;   in Loop: Header=BB318_6 Depth=1
	s_branch .LBB318_24
.LBB318_31:                             ;   in Loop: Header=BB318_6 Depth=1
.LBB318_32:                             ;   in Loop: Header=BB318_6 Depth=1
	flat_store_b32 v[14:15], v8
	s_branch .LBB318_5
.LBB318_33:
	s_endpgm
	.section	.rodata,"a",@progbits
	.p2align	6, 0x0
	.amdhsa_kernel _ZL29rocblas_internal_gemmt_kernelIiLi16ELi32ELi8ELc84ELc78ELc76ELb0ELb0EffPKPKfPKPfEviT_T9_T10_S7_lS9_S7_lS8_T11_S7_li
		.amdhsa_group_segment_fixed_size 2048
		.amdhsa_private_segment_fixed_size 0
		.amdhsa_kernarg_size 100
		.amdhsa_user_sgpr_count 2
		.amdhsa_user_sgpr_dispatch_ptr 0
		.amdhsa_user_sgpr_queue_ptr 0
		.amdhsa_user_sgpr_kernarg_segment_ptr 1
		.amdhsa_user_sgpr_dispatch_id 0
		.amdhsa_user_sgpr_kernarg_preload_length 0
		.amdhsa_user_sgpr_kernarg_preload_offset 0
		.amdhsa_user_sgpr_private_segment_size 0
		.amdhsa_wavefront_size32 1
		.amdhsa_uses_dynamic_stack 0
		.amdhsa_enable_private_segment 0
		.amdhsa_system_sgpr_workgroup_id_x 1
		.amdhsa_system_sgpr_workgroup_id_y 1
		.amdhsa_system_sgpr_workgroup_id_z 1
		.amdhsa_system_sgpr_workgroup_info 0
		.amdhsa_system_vgpr_workitem_id 1
		.amdhsa_next_free_vgpr 56
		.amdhsa_next_free_sgpr 31
		.amdhsa_named_barrier_count 0
		.amdhsa_reserve_vcc 1
		.amdhsa_float_round_mode_32 0
		.amdhsa_float_round_mode_16_64 0
		.amdhsa_float_denorm_mode_32 3
		.amdhsa_float_denorm_mode_16_64 3
		.amdhsa_fp16_overflow 0
		.amdhsa_memory_ordered 1
		.amdhsa_forward_progress 1
		.amdhsa_inst_pref_size 14
		.amdhsa_round_robin_scheduling 0
		.amdhsa_exception_fp_ieee_invalid_op 0
		.amdhsa_exception_fp_denorm_src 0
		.amdhsa_exception_fp_ieee_div_zero 0
		.amdhsa_exception_fp_ieee_overflow 0
		.amdhsa_exception_fp_ieee_underflow 0
		.amdhsa_exception_fp_ieee_inexact 0
		.amdhsa_exception_int_div_zero 0
	.end_amdhsa_kernel
	.section	.text._ZL29rocblas_internal_gemmt_kernelIiLi16ELi32ELi8ELc84ELc78ELc76ELb0ELb0EffPKPKfPKPfEviT_T9_T10_S7_lS9_S7_lS8_T11_S7_li,"axG",@progbits,_ZL29rocblas_internal_gemmt_kernelIiLi16ELi32ELi8ELc84ELc78ELc76ELb0ELb0EffPKPKfPKPfEviT_T9_T10_S7_lS9_S7_lS8_T11_S7_li,comdat
.Lfunc_end318:
	.size	_ZL29rocblas_internal_gemmt_kernelIiLi16ELi32ELi8ELc84ELc78ELc76ELb0ELb0EffPKPKfPKPfEviT_T9_T10_S7_lS9_S7_lS8_T11_S7_li, .Lfunc_end318-_ZL29rocblas_internal_gemmt_kernelIiLi16ELi32ELi8ELc84ELc78ELc76ELb0ELb0EffPKPKfPKPfEviT_T9_T10_S7_lS9_S7_lS8_T11_S7_li
                                        ; -- End function
	.set _ZL29rocblas_internal_gemmt_kernelIiLi16ELi32ELi8ELc84ELc78ELc76ELb0ELb0EffPKPKfPKPfEviT_T9_T10_S7_lS9_S7_lS8_T11_S7_li.num_vgpr, 56
	.set _ZL29rocblas_internal_gemmt_kernelIiLi16ELi32ELi8ELc84ELc78ELc76ELb0ELb0EffPKPKfPKPfEviT_T9_T10_S7_lS9_S7_lS8_T11_S7_li.num_agpr, 0
	.set _ZL29rocblas_internal_gemmt_kernelIiLi16ELi32ELi8ELc84ELc78ELc76ELb0ELb0EffPKPKfPKPfEviT_T9_T10_S7_lS9_S7_lS8_T11_S7_li.numbered_sgpr, 31
	.set _ZL29rocblas_internal_gemmt_kernelIiLi16ELi32ELi8ELc84ELc78ELc76ELb0ELb0EffPKPKfPKPfEviT_T9_T10_S7_lS9_S7_lS8_T11_S7_li.num_named_barrier, 0
	.set _ZL29rocblas_internal_gemmt_kernelIiLi16ELi32ELi8ELc84ELc78ELc76ELb0ELb0EffPKPKfPKPfEviT_T9_T10_S7_lS9_S7_lS8_T11_S7_li.private_seg_size, 0
	.set _ZL29rocblas_internal_gemmt_kernelIiLi16ELi32ELi8ELc84ELc78ELc76ELb0ELb0EffPKPKfPKPfEviT_T9_T10_S7_lS9_S7_lS8_T11_S7_li.uses_vcc, 1
	.set _ZL29rocblas_internal_gemmt_kernelIiLi16ELi32ELi8ELc84ELc78ELc76ELb0ELb0EffPKPKfPKPfEviT_T9_T10_S7_lS9_S7_lS8_T11_S7_li.uses_flat_scratch, 0
	.set _ZL29rocblas_internal_gemmt_kernelIiLi16ELi32ELi8ELc84ELc78ELc76ELb0ELb0EffPKPKfPKPfEviT_T9_T10_S7_lS9_S7_lS8_T11_S7_li.has_dyn_sized_stack, 0
	.set _ZL29rocblas_internal_gemmt_kernelIiLi16ELi32ELi8ELc84ELc78ELc76ELb0ELb0EffPKPKfPKPfEviT_T9_T10_S7_lS9_S7_lS8_T11_S7_li.has_recursion, 0
	.set _ZL29rocblas_internal_gemmt_kernelIiLi16ELi32ELi8ELc84ELc78ELc76ELb0ELb0EffPKPKfPKPfEviT_T9_T10_S7_lS9_S7_lS8_T11_S7_li.has_indirect_call, 0
	.section	.AMDGPU.csdata,"",@progbits
; Kernel info:
; codeLenInByte = 1680
; TotalNumSgprs: 33
; NumVgprs: 56
; ScratchSize: 0
; MemoryBound: 0
; FloatMode: 240
; IeeeMode: 1
; LDSByteSize: 2048 bytes/workgroup (compile time only)
; SGPRBlocks: 0
; VGPRBlocks: 3
; NumSGPRsForWavesPerEU: 33
; NumVGPRsForWavesPerEU: 56
; NamedBarCnt: 0
; Occupancy: 16
; WaveLimiterHint : 1
; COMPUTE_PGM_RSRC2:SCRATCH_EN: 0
; COMPUTE_PGM_RSRC2:USER_SGPR: 2
; COMPUTE_PGM_RSRC2:TRAP_HANDLER: 0
; COMPUTE_PGM_RSRC2:TGID_X_EN: 1
; COMPUTE_PGM_RSRC2:TGID_Y_EN: 1
; COMPUTE_PGM_RSRC2:TGID_Z_EN: 1
; COMPUTE_PGM_RSRC2:TIDIG_COMP_CNT: 1
	.section	.text._ZL29rocblas_internal_gemmt_kernelIiLi16ELi32ELi8ELc84ELc84ELc76ELb0ELb0EffPKPKfPKPfEviT_T9_T10_S7_lS9_S7_lS8_T11_S7_li,"axG",@progbits,_ZL29rocblas_internal_gemmt_kernelIiLi16ELi32ELi8ELc84ELc84ELc76ELb0ELb0EffPKPKfPKPfEviT_T9_T10_S7_lS9_S7_lS8_T11_S7_li,comdat
	.globl	_ZL29rocblas_internal_gemmt_kernelIiLi16ELi32ELi8ELc84ELc84ELc76ELb0ELb0EffPKPKfPKPfEviT_T9_T10_S7_lS9_S7_lS8_T11_S7_li ; -- Begin function _ZL29rocblas_internal_gemmt_kernelIiLi16ELi32ELi8ELc84ELc84ELc76ELb0ELb0EffPKPKfPKPfEviT_T9_T10_S7_lS9_S7_lS8_T11_S7_li
	.p2align	8
	.type	_ZL29rocblas_internal_gemmt_kernelIiLi16ELi32ELi8ELc84ELc84ELc76ELb0ELb0EffPKPKfPKPfEviT_T9_T10_S7_lS9_S7_lS8_T11_S7_li,@function
_ZL29rocblas_internal_gemmt_kernelIiLi16ELi32ELi8ELc84ELc84ELc76ELb0ELb0EffPKPKfPKPfEviT_T9_T10_S7_lS9_S7_lS8_T11_S7_li: ; @_ZL29rocblas_internal_gemmt_kernelIiLi16ELi32ELi8ELc84ELc84ELc76ELb0ELb0EffPKPKfPKPfEviT_T9_T10_S7_lS9_S7_lS8_T11_S7_li
; %bb.0:
	s_clause 0x1
	s_load_b32 s7, s[0:1], 0x40
	s_load_b96 s[4:6], s[0:1], 0x0
	s_wait_kmcnt 0x0
	s_cmp_neq_f32 s7, 1.0
	s_cselect_b32 s2, -1, 0
	s_delay_alu instid0(SALU_CYCLE_1)
	s_and_b32 vcc_lo, exec_lo, s2
	s_cbranch_vccnz .LBB319_2
; %bb.1:
	s_cmp_lg_u32 s5, 0
	s_cselect_b32 s2, -1, 0
	s_cmp_neq_f32 s6, 0
	s_cselect_b32 s3, -1, 0
	s_delay_alu instid0(SALU_CYCLE_1)
	s_and_b32 s2, s2, s3
.LBB319_2:
	s_delay_alu instid0(SALU_CYCLE_1)
	s_and_not1_b32 vcc_lo, exec_lo, s2
	s_cbranch_vccnz .LBB319_33
; %bb.3:
	s_load_b32 s15, s[0:1], 0x60
	s_bfe_u32 s2, ttmp6, 0x40014
	s_lshr_b32 s3, ttmp7, 16
	s_add_co_i32 s2, s2, 1
	s_bfe_u32 s9, ttmp6, 0x40008
	s_mul_i32 s8, s3, s2
	s_getreg_b32 s2, hwreg(HW_REG_IB_STS2, 6, 4)
	s_add_co_i32 s9, s9, s8
	s_cmp_eq_u32 s2, 0
	s_mov_b32 s21, 0
	s_cselect_b32 s20, s3, s9
	s_wait_kmcnt 0x0
	s_cmp_ge_u32 s20, s15
	s_cbranch_scc1 .LBB319_33
; %bb.4:
	s_clause 0x2
	s_load_b96 s[12:14], s[0:1], 0x10
	s_load_b32 s22, s[0:1], 0x30
	s_load_b96 s[16:18], s[0:1], 0x48
	v_and_b32_e32 v2, 0x3ff, v0
	v_bfe_u32 v11, v0, 10, 10
	s_clause 0x2
	s_load_b128 s[8:11], s[0:1], 0x20
	s_load_b64 s[24:25], s[0:1], 0x38
	s_load_b64 s[26:27], s[0:1], 0x58
	s_wait_xcnt 0x0
	s_bfe_u32 s0, ttmp6, 0x4000c
	s_bfe_u32 s1, ttmp6, 0x40010
	s_and_b32 s28, ttmp7, 0xffff
	s_add_co_i32 s29, s0, 1
	s_add_co_i32 s30, s1, 1
	v_lshl_add_u32 v1, v11, 4, v2
	s_and_b32 s19, ttmp6, 15
	v_and_b32_e32 v0, 7, v0
	v_lshl_add_u32 v29, v11, 5, 0x400
	s_delay_alu instid0(VALU_DEP_3)
	v_dual_mov_b32 v3, 0 :: v_dual_bitop2_b32 v6, 31, v1 bitop3:0x40
	v_dual_lshrrev_b32 v7, 3, v1 :: v_dual_lshrrev_b32 v26, 5, v1
	v_lshlrev_b32_e32 v28, 2, v2
	s_wait_kmcnt 0x0
	s_ashr_i32 s1, s14, 31
	s_mov_b32 s0, s14
	s_mul_i32 s14, ttmp9, s29
	s_mul_i32 s29, s28, s30
	s_bfe_u32 s30, ttmp6, 0x40004
	s_ashr_i32 s23, s22, 31
	s_ashr_i32 s3, s18, 31
	s_add_co_i32 s19, s19, s14
	s_add_co_i32 s30, s30, s29
	s_cmp_eq_u32 s2, 0
	s_cselect_b32 s2, ttmp9, s19
	s_cselect_b32 s14, s28, s30
	s_lshl_b32 s19, s2, 5
	s_lshl_b32 s14, s14, 5
	v_dual_mov_b32 v1, v3 :: v_dual_bitop2_b32 v4, s19, v6 bitop3:0x54
	v_add_nc_u32_e32 v12, s14, v11
	v_add_nc_u32_e32 v14, s14, v7
	s_mov_b32 s2, s18
	s_delay_alu instid0(VALU_DEP_3) | instskip(SKIP_3) | instid1(VALU_DEP_4)
	v_ashrrev_i32_e32 v5, 31, v4
	v_mul_u64_e32 v[18:19], s[22:23], v[0:1]
	v_dual_add_nc_u32 v20, 16, v12 :: v_dual_ashrrev_i32 v13, 31, v12
	v_ashrrev_i32_e32 v15, 31, v14
	v_mul_u64_e32 v[16:17], s[0:1], v[4:5]
	v_dual_lshlrev_b32 v5, 2, v6 :: v_dual_lshlrev_b32 v6, 2, v0
	s_delay_alu instid0(VALU_DEP_4) | instskip(SKIP_2) | instid1(VALU_DEP_4)
	v_ashrrev_i32_e32 v21, 31, v20
	v_cmp_gt_i32_e64 s0, s4, v4
	v_add_nc_u32_e32 v4, s19, v2
	v_lshl_or_b32 v1, v26, 7, v5
	v_lshl_or_b32 v5, v7, 5, v6
	v_mul_u64_e32 v[6:7], s[2:3], v[12:13]
	v_mul_u64_e32 v[8:9], s[2:3], v[20:21]
	s_cmp_neq_f32 s6, 0
	v_add_nc_u32_e32 v10, 16, v4
	v_cmp_le_i32_e32 vcc_lo, v12, v4
	v_cmp_gt_i32_e64 s2, s4, v4
	s_cselect_b32 s28, -1, 0
	s_cmp_gt_i32 s5, 0
	v_add_nc_u32_e32 v27, 0x400, v5
	s_cselect_b32 s29, -1, 0
	s_cmp_neq_f32 s7, 0
	v_ashrrev_i32_e32 v5, 31, v4
	v_cmp_le_i32_e64 s3, v12, v10
	v_lshlrev_b32_e32 v2, 2, v26
	s_cselect_b32 s14, -1, 0
	s_lshl_b64 s[8:9], s[8:9], 2
	s_and_b32 s18, vcc_lo, s2
	v_cmp_le_i32_e32 vcc_lo, v20, v4
	v_cmp_gt_i32_e64 s1, s4, v14
	v_cmp_gt_i32_e64 s4, s4, v10
	v_ashrrev_i32_e32 v11, 31, v10
	v_lshl_add_u64 v[12:13], v[16:17], 2, s[8:9]
	s_lshl_b64 s[8:9], s[24:25], 2
	s_and_b32 s24, vcc_lo, s2
	v_lshl_add_u64 v[16:17], v[18:19], 2, s[8:9]
	v_cmp_le_i32_e32 vcc_lo, v20, v10
	v_add_nc_u64_e32 v[12:13], v[12:13], v[2:3]
	s_and_b32 s19, s3, s4
	s_and_b32 s25, s28, s29
	v_lshl_add_u64 v[14:15], v[14:15], 2, v[16:17]
	s_and_b32 s4, vcc_lo, s4
	s_lshl_b64 s[2:3], s[22:23], 5
	s_lshl_b64 s[8:9], s[26:27], 2
	s_branch .LBB319_6
.LBB319_5:                              ;   in Loop: Header=BB319_6 Depth=1
	s_wait_xcnt 0x0
	s_or_b32 exec_lo, exec_lo, s22
	s_add_co_i32 s20, s20, 0x10000
	s_delay_alu instid0(SALU_CYCLE_1)
	s_cmp_lt_u32 s20, s15
	s_cbranch_scc0 .LBB319_33
.LBB319_6:                              ; =>This Loop Header: Depth=1
                                        ;     Child Loop BB319_9 Depth 2
	v_dual_mov_b32 v2, s20 :: v_dual_mov_b32 v25, 0
	v_dual_mov_b32 v24, 0 :: v_dual_mov_b32 v17, 0
	v_mov_b32_e32 v16, 0
	global_load_b64 v[18:19], v2, s[16:17] scale_offset
	s_and_not1_b32 vcc_lo, exec_lo, s25
	s_cbranch_vccnz .LBB319_13
; %bb.7:                                ;   in Loop: Header=BB319_6 Depth=1
	s_lshl_b64 s[22:23], s[20:21], 3
	v_mov_b32_e32 v16, 0
	s_add_nc_u64 s[26:27], s[12:13], s[22:23]
	s_add_nc_u64 s[22:23], s[10:11], s[22:23]
	s_clause 0x1
	global_load_b64 v[20:21], v3, s[26:27]
	global_load_b64 v[22:23], v3, s[22:23]
	s_wait_xcnt 0x0
	s_mov_b32 s22, 0
	v_dual_mov_b32 v17, v16 :: v_dual_mov_b32 v24, v16
	v_mov_b32_e32 v25, v16
	s_wait_loadcnt 0x1
	v_add_nc_u64_e32 v[20:21], v[20:21], v[12:13]
	s_wait_loadcnt 0x0
	v_add_nc_u64_e32 v[22:23], v[22:23], v[14:15]
	s_branch .LBB319_9
.LBB319_8:                              ;   in Loop: Header=BB319_9 Depth=2
	s_wait_xcnt 0x0
	s_or_b32 exec_lo, exec_lo, s23
	s_wait_loadcnt_dscnt 0x0
	ds_store_b32 v27, v30
	s_wait_dscnt 0x0
	s_barrier_signal -1
	s_barrier_wait -1
	ds_load_b128 v[30:33], v29
	ds_load_2addr_b32 v[46:47], v28 offset1:16
	ds_load_b128 v[34:37], v29 offset:512
	ds_load_2addr_b32 v[48:49], v28 offset0:32 offset1:48
	ds_load_2addr_b32 v[50:51], v28 offset0:64 offset1:80
	;; [unrolled: 1-line block ×3, first 2 shown]
	ds_load_b128 v[38:41], v29 offset:16
	ds_load_2addr_b32 v[54:55], v28 offset0:128 offset1:144
	ds_load_b128 v[42:45], v29 offset:528
	v_add_nc_u64_e32 v[20:21], 32, v[20:21]
	v_add_nc_u64_e32 v[22:23], s[2:3], v[22:23]
	s_add_co_i32 s22, s22, 8
	s_delay_alu instid0(SALU_CYCLE_1)
	s_cmp_lt_i32 s22, s5
	s_wait_dscnt 0x8
	v_mov_b32_e32 v2, v33
	s_wait_dscnt 0x7
	v_pk_fma_f32 v[24:25], v[46:47], v[30:31], v[24:25] op_sel_hi:[1,0,1]
	s_wait_dscnt 0x6
	v_pk_fma_f32 v[16:17], v[46:47], v[34:35], v[16:17] op_sel_hi:[1,0,1]
	ds_load_2addr_b32 v[46:47], v28 offset0:160 offset1:176
	s_wait_dscnt 0x6
	v_pk_fma_f32 v[24:25], v[48:49], v[30:31], v[24:25] op_sel:[0,1,0]
	v_pk_fma_f32 v[16:17], v[48:49], v[34:35], v[16:17] op_sel:[0,1,0]
	ds_load_2addr_b32 v[30:31], v28 offset0:192 offset1:208
	v_mov_b32_e32 v34, v37
	s_wait_dscnt 0x6
	v_pk_fma_f32 v[24:25], v[50:51], v[32:33], v[24:25] op_sel_hi:[1,0,1]
	v_pk_fma_f32 v[16:17], v[50:51], v[36:37], v[16:17] op_sel_hi:[1,0,1]
	ds_load_2addr_b32 v[32:33], v28 offset0:224 offset1:240
	s_wait_dscnt 0x0
	s_barrier_signal -1
	v_pk_fma_f32 v[24:25], v[52:53], v[2:3], v[24:25] op_sel_hi:[1,0,1]
	v_pk_fma_f32 v[16:17], v[52:53], v[34:35], v[16:17] op_sel_hi:[1,0,1]
	v_dual_mov_b32 v2, v41 :: v_dual_mov_b32 v34, v45
	s_barrier_wait -1
	s_delay_alu instid0(VALU_DEP_3) | instskip(NEXT) | instid1(VALU_DEP_3)
	v_pk_fma_f32 v[24:25], v[54:55], v[38:39], v[24:25] op_sel_hi:[1,0,1]
	v_pk_fma_f32 v[16:17], v[54:55], v[42:43], v[16:17] op_sel_hi:[1,0,1]
	s_delay_alu instid0(VALU_DEP_2) | instskip(NEXT) | instid1(VALU_DEP_2)
	v_pk_fma_f32 v[24:25], v[46:47], v[38:39], v[24:25] op_sel:[0,1,0]
	v_pk_fma_f32 v[16:17], v[46:47], v[42:43], v[16:17] op_sel:[0,1,0]
	s_delay_alu instid0(VALU_DEP_2) | instskip(NEXT) | instid1(VALU_DEP_2)
	v_pk_fma_f32 v[24:25], v[30:31], v[40:41], v[24:25] op_sel_hi:[1,0,1]
	v_pk_fma_f32 v[16:17], v[30:31], v[44:45], v[16:17] op_sel_hi:[1,0,1]
	s_delay_alu instid0(VALU_DEP_2) | instskip(NEXT) | instid1(VALU_DEP_2)
	v_pk_fma_f32 v[24:25], v[32:33], v[2:3], v[24:25] op_sel_hi:[1,0,1]
	v_pk_fma_f32 v[16:17], v[32:33], v[34:35], v[16:17] op_sel_hi:[1,0,1]
	s_cbranch_scc0 .LBB319_13
.LBB319_9:                              ;   Parent Loop BB319_6 Depth=1
                                        ; =>  This Inner Loop Header: Depth=2
	v_add_nc_u32_e32 v2, s22, v26
	s_delay_alu instid0(VALU_DEP_1) | instskip(SKIP_2) | instid1(SALU_CYCLE_1)
	v_cmp_gt_i32_e32 vcc_lo, s5, v2
	v_mov_b32_e32 v2, 0
	s_and_b32 s26, s0, vcc_lo
	s_and_saveexec_b32 s23, s26
	s_cbranch_execz .LBB319_11
; %bb.10:                               ;   in Loop: Header=BB319_9 Depth=2
	flat_load_b32 v2, v[20:21]
.LBB319_11:                             ;   in Loop: Header=BB319_9 Depth=2
	s_wait_xcnt 0x0
	s_or_b32 exec_lo, exec_lo, s23
	v_add_nc_u32_e32 v30, s22, v0
	s_wait_loadcnt_dscnt 0x0
	ds_store_b32 v1, v2
	v_cmp_gt_i32_e32 vcc_lo, s5, v30
	v_mov_b32_e32 v30, 0
	s_and_b32 s26, vcc_lo, s1
	s_delay_alu instid0(SALU_CYCLE_1)
	s_and_saveexec_b32 s23, s26
	s_cbranch_execz .LBB319_8
; %bb.12:                               ;   in Loop: Header=BB319_9 Depth=2
	flat_load_b32 v30, v[22:23]
	s_branch .LBB319_8
.LBB319_13:                             ;   in Loop: Header=BB319_6 Depth=1
	s_wait_loadcnt 0x0
	v_add_nc_u64_e32 v[18:19], s[8:9], v[18:19]
	s_delay_alu instid0(VALU_DEP_1)
	v_lshl_add_u64 v[20:21], v[6:7], 2, v[18:19]
	s_wait_xcnt 0x0
	s_and_saveexec_b32 s22, s18
	s_cbranch_execz .LBB319_17
; %bb.14:                               ;   in Loop: Header=BB319_6 Depth=1
	v_mul_f32_e32 v2, s6, v24
	v_lshl_add_u64 v[22:23], v[4:5], 2, v[20:21]
	s_and_b32 vcc_lo, exec_lo, s14
	s_cbranch_vccz .LBB319_28
; %bb.15:                               ;   in Loop: Header=BB319_6 Depth=1
	flat_load_b32 v24, v[22:23]
	s_wait_loadcnt_dscnt 0x0
	v_fma_f32 v24, s7, v24, v2
	flat_store_b32 v[22:23], v24
	s_cbranch_execnz .LBB319_17
.LBB319_16:                             ;   in Loop: Header=BB319_6 Depth=1
	flat_store_b32 v[22:23], v2
.LBB319_17:                             ;   in Loop: Header=BB319_6 Depth=1
	s_wait_xcnt 0x0
	s_or_b32 exec_lo, exec_lo, s22
	s_and_saveexec_b32 s22, s19
	s_cbranch_execz .LBB319_21
; %bb.18:                               ;   in Loop: Header=BB319_6 Depth=1
	v_mul_f32_e32 v2, s6, v25
	v_lshl_add_u64 v[20:21], v[10:11], 2, v[20:21]
	s_and_not1_b32 vcc_lo, exec_lo, s14
	s_cbranch_vccnz .LBB319_29
; %bb.19:                               ;   in Loop: Header=BB319_6 Depth=1
	flat_load_b32 v22, v[20:21]
	s_wait_loadcnt_dscnt 0x0
	v_fma_f32 v22, s7, v22, v2
	flat_store_b32 v[20:21], v22
	s_cbranch_execnz .LBB319_21
.LBB319_20:                             ;   in Loop: Header=BB319_6 Depth=1
	flat_store_b32 v[20:21], v2
.LBB319_21:                             ;   in Loop: Header=BB319_6 Depth=1
	s_wait_xcnt 0x0
	s_or_b32 exec_lo, exec_lo, s22
	v_lshl_add_u64 v[18:19], v[8:9], 2, v[18:19]
	s_and_saveexec_b32 s22, s24
	s_cbranch_execz .LBB319_25
; %bb.22:                               ;   in Loop: Header=BB319_6 Depth=1
	v_mul_f32_e32 v2, s6, v16
	s_delay_alu instid0(VALU_DEP_2)
	v_lshl_add_u64 v[20:21], v[4:5], 2, v[18:19]
	s_and_not1_b32 vcc_lo, exec_lo, s14
	s_cbranch_vccnz .LBB319_30
; %bb.23:                               ;   in Loop: Header=BB319_6 Depth=1
	flat_load_b32 v16, v[20:21]
	s_wait_loadcnt_dscnt 0x0
	v_fma_f32 v16, s7, v16, v2
	flat_store_b32 v[20:21], v16
	s_cbranch_execnz .LBB319_25
.LBB319_24:                             ;   in Loop: Header=BB319_6 Depth=1
	flat_store_b32 v[20:21], v2
.LBB319_25:                             ;   in Loop: Header=BB319_6 Depth=1
	s_wait_xcnt 0x0
	s_or_b32 exec_lo, exec_lo, s22
	s_and_saveexec_b32 s22, s4
	s_cbranch_execz .LBB319_5
; %bb.26:                               ;   in Loop: Header=BB319_6 Depth=1
	v_mul_f32_e32 v2, s6, v17
	v_lshl_add_u64 v[16:17], v[10:11], 2, v[18:19]
	s_and_not1_b32 vcc_lo, exec_lo, s14
	s_cbranch_vccnz .LBB319_31
; %bb.27:                               ;   in Loop: Header=BB319_6 Depth=1
	flat_load_b32 v18, v[16:17]
	s_wait_loadcnt_dscnt 0x0
	v_fma_f32 v18, s7, v18, v2
	flat_store_b32 v[16:17], v18
	s_cbranch_execnz .LBB319_5
	s_branch .LBB319_32
.LBB319_28:                             ;   in Loop: Header=BB319_6 Depth=1
	s_branch .LBB319_16
.LBB319_29:                             ;   in Loop: Header=BB319_6 Depth=1
	s_branch .LBB319_20
.LBB319_30:                             ;   in Loop: Header=BB319_6 Depth=1
	s_branch .LBB319_24
.LBB319_31:                             ;   in Loop: Header=BB319_6 Depth=1
.LBB319_32:                             ;   in Loop: Header=BB319_6 Depth=1
	flat_store_b32 v[16:17], v2
	s_branch .LBB319_5
.LBB319_33:
	s_endpgm
	.section	.rodata,"a",@progbits
	.p2align	6, 0x0
	.amdhsa_kernel _ZL29rocblas_internal_gemmt_kernelIiLi16ELi32ELi8ELc84ELc84ELc76ELb0ELb0EffPKPKfPKPfEviT_T9_T10_S7_lS9_S7_lS8_T11_S7_li
		.amdhsa_group_segment_fixed_size 2048
		.amdhsa_private_segment_fixed_size 0
		.amdhsa_kernarg_size 100
		.amdhsa_user_sgpr_count 2
		.amdhsa_user_sgpr_dispatch_ptr 0
		.amdhsa_user_sgpr_queue_ptr 0
		.amdhsa_user_sgpr_kernarg_segment_ptr 1
		.amdhsa_user_sgpr_dispatch_id 0
		.amdhsa_user_sgpr_kernarg_preload_length 0
		.amdhsa_user_sgpr_kernarg_preload_offset 0
		.amdhsa_user_sgpr_private_segment_size 0
		.amdhsa_wavefront_size32 1
		.amdhsa_uses_dynamic_stack 0
		.amdhsa_enable_private_segment 0
		.amdhsa_system_sgpr_workgroup_id_x 1
		.amdhsa_system_sgpr_workgroup_id_y 1
		.amdhsa_system_sgpr_workgroup_id_z 1
		.amdhsa_system_sgpr_workgroup_info 0
		.amdhsa_system_vgpr_workitem_id 1
		.amdhsa_next_free_vgpr 56
		.amdhsa_next_free_sgpr 31
		.amdhsa_named_barrier_count 0
		.amdhsa_reserve_vcc 1
		.amdhsa_float_round_mode_32 0
		.amdhsa_float_round_mode_16_64 0
		.amdhsa_float_denorm_mode_32 3
		.amdhsa_float_denorm_mode_16_64 3
		.amdhsa_fp16_overflow 0
		.amdhsa_memory_ordered 1
		.amdhsa_forward_progress 1
		.amdhsa_inst_pref_size 13
		.amdhsa_round_robin_scheduling 0
		.amdhsa_exception_fp_ieee_invalid_op 0
		.amdhsa_exception_fp_denorm_src 0
		.amdhsa_exception_fp_ieee_div_zero 0
		.amdhsa_exception_fp_ieee_overflow 0
		.amdhsa_exception_fp_ieee_underflow 0
		.amdhsa_exception_fp_ieee_inexact 0
		.amdhsa_exception_int_div_zero 0
	.end_amdhsa_kernel
	.section	.text._ZL29rocblas_internal_gemmt_kernelIiLi16ELi32ELi8ELc84ELc84ELc76ELb0ELb0EffPKPKfPKPfEviT_T9_T10_S7_lS9_S7_lS8_T11_S7_li,"axG",@progbits,_ZL29rocblas_internal_gemmt_kernelIiLi16ELi32ELi8ELc84ELc84ELc76ELb0ELb0EffPKPKfPKPfEviT_T9_T10_S7_lS9_S7_lS8_T11_S7_li,comdat
.Lfunc_end319:
	.size	_ZL29rocblas_internal_gemmt_kernelIiLi16ELi32ELi8ELc84ELc84ELc76ELb0ELb0EffPKPKfPKPfEviT_T9_T10_S7_lS9_S7_lS8_T11_S7_li, .Lfunc_end319-_ZL29rocblas_internal_gemmt_kernelIiLi16ELi32ELi8ELc84ELc84ELc76ELb0ELb0EffPKPKfPKPfEviT_T9_T10_S7_lS9_S7_lS8_T11_S7_li
                                        ; -- End function
	.set _ZL29rocblas_internal_gemmt_kernelIiLi16ELi32ELi8ELc84ELc84ELc76ELb0ELb0EffPKPKfPKPfEviT_T9_T10_S7_lS9_S7_lS8_T11_S7_li.num_vgpr, 56
	.set _ZL29rocblas_internal_gemmt_kernelIiLi16ELi32ELi8ELc84ELc84ELc76ELb0ELb0EffPKPKfPKPfEviT_T9_T10_S7_lS9_S7_lS8_T11_S7_li.num_agpr, 0
	.set _ZL29rocblas_internal_gemmt_kernelIiLi16ELi32ELi8ELc84ELc84ELc76ELb0ELb0EffPKPKfPKPfEviT_T9_T10_S7_lS9_S7_lS8_T11_S7_li.numbered_sgpr, 31
	.set _ZL29rocblas_internal_gemmt_kernelIiLi16ELi32ELi8ELc84ELc84ELc76ELb0ELb0EffPKPKfPKPfEviT_T9_T10_S7_lS9_S7_lS8_T11_S7_li.num_named_barrier, 0
	.set _ZL29rocblas_internal_gemmt_kernelIiLi16ELi32ELi8ELc84ELc84ELc76ELb0ELb0EffPKPKfPKPfEviT_T9_T10_S7_lS9_S7_lS8_T11_S7_li.private_seg_size, 0
	.set _ZL29rocblas_internal_gemmt_kernelIiLi16ELi32ELi8ELc84ELc84ELc76ELb0ELb0EffPKPKfPKPfEviT_T9_T10_S7_lS9_S7_lS8_T11_S7_li.uses_vcc, 1
	.set _ZL29rocblas_internal_gemmt_kernelIiLi16ELi32ELi8ELc84ELc84ELc76ELb0ELb0EffPKPKfPKPfEviT_T9_T10_S7_lS9_S7_lS8_T11_S7_li.uses_flat_scratch, 0
	.set _ZL29rocblas_internal_gemmt_kernelIiLi16ELi32ELi8ELc84ELc84ELc76ELb0ELb0EffPKPKfPKPfEviT_T9_T10_S7_lS9_S7_lS8_T11_S7_li.has_dyn_sized_stack, 0
	.set _ZL29rocblas_internal_gemmt_kernelIiLi16ELi32ELi8ELc84ELc84ELc76ELb0ELb0EffPKPKfPKPfEviT_T9_T10_S7_lS9_S7_lS8_T11_S7_li.has_recursion, 0
	.set _ZL29rocblas_internal_gemmt_kernelIiLi16ELi32ELi8ELc84ELc84ELc76ELb0ELb0EffPKPKfPKPfEviT_T9_T10_S7_lS9_S7_lS8_T11_S7_li.has_indirect_call, 0
	.section	.AMDGPU.csdata,"",@progbits
; Kernel info:
; codeLenInByte = 1660
; TotalNumSgprs: 33
; NumVgprs: 56
; ScratchSize: 0
; MemoryBound: 0
; FloatMode: 240
; IeeeMode: 1
; LDSByteSize: 2048 bytes/workgroup (compile time only)
; SGPRBlocks: 0
; VGPRBlocks: 3
; NumSGPRsForWavesPerEU: 33
; NumVGPRsForWavesPerEU: 56
; NamedBarCnt: 0
; Occupancy: 16
; WaveLimiterHint : 1
; COMPUTE_PGM_RSRC2:SCRATCH_EN: 0
; COMPUTE_PGM_RSRC2:USER_SGPR: 2
; COMPUTE_PGM_RSRC2:TRAP_HANDLER: 0
; COMPUTE_PGM_RSRC2:TGID_X_EN: 1
; COMPUTE_PGM_RSRC2:TGID_Y_EN: 1
; COMPUTE_PGM_RSRC2:TGID_Z_EN: 1
; COMPUTE_PGM_RSRC2:TIDIG_COMP_CNT: 1
	.section	.text._ZL29rocblas_internal_gemmt_kernelIiLi16ELi32ELi8ELc84ELc67ELc76ELb0ELb0EffPKPKfPKPfEviT_T9_T10_S7_lS9_S7_lS8_T11_S7_li,"axG",@progbits,_ZL29rocblas_internal_gemmt_kernelIiLi16ELi32ELi8ELc84ELc67ELc76ELb0ELb0EffPKPKfPKPfEviT_T9_T10_S7_lS9_S7_lS8_T11_S7_li,comdat
	.globl	_ZL29rocblas_internal_gemmt_kernelIiLi16ELi32ELi8ELc84ELc67ELc76ELb0ELb0EffPKPKfPKPfEviT_T9_T10_S7_lS9_S7_lS8_T11_S7_li ; -- Begin function _ZL29rocblas_internal_gemmt_kernelIiLi16ELi32ELi8ELc84ELc67ELc76ELb0ELb0EffPKPKfPKPfEviT_T9_T10_S7_lS9_S7_lS8_T11_S7_li
	.p2align	8
	.type	_ZL29rocblas_internal_gemmt_kernelIiLi16ELi32ELi8ELc84ELc67ELc76ELb0ELb0EffPKPKfPKPfEviT_T9_T10_S7_lS9_S7_lS8_T11_S7_li,@function
_ZL29rocblas_internal_gemmt_kernelIiLi16ELi32ELi8ELc84ELc67ELc76ELb0ELb0EffPKPKfPKPfEviT_T9_T10_S7_lS9_S7_lS8_T11_S7_li: ; @_ZL29rocblas_internal_gemmt_kernelIiLi16ELi32ELi8ELc84ELc67ELc76ELb0ELb0EffPKPKfPKPfEviT_T9_T10_S7_lS9_S7_lS8_T11_S7_li
; %bb.0:
	s_clause 0x1
	s_load_b32 s7, s[0:1], 0x40
	s_load_b96 s[4:6], s[0:1], 0x0
	s_wait_kmcnt 0x0
	s_cmp_neq_f32 s7, 1.0
	s_cselect_b32 s2, -1, 0
	s_delay_alu instid0(SALU_CYCLE_1)
	s_and_b32 vcc_lo, exec_lo, s2
	s_cbranch_vccnz .LBB320_2
; %bb.1:
	s_cmp_lg_u32 s5, 0
	s_cselect_b32 s2, -1, 0
	s_cmp_neq_f32 s6, 0
	s_cselect_b32 s3, -1, 0
	s_delay_alu instid0(SALU_CYCLE_1)
	s_and_b32 s2, s2, s3
.LBB320_2:
	s_delay_alu instid0(SALU_CYCLE_1)
	s_and_not1_b32 vcc_lo, exec_lo, s2
	s_cbranch_vccnz .LBB320_33
; %bb.3:
	s_load_b32 s15, s[0:1], 0x60
	s_bfe_u32 s2, ttmp6, 0x40014
	s_lshr_b32 s3, ttmp7, 16
	s_add_co_i32 s2, s2, 1
	s_bfe_u32 s9, ttmp6, 0x40008
	s_mul_i32 s8, s3, s2
	s_getreg_b32 s2, hwreg(HW_REG_IB_STS2, 6, 4)
	s_add_co_i32 s9, s9, s8
	s_cmp_eq_u32 s2, 0
	s_mov_b32 s21, 0
	s_cselect_b32 s20, s3, s9
	s_wait_kmcnt 0x0
	s_cmp_ge_u32 s20, s15
	s_cbranch_scc1 .LBB320_33
; %bb.4:
	s_clause 0x2
	s_load_b96 s[12:14], s[0:1], 0x10
	s_load_b32 s22, s[0:1], 0x30
	s_load_b96 s[16:18], s[0:1], 0x48
	v_and_b32_e32 v2, 0x3ff, v0
	v_bfe_u32 v11, v0, 10, 10
	s_clause 0x2
	s_load_b128 s[8:11], s[0:1], 0x20
	s_load_b64 s[24:25], s[0:1], 0x38
	s_load_b64 s[26:27], s[0:1], 0x58
	s_wait_xcnt 0x0
	s_bfe_u32 s0, ttmp6, 0x4000c
	s_bfe_u32 s1, ttmp6, 0x40010
	s_and_b32 s28, ttmp7, 0xffff
	s_add_co_i32 s29, s0, 1
	s_add_co_i32 s30, s1, 1
	v_lshl_add_u32 v1, v11, 4, v2
	s_and_b32 s19, ttmp6, 15
	v_and_b32_e32 v0, 7, v0
	v_lshl_add_u32 v29, v11, 5, 0x400
	s_delay_alu instid0(VALU_DEP_3)
	v_dual_mov_b32 v3, 0 :: v_dual_bitop2_b32 v6, 31, v1 bitop3:0x40
	v_dual_lshrrev_b32 v7, 3, v1 :: v_dual_lshrrev_b32 v26, 5, v1
	v_lshlrev_b32_e32 v28, 2, v2
	s_wait_kmcnt 0x0
	s_ashr_i32 s1, s14, 31
	s_mov_b32 s0, s14
	s_mul_i32 s14, ttmp9, s29
	s_mul_i32 s29, s28, s30
	s_bfe_u32 s30, ttmp6, 0x40004
	s_ashr_i32 s23, s22, 31
	s_ashr_i32 s3, s18, 31
	s_add_co_i32 s19, s19, s14
	s_add_co_i32 s30, s30, s29
	s_cmp_eq_u32 s2, 0
	s_cselect_b32 s2, ttmp9, s19
	s_cselect_b32 s14, s28, s30
	s_lshl_b32 s19, s2, 5
	s_lshl_b32 s14, s14, 5
	v_dual_mov_b32 v1, v3 :: v_dual_bitop2_b32 v4, s19, v6 bitop3:0x54
	v_add_nc_u32_e32 v12, s14, v11
	v_add_nc_u32_e32 v14, s14, v7
	s_mov_b32 s2, s18
	s_delay_alu instid0(VALU_DEP_3) | instskip(SKIP_3) | instid1(VALU_DEP_4)
	v_ashrrev_i32_e32 v5, 31, v4
	v_mul_u64_e32 v[18:19], s[22:23], v[0:1]
	v_dual_add_nc_u32 v20, 16, v12 :: v_dual_ashrrev_i32 v13, 31, v12
	v_ashrrev_i32_e32 v15, 31, v14
	v_mul_u64_e32 v[16:17], s[0:1], v[4:5]
	v_dual_lshlrev_b32 v5, 2, v6 :: v_dual_lshlrev_b32 v6, 2, v0
	s_delay_alu instid0(VALU_DEP_4) | instskip(SKIP_2) | instid1(VALU_DEP_4)
	v_ashrrev_i32_e32 v21, 31, v20
	v_cmp_gt_i32_e64 s0, s4, v4
	v_add_nc_u32_e32 v4, s19, v2
	v_lshl_or_b32 v1, v26, 7, v5
	v_lshl_or_b32 v5, v7, 5, v6
	v_mul_u64_e32 v[6:7], s[2:3], v[12:13]
	v_mul_u64_e32 v[8:9], s[2:3], v[20:21]
	s_cmp_neq_f32 s6, 0
	v_add_nc_u32_e32 v10, 16, v4
	v_cmp_le_i32_e32 vcc_lo, v12, v4
	v_cmp_gt_i32_e64 s2, s4, v4
	s_cselect_b32 s28, -1, 0
	s_cmp_gt_i32 s5, 0
	v_add_nc_u32_e32 v27, 0x400, v5
	s_cselect_b32 s29, -1, 0
	s_cmp_neq_f32 s7, 0
	v_ashrrev_i32_e32 v5, 31, v4
	v_cmp_le_i32_e64 s3, v12, v10
	v_lshlrev_b32_e32 v2, 2, v26
	s_cselect_b32 s14, -1, 0
	s_lshl_b64 s[8:9], s[8:9], 2
	s_and_b32 s18, vcc_lo, s2
	v_cmp_le_i32_e32 vcc_lo, v20, v4
	v_cmp_gt_i32_e64 s1, s4, v14
	v_cmp_gt_i32_e64 s4, s4, v10
	v_ashrrev_i32_e32 v11, 31, v10
	v_lshl_add_u64 v[12:13], v[16:17], 2, s[8:9]
	s_lshl_b64 s[8:9], s[24:25], 2
	s_and_b32 s24, vcc_lo, s2
	v_lshl_add_u64 v[16:17], v[18:19], 2, s[8:9]
	v_cmp_le_i32_e32 vcc_lo, v20, v10
	v_add_nc_u64_e32 v[12:13], v[12:13], v[2:3]
	s_and_b32 s19, s3, s4
	s_and_b32 s25, s28, s29
	v_lshl_add_u64 v[14:15], v[14:15], 2, v[16:17]
	s_and_b32 s4, vcc_lo, s4
	s_lshl_b64 s[2:3], s[22:23], 5
	s_lshl_b64 s[8:9], s[26:27], 2
	s_branch .LBB320_6
.LBB320_5:                              ;   in Loop: Header=BB320_6 Depth=1
	s_wait_xcnt 0x0
	s_or_b32 exec_lo, exec_lo, s22
	s_add_co_i32 s20, s20, 0x10000
	s_delay_alu instid0(SALU_CYCLE_1)
	s_cmp_lt_u32 s20, s15
	s_cbranch_scc0 .LBB320_33
.LBB320_6:                              ; =>This Loop Header: Depth=1
                                        ;     Child Loop BB320_9 Depth 2
	v_dual_mov_b32 v2, s20 :: v_dual_mov_b32 v25, 0
	v_dual_mov_b32 v24, 0 :: v_dual_mov_b32 v17, 0
	v_mov_b32_e32 v16, 0
	global_load_b64 v[18:19], v2, s[16:17] scale_offset
	s_and_not1_b32 vcc_lo, exec_lo, s25
	s_cbranch_vccnz .LBB320_13
; %bb.7:                                ;   in Loop: Header=BB320_6 Depth=1
	s_lshl_b64 s[22:23], s[20:21], 3
	v_mov_b32_e32 v16, 0
	s_add_nc_u64 s[26:27], s[12:13], s[22:23]
	s_add_nc_u64 s[22:23], s[10:11], s[22:23]
	s_clause 0x1
	global_load_b64 v[20:21], v3, s[26:27]
	global_load_b64 v[22:23], v3, s[22:23]
	s_wait_xcnt 0x0
	s_mov_b32 s22, 0
	v_dual_mov_b32 v17, v16 :: v_dual_mov_b32 v24, v16
	v_mov_b32_e32 v25, v16
	s_wait_loadcnt 0x1
	v_add_nc_u64_e32 v[20:21], v[20:21], v[12:13]
	s_wait_loadcnt 0x0
	v_add_nc_u64_e32 v[22:23], v[22:23], v[14:15]
	s_branch .LBB320_9
.LBB320_8:                              ;   in Loop: Header=BB320_9 Depth=2
	s_wait_xcnt 0x0
	s_or_b32 exec_lo, exec_lo, s23
	s_wait_loadcnt_dscnt 0x0
	ds_store_b32 v27, v30
	s_wait_dscnt 0x0
	s_barrier_signal -1
	s_barrier_wait -1
	ds_load_b128 v[30:33], v29
	ds_load_2addr_b32 v[46:47], v28 offset1:16
	ds_load_b128 v[34:37], v29 offset:512
	ds_load_2addr_b32 v[48:49], v28 offset0:32 offset1:48
	ds_load_2addr_b32 v[50:51], v28 offset0:64 offset1:80
	;; [unrolled: 1-line block ×3, first 2 shown]
	ds_load_b128 v[38:41], v29 offset:16
	ds_load_2addr_b32 v[54:55], v28 offset0:128 offset1:144
	ds_load_b128 v[42:45], v29 offset:528
	v_add_nc_u64_e32 v[20:21], 32, v[20:21]
	v_add_nc_u64_e32 v[22:23], s[2:3], v[22:23]
	s_add_co_i32 s22, s22, 8
	s_delay_alu instid0(SALU_CYCLE_1)
	s_cmp_lt_i32 s22, s5
	s_wait_dscnt 0x8
	v_mov_b32_e32 v2, v33
	s_wait_dscnt 0x7
	v_pk_fma_f32 v[24:25], v[46:47], v[30:31], v[24:25] op_sel_hi:[1,0,1]
	s_wait_dscnt 0x6
	v_pk_fma_f32 v[16:17], v[46:47], v[34:35], v[16:17] op_sel_hi:[1,0,1]
	ds_load_2addr_b32 v[46:47], v28 offset0:160 offset1:176
	s_wait_dscnt 0x6
	v_pk_fma_f32 v[24:25], v[48:49], v[30:31], v[24:25] op_sel:[0,1,0]
	v_pk_fma_f32 v[16:17], v[48:49], v[34:35], v[16:17] op_sel:[0,1,0]
	ds_load_2addr_b32 v[30:31], v28 offset0:192 offset1:208
	v_mov_b32_e32 v34, v37
	s_wait_dscnt 0x6
	v_pk_fma_f32 v[24:25], v[50:51], v[32:33], v[24:25] op_sel_hi:[1,0,1]
	v_pk_fma_f32 v[16:17], v[50:51], v[36:37], v[16:17] op_sel_hi:[1,0,1]
	ds_load_2addr_b32 v[32:33], v28 offset0:224 offset1:240
	s_wait_dscnt 0x0
	s_barrier_signal -1
	v_pk_fma_f32 v[24:25], v[52:53], v[2:3], v[24:25] op_sel_hi:[1,0,1]
	v_pk_fma_f32 v[16:17], v[52:53], v[34:35], v[16:17] op_sel_hi:[1,0,1]
	v_dual_mov_b32 v2, v41 :: v_dual_mov_b32 v34, v45
	s_barrier_wait -1
	s_delay_alu instid0(VALU_DEP_3) | instskip(NEXT) | instid1(VALU_DEP_3)
	v_pk_fma_f32 v[24:25], v[54:55], v[38:39], v[24:25] op_sel_hi:[1,0,1]
	v_pk_fma_f32 v[16:17], v[54:55], v[42:43], v[16:17] op_sel_hi:[1,0,1]
	s_delay_alu instid0(VALU_DEP_2) | instskip(NEXT) | instid1(VALU_DEP_2)
	v_pk_fma_f32 v[24:25], v[46:47], v[38:39], v[24:25] op_sel:[0,1,0]
	v_pk_fma_f32 v[16:17], v[46:47], v[42:43], v[16:17] op_sel:[0,1,0]
	s_delay_alu instid0(VALU_DEP_2) | instskip(NEXT) | instid1(VALU_DEP_2)
	v_pk_fma_f32 v[24:25], v[30:31], v[40:41], v[24:25] op_sel_hi:[1,0,1]
	v_pk_fma_f32 v[16:17], v[30:31], v[44:45], v[16:17] op_sel_hi:[1,0,1]
	s_delay_alu instid0(VALU_DEP_2) | instskip(NEXT) | instid1(VALU_DEP_2)
	v_pk_fma_f32 v[24:25], v[32:33], v[2:3], v[24:25] op_sel_hi:[1,0,1]
	v_pk_fma_f32 v[16:17], v[32:33], v[34:35], v[16:17] op_sel_hi:[1,0,1]
	s_cbranch_scc0 .LBB320_13
.LBB320_9:                              ;   Parent Loop BB320_6 Depth=1
                                        ; =>  This Inner Loop Header: Depth=2
	v_add_nc_u32_e32 v2, s22, v26
	s_delay_alu instid0(VALU_DEP_1) | instskip(SKIP_2) | instid1(SALU_CYCLE_1)
	v_cmp_gt_i32_e32 vcc_lo, s5, v2
	v_mov_b32_e32 v2, 0
	s_and_b32 s26, s0, vcc_lo
	s_and_saveexec_b32 s23, s26
	s_cbranch_execz .LBB320_11
; %bb.10:                               ;   in Loop: Header=BB320_9 Depth=2
	flat_load_b32 v2, v[20:21]
.LBB320_11:                             ;   in Loop: Header=BB320_9 Depth=2
	s_wait_xcnt 0x0
	s_or_b32 exec_lo, exec_lo, s23
	v_add_nc_u32_e32 v30, s22, v0
	s_wait_loadcnt_dscnt 0x0
	ds_store_b32 v1, v2
	v_cmp_gt_i32_e32 vcc_lo, s5, v30
	v_mov_b32_e32 v30, 0
	s_and_b32 s26, vcc_lo, s1
	s_delay_alu instid0(SALU_CYCLE_1)
	s_and_saveexec_b32 s23, s26
	s_cbranch_execz .LBB320_8
; %bb.12:                               ;   in Loop: Header=BB320_9 Depth=2
	flat_load_b32 v30, v[22:23]
	s_branch .LBB320_8
.LBB320_13:                             ;   in Loop: Header=BB320_6 Depth=1
	s_wait_loadcnt 0x0
	v_add_nc_u64_e32 v[18:19], s[8:9], v[18:19]
	s_delay_alu instid0(VALU_DEP_1)
	v_lshl_add_u64 v[20:21], v[6:7], 2, v[18:19]
	s_wait_xcnt 0x0
	s_and_saveexec_b32 s22, s18
	s_cbranch_execz .LBB320_17
; %bb.14:                               ;   in Loop: Header=BB320_6 Depth=1
	v_mul_f32_e32 v2, s6, v24
	v_lshl_add_u64 v[22:23], v[4:5], 2, v[20:21]
	s_and_b32 vcc_lo, exec_lo, s14
	s_cbranch_vccz .LBB320_28
; %bb.15:                               ;   in Loop: Header=BB320_6 Depth=1
	flat_load_b32 v24, v[22:23]
	s_wait_loadcnt_dscnt 0x0
	v_fma_f32 v24, s7, v24, v2
	flat_store_b32 v[22:23], v24
	s_cbranch_execnz .LBB320_17
.LBB320_16:                             ;   in Loop: Header=BB320_6 Depth=1
	flat_store_b32 v[22:23], v2
.LBB320_17:                             ;   in Loop: Header=BB320_6 Depth=1
	s_wait_xcnt 0x0
	s_or_b32 exec_lo, exec_lo, s22
	s_and_saveexec_b32 s22, s19
	s_cbranch_execz .LBB320_21
; %bb.18:                               ;   in Loop: Header=BB320_6 Depth=1
	v_mul_f32_e32 v2, s6, v25
	v_lshl_add_u64 v[20:21], v[10:11], 2, v[20:21]
	s_and_not1_b32 vcc_lo, exec_lo, s14
	s_cbranch_vccnz .LBB320_29
; %bb.19:                               ;   in Loop: Header=BB320_6 Depth=1
	flat_load_b32 v22, v[20:21]
	s_wait_loadcnt_dscnt 0x0
	v_fma_f32 v22, s7, v22, v2
	flat_store_b32 v[20:21], v22
	s_cbranch_execnz .LBB320_21
.LBB320_20:                             ;   in Loop: Header=BB320_6 Depth=1
	flat_store_b32 v[20:21], v2
.LBB320_21:                             ;   in Loop: Header=BB320_6 Depth=1
	s_wait_xcnt 0x0
	s_or_b32 exec_lo, exec_lo, s22
	v_lshl_add_u64 v[18:19], v[8:9], 2, v[18:19]
	s_and_saveexec_b32 s22, s24
	s_cbranch_execz .LBB320_25
; %bb.22:                               ;   in Loop: Header=BB320_6 Depth=1
	v_mul_f32_e32 v2, s6, v16
	s_delay_alu instid0(VALU_DEP_2)
	v_lshl_add_u64 v[20:21], v[4:5], 2, v[18:19]
	s_and_not1_b32 vcc_lo, exec_lo, s14
	s_cbranch_vccnz .LBB320_30
; %bb.23:                               ;   in Loop: Header=BB320_6 Depth=1
	flat_load_b32 v16, v[20:21]
	s_wait_loadcnt_dscnt 0x0
	v_fma_f32 v16, s7, v16, v2
	flat_store_b32 v[20:21], v16
	s_cbranch_execnz .LBB320_25
.LBB320_24:                             ;   in Loop: Header=BB320_6 Depth=1
	flat_store_b32 v[20:21], v2
.LBB320_25:                             ;   in Loop: Header=BB320_6 Depth=1
	s_wait_xcnt 0x0
	s_or_b32 exec_lo, exec_lo, s22
	s_and_saveexec_b32 s22, s4
	s_cbranch_execz .LBB320_5
; %bb.26:                               ;   in Loop: Header=BB320_6 Depth=1
	v_mul_f32_e32 v2, s6, v17
	v_lshl_add_u64 v[16:17], v[10:11], 2, v[18:19]
	s_and_not1_b32 vcc_lo, exec_lo, s14
	s_cbranch_vccnz .LBB320_31
; %bb.27:                               ;   in Loop: Header=BB320_6 Depth=1
	flat_load_b32 v18, v[16:17]
	s_wait_loadcnt_dscnt 0x0
	v_fma_f32 v18, s7, v18, v2
	flat_store_b32 v[16:17], v18
	s_cbranch_execnz .LBB320_5
	s_branch .LBB320_32
.LBB320_28:                             ;   in Loop: Header=BB320_6 Depth=1
	s_branch .LBB320_16
.LBB320_29:                             ;   in Loop: Header=BB320_6 Depth=1
	s_branch .LBB320_20
.LBB320_30:                             ;   in Loop: Header=BB320_6 Depth=1
	s_branch .LBB320_24
.LBB320_31:                             ;   in Loop: Header=BB320_6 Depth=1
.LBB320_32:                             ;   in Loop: Header=BB320_6 Depth=1
	flat_store_b32 v[16:17], v2
	s_branch .LBB320_5
.LBB320_33:
	s_endpgm
	.section	.rodata,"a",@progbits
	.p2align	6, 0x0
	.amdhsa_kernel _ZL29rocblas_internal_gemmt_kernelIiLi16ELi32ELi8ELc84ELc67ELc76ELb0ELb0EffPKPKfPKPfEviT_T9_T10_S7_lS9_S7_lS8_T11_S7_li
		.amdhsa_group_segment_fixed_size 2048
		.amdhsa_private_segment_fixed_size 0
		.amdhsa_kernarg_size 100
		.amdhsa_user_sgpr_count 2
		.amdhsa_user_sgpr_dispatch_ptr 0
		.amdhsa_user_sgpr_queue_ptr 0
		.amdhsa_user_sgpr_kernarg_segment_ptr 1
		.amdhsa_user_sgpr_dispatch_id 0
		.amdhsa_user_sgpr_kernarg_preload_length 0
		.amdhsa_user_sgpr_kernarg_preload_offset 0
		.amdhsa_user_sgpr_private_segment_size 0
		.amdhsa_wavefront_size32 1
		.amdhsa_uses_dynamic_stack 0
		.amdhsa_enable_private_segment 0
		.amdhsa_system_sgpr_workgroup_id_x 1
		.amdhsa_system_sgpr_workgroup_id_y 1
		.amdhsa_system_sgpr_workgroup_id_z 1
		.amdhsa_system_sgpr_workgroup_info 0
		.amdhsa_system_vgpr_workitem_id 1
		.amdhsa_next_free_vgpr 56
		.amdhsa_next_free_sgpr 31
		.amdhsa_named_barrier_count 0
		.amdhsa_reserve_vcc 1
		.amdhsa_float_round_mode_32 0
		.amdhsa_float_round_mode_16_64 0
		.amdhsa_float_denorm_mode_32 3
		.amdhsa_float_denorm_mode_16_64 3
		.amdhsa_fp16_overflow 0
		.amdhsa_memory_ordered 1
		.amdhsa_forward_progress 1
		.amdhsa_inst_pref_size 13
		.amdhsa_round_robin_scheduling 0
		.amdhsa_exception_fp_ieee_invalid_op 0
		.amdhsa_exception_fp_denorm_src 0
		.amdhsa_exception_fp_ieee_div_zero 0
		.amdhsa_exception_fp_ieee_overflow 0
		.amdhsa_exception_fp_ieee_underflow 0
		.amdhsa_exception_fp_ieee_inexact 0
		.amdhsa_exception_int_div_zero 0
	.end_amdhsa_kernel
	.section	.text._ZL29rocblas_internal_gemmt_kernelIiLi16ELi32ELi8ELc84ELc67ELc76ELb0ELb0EffPKPKfPKPfEviT_T9_T10_S7_lS9_S7_lS8_T11_S7_li,"axG",@progbits,_ZL29rocblas_internal_gemmt_kernelIiLi16ELi32ELi8ELc84ELc67ELc76ELb0ELb0EffPKPKfPKPfEviT_T9_T10_S7_lS9_S7_lS8_T11_S7_li,comdat
.Lfunc_end320:
	.size	_ZL29rocblas_internal_gemmt_kernelIiLi16ELi32ELi8ELc84ELc67ELc76ELb0ELb0EffPKPKfPKPfEviT_T9_T10_S7_lS9_S7_lS8_T11_S7_li, .Lfunc_end320-_ZL29rocblas_internal_gemmt_kernelIiLi16ELi32ELi8ELc84ELc67ELc76ELb0ELb0EffPKPKfPKPfEviT_T9_T10_S7_lS9_S7_lS8_T11_S7_li
                                        ; -- End function
	.set _ZL29rocblas_internal_gemmt_kernelIiLi16ELi32ELi8ELc84ELc67ELc76ELb0ELb0EffPKPKfPKPfEviT_T9_T10_S7_lS9_S7_lS8_T11_S7_li.num_vgpr, 56
	.set _ZL29rocblas_internal_gemmt_kernelIiLi16ELi32ELi8ELc84ELc67ELc76ELb0ELb0EffPKPKfPKPfEviT_T9_T10_S7_lS9_S7_lS8_T11_S7_li.num_agpr, 0
	.set _ZL29rocblas_internal_gemmt_kernelIiLi16ELi32ELi8ELc84ELc67ELc76ELb0ELb0EffPKPKfPKPfEviT_T9_T10_S7_lS9_S7_lS8_T11_S7_li.numbered_sgpr, 31
	.set _ZL29rocblas_internal_gemmt_kernelIiLi16ELi32ELi8ELc84ELc67ELc76ELb0ELb0EffPKPKfPKPfEviT_T9_T10_S7_lS9_S7_lS8_T11_S7_li.num_named_barrier, 0
	.set _ZL29rocblas_internal_gemmt_kernelIiLi16ELi32ELi8ELc84ELc67ELc76ELb0ELb0EffPKPKfPKPfEviT_T9_T10_S7_lS9_S7_lS8_T11_S7_li.private_seg_size, 0
	.set _ZL29rocblas_internal_gemmt_kernelIiLi16ELi32ELi8ELc84ELc67ELc76ELb0ELb0EffPKPKfPKPfEviT_T9_T10_S7_lS9_S7_lS8_T11_S7_li.uses_vcc, 1
	.set _ZL29rocblas_internal_gemmt_kernelIiLi16ELi32ELi8ELc84ELc67ELc76ELb0ELb0EffPKPKfPKPfEviT_T9_T10_S7_lS9_S7_lS8_T11_S7_li.uses_flat_scratch, 0
	.set _ZL29rocblas_internal_gemmt_kernelIiLi16ELi32ELi8ELc84ELc67ELc76ELb0ELb0EffPKPKfPKPfEviT_T9_T10_S7_lS9_S7_lS8_T11_S7_li.has_dyn_sized_stack, 0
	.set _ZL29rocblas_internal_gemmt_kernelIiLi16ELi32ELi8ELc84ELc67ELc76ELb0ELb0EffPKPKfPKPfEviT_T9_T10_S7_lS9_S7_lS8_T11_S7_li.has_recursion, 0
	.set _ZL29rocblas_internal_gemmt_kernelIiLi16ELi32ELi8ELc84ELc67ELc76ELb0ELb0EffPKPKfPKPfEviT_T9_T10_S7_lS9_S7_lS8_T11_S7_li.has_indirect_call, 0
	.section	.AMDGPU.csdata,"",@progbits
; Kernel info:
; codeLenInByte = 1660
; TotalNumSgprs: 33
; NumVgprs: 56
; ScratchSize: 0
; MemoryBound: 0
; FloatMode: 240
; IeeeMode: 1
; LDSByteSize: 2048 bytes/workgroup (compile time only)
; SGPRBlocks: 0
; VGPRBlocks: 3
; NumSGPRsForWavesPerEU: 33
; NumVGPRsForWavesPerEU: 56
; NamedBarCnt: 0
; Occupancy: 16
; WaveLimiterHint : 1
; COMPUTE_PGM_RSRC2:SCRATCH_EN: 0
; COMPUTE_PGM_RSRC2:USER_SGPR: 2
; COMPUTE_PGM_RSRC2:TRAP_HANDLER: 0
; COMPUTE_PGM_RSRC2:TGID_X_EN: 1
; COMPUTE_PGM_RSRC2:TGID_Y_EN: 1
; COMPUTE_PGM_RSRC2:TGID_Z_EN: 1
; COMPUTE_PGM_RSRC2:TIDIG_COMP_CNT: 1
	.section	.text._ZL29rocblas_internal_gemmt_kernelIiLi16ELi32ELi8ELc67ELc78ELc76ELb0ELb0EffPKPKfPKPfEviT_T9_T10_S7_lS9_S7_lS8_T11_S7_li,"axG",@progbits,_ZL29rocblas_internal_gemmt_kernelIiLi16ELi32ELi8ELc67ELc78ELc76ELb0ELb0EffPKPKfPKPfEviT_T9_T10_S7_lS9_S7_lS8_T11_S7_li,comdat
	.globl	_ZL29rocblas_internal_gemmt_kernelIiLi16ELi32ELi8ELc67ELc78ELc76ELb0ELb0EffPKPKfPKPfEviT_T9_T10_S7_lS9_S7_lS8_T11_S7_li ; -- Begin function _ZL29rocblas_internal_gemmt_kernelIiLi16ELi32ELi8ELc67ELc78ELc76ELb0ELb0EffPKPKfPKPfEviT_T9_T10_S7_lS9_S7_lS8_T11_S7_li
	.p2align	8
	.type	_ZL29rocblas_internal_gemmt_kernelIiLi16ELi32ELi8ELc67ELc78ELc76ELb0ELb0EffPKPKfPKPfEviT_T9_T10_S7_lS9_S7_lS8_T11_S7_li,@function
_ZL29rocblas_internal_gemmt_kernelIiLi16ELi32ELi8ELc67ELc78ELc76ELb0ELb0EffPKPKfPKPfEviT_T9_T10_S7_lS9_S7_lS8_T11_S7_li: ; @_ZL29rocblas_internal_gemmt_kernelIiLi16ELi32ELi8ELc67ELc78ELc76ELb0ELb0EffPKPKfPKPfEviT_T9_T10_S7_lS9_S7_lS8_T11_S7_li
; %bb.0:
	s_clause 0x1
	s_load_b32 s7, s[0:1], 0x40
	s_load_b96 s[4:6], s[0:1], 0x0
	s_wait_kmcnt 0x0
	s_cmp_neq_f32 s7, 1.0
	s_cselect_b32 s2, -1, 0
	s_delay_alu instid0(SALU_CYCLE_1)
	s_and_b32 vcc_lo, exec_lo, s2
	s_cbranch_vccnz .LBB321_2
; %bb.1:
	s_cmp_lg_u32 s5, 0
	s_cselect_b32 s2, -1, 0
	s_cmp_neq_f32 s6, 0
	s_cselect_b32 s3, -1, 0
	s_delay_alu instid0(SALU_CYCLE_1)
	s_and_b32 s2, s2, s3
.LBB321_2:
	s_delay_alu instid0(SALU_CYCLE_1)
	s_and_not1_b32 vcc_lo, exec_lo, s2
	s_cbranch_vccnz .LBB321_33
; %bb.3:
	s_load_b32 s15, s[0:1], 0x60
	s_bfe_u32 s2, ttmp6, 0x40014
	s_lshr_b32 s3, ttmp7, 16
	s_add_co_i32 s2, s2, 1
	s_bfe_u32 s8, ttmp6, 0x40008
	s_mul_i32 s2, s3, s2
	s_getreg_b32 s19, hwreg(HW_REG_IB_STS2, 6, 4)
	s_add_co_i32 s8, s8, s2
	s_cmp_eq_u32 s19, 0
	s_mov_b32 s21, 0
	s_cselect_b32 s20, s3, s8
	s_wait_kmcnt 0x0
	s_cmp_ge_u32 s20, s15
	s_cbranch_scc1 .LBB321_33
; %bb.4:
	s_clause 0x2
	s_load_b96 s[12:14], s[0:1], 0x10
	s_load_b32 s2, s[0:1], 0x30
	s_load_b96 s[16:18], s[0:1], 0x48
	v_and_b32_e32 v1, 0x3ff, v0
	v_bfe_u32 v7, v0, 10, 10
	s_clause 0x2
	s_load_b128 s[8:11], s[0:1], 0x20
	s_load_b64 s[22:23], s[0:1], 0x38
	s_load_b64 s[24:25], s[0:1], 0x58
	s_wait_xcnt 0x0
	s_bfe_u32 s1, ttmp6, 0x4000c
	s_bfe_u32 s3, ttmp6, 0x40010
	s_and_b32 s26, ttmp7, 0xffff
	s_add_co_i32 s1, s1, 1
	s_add_co_i32 s3, s3, 1
	v_lshl_add_u32 v2, v7, 4, v1
	s_and_b32 s0, ttmp6, 15
	s_mul_i32 s28, ttmp9, s1
	s_mul_i32 s29, s26, s3
	s_bfe_u32 s30, ttmp6, 0x40004
	s_add_co_i32 s0, s0, s28
	s_add_co_i32 s30, s30, s29
	v_dual_lshrrev_b32 v6, 3, v2 :: v_dual_bitop2_b32 v9, 31, v2 bitop3:0x40
	s_wait_kmcnt 0x0
	s_ashr_i32 s1, s14, 31
	s_ashr_i32 s3, s2, 31
	;; [unrolled: 1-line block ×3, first 2 shown]
	s_cmp_eq_u32 s19, 0
	v_lshl_add_u32 v29, v7, 5, 0x400
	s_cselect_b32 s0, ttmp9, s0
	s_cselect_b32 s19, s26, s30
	s_lshl_b32 s28, s0, 5
	s_delay_alu instid0(SALU_CYCLE_1) | instskip(SKIP_1) | instid1(SALU_CYCLE_1)
	v_dual_lshrrev_b32 v24, 5, v2 :: v_dual_bitop2_b32 v2, s28, v9 bitop3:0x54
	s_lshl_b32 s19, s19, 5
	v_dual_add_nc_u32 v4, s19, v6 :: v_dual_bitop2_b32 v25, 7, v0 bitop3:0x40
	s_mov_b32 s0, s14
	s_delay_alu instid0(VALU_DEP_2) | instskip(NEXT) | instid1(VALU_DEP_2)
	v_dual_ashrrev_i32 v3, 31, v2 :: v_dual_add_nc_u32 v8, s19, v7
	v_dual_lshlrev_b32 v0, 2, v9 :: v_dual_ashrrev_i32 v5, 31, v4
	s_delay_alu instid0(VALU_DEP_3) | instskip(NEXT) | instid1(VALU_DEP_3)
	v_lshlrev_b32_e32 v16, 2, v25
	v_mul_u64_e32 v[10:11], s[0:1], v[2:3]
	s_delay_alu instid0(VALU_DEP_4) | instskip(NEXT) | instid1(VALU_DEP_4)
	v_dual_add_nc_u32 v14, 16, v8 :: v_dual_ashrrev_i32 v9, 31, v8
	v_mul_u64_e32 v[12:13], s[2:3], v[4:5]
	s_mov_b32 s26, s18
	v_cmp_gt_i32_e64 s0, s4, v2
	s_delay_alu instid0(VALU_DEP_3)
	v_ashrrev_i32_e32 v15, 31, v14
	v_cmp_gt_i32_e64 s1, s4, v4
	v_mul_u64_e32 v[2:3], s[26:27], v[8:9]
	s_cmp_neq_f32 s6, 0
	v_lshl_or_b32 v26, v24, 7, v0
	v_mul_u64_e32 v[4:5], s[26:27], v[14:15]
	v_lshl_or_b32 v6, v6, 5, v16
	s_cselect_b32 s29, -1, 0
	s_cmp_gt_i32 s5, 0
	v_dual_add_nc_u32 v0, s28, v1 :: v_dual_lshlrev_b32 v28, 2, v1
	s_cselect_b32 s30, -1, 0
	s_cmp_neq_f32 s7, 0
	v_add_nc_u32_e32 v27, 0x400, v6
	s_delay_alu instid0(VALU_DEP_2)
	v_dual_add_nc_u32 v6, 16, v0 :: v_dual_ashrrev_i32 v1, 31, v0
	v_mov_b32_e32 v9, 0
	s_cselect_b32 s14, -1, 0
	s_lshl_b64 s[8:9], s[8:9], 2
	v_cmp_le_i32_e32 vcc_lo, v8, v0
	v_cmp_gt_i32_e64 s2, s4, v0
	v_cmp_le_i32_e64 s3, v8, v6
	v_cmp_gt_i32_e64 s4, s4, v6
	v_dual_mov_b32 v17, v9 :: v_dual_lshlrev_b32 v8, 2, v24
	v_ashrrev_i32_e32 v7, 31, v6
	v_lshl_add_u64 v[10:11], v[10:11], 2, s[8:9]
	s_lshl_b64 s[8:9], s[22:23], 2
	s_and_b32 s18, vcc_lo, s2
	v_lshl_add_u64 v[12:13], v[12:13], 2, s[8:9]
	s_and_b32 s19, s3, s4
	v_cmp_le_i32_e32 vcc_lo, v14, v0
	v_cmp_le_i32_e64 s3, v14, v6
	v_add_nc_u64_e32 v[10:11], v[10:11], v[8:9]
	v_add_nc_u64_e32 v[12:13], v[12:13], v[16:17]
	s_and_b32 s8, s29, s30
	s_and_b32 s9, vcc_lo, s2
	s_and_b32 s4, s3, s4
	s_lshl_b64 s[2:3], s[24:25], 2
	s_branch .LBB321_6
.LBB321_5:                              ;   in Loop: Header=BB321_6 Depth=1
	s_wait_xcnt 0x0
	s_or_b32 exec_lo, exec_lo, s22
	s_add_co_i32 s20, s20, 0x10000
	s_delay_alu instid0(SALU_CYCLE_1)
	s_cmp_lt_u32 s20, s15
	s_cbranch_scc0 .LBB321_33
.LBB321_6:                              ; =>This Loop Header: Depth=1
                                        ;     Child Loop BB321_9 Depth 2
	v_dual_mov_b32 v8, s20 :: v_dual_mov_b32 v23, 0
	v_dual_mov_b32 v22, 0 :: v_dual_mov_b32 v15, 0
	v_mov_b32_e32 v14, 0
	global_load_b64 v[16:17], v8, s[16:17] scale_offset
	s_and_not1_b32 vcc_lo, exec_lo, s8
	s_cbranch_vccnz .LBB321_13
; %bb.7:                                ;   in Loop: Header=BB321_6 Depth=1
	s_lshl_b64 s[22:23], s[20:21], 3
	v_mov_b32_e32 v14, 0
	s_add_nc_u64 s[24:25], s[12:13], s[22:23]
	s_add_nc_u64 s[22:23], s[10:11], s[22:23]
	s_clause 0x1
	global_load_b64 v[18:19], v9, s[24:25]
	global_load_b64 v[20:21], v9, s[22:23]
	s_wait_xcnt 0x0
	s_mov_b32 s22, 0
	v_dual_mov_b32 v15, v14 :: v_dual_mov_b32 v22, v14
	v_mov_b32_e32 v23, v14
	s_wait_loadcnt 0x1
	v_add_nc_u64_e32 v[18:19], v[18:19], v[10:11]
	s_wait_loadcnt 0x0
	v_add_nc_u64_e32 v[20:21], v[20:21], v[12:13]
	s_branch .LBB321_9
.LBB321_8:                              ;   in Loop: Header=BB321_9 Depth=2
	s_wait_xcnt 0x0
	s_or_b32 exec_lo, exec_lo, s23
	s_wait_loadcnt_dscnt 0x0
	ds_store_b32 v27, v30
	s_wait_dscnt 0x0
	s_barrier_signal -1
	s_barrier_wait -1
	ds_load_b128 v[30:33], v29
	ds_load_2addr_b32 v[46:47], v28 offset1:16
	ds_load_b128 v[34:37], v29 offset:512
	ds_load_2addr_b32 v[48:49], v28 offset0:32 offset1:48
	ds_load_2addr_b32 v[50:51], v28 offset0:64 offset1:80
	;; [unrolled: 1-line block ×3, first 2 shown]
	ds_load_b128 v[38:41], v29 offset:16
	ds_load_2addr_b32 v[54:55], v28 offset0:128 offset1:144
	ds_load_b128 v[42:45], v29 offset:528
	v_add_nc_u64_e32 v[18:19], 32, v[18:19]
	v_add_nc_u64_e32 v[20:21], 32, v[20:21]
	s_add_co_i32 s22, s22, 8
	s_delay_alu instid0(SALU_CYCLE_1)
	s_cmp_lt_i32 s22, s5
	s_wait_dscnt 0x8
	v_mov_b32_e32 v8, v33
	s_wait_dscnt 0x7
	v_pk_fma_f32 v[22:23], v[46:47], v[30:31], v[22:23] op_sel_hi:[1,0,1]
	s_wait_dscnt 0x6
	v_pk_fma_f32 v[14:15], v[46:47], v[34:35], v[14:15] op_sel_hi:[1,0,1]
	ds_load_2addr_b32 v[46:47], v28 offset0:160 offset1:176
	s_wait_dscnt 0x6
	v_pk_fma_f32 v[22:23], v[48:49], v[30:31], v[22:23] op_sel:[0,1,0]
	v_pk_fma_f32 v[14:15], v[48:49], v[34:35], v[14:15] op_sel:[0,1,0]
	ds_load_2addr_b32 v[30:31], v28 offset0:192 offset1:208
	v_mov_b32_e32 v34, v37
	s_wait_dscnt 0x6
	v_pk_fma_f32 v[22:23], v[50:51], v[32:33], v[22:23] op_sel_hi:[1,0,1]
	v_pk_fma_f32 v[14:15], v[50:51], v[36:37], v[14:15] op_sel_hi:[1,0,1]
	ds_load_2addr_b32 v[32:33], v28 offset0:224 offset1:240
	s_wait_dscnt 0x0
	s_barrier_signal -1
	v_pk_fma_f32 v[22:23], v[52:53], v[8:9], v[22:23] op_sel_hi:[1,0,1]
	v_pk_fma_f32 v[14:15], v[52:53], v[34:35], v[14:15] op_sel_hi:[1,0,1]
	v_dual_mov_b32 v8, v41 :: v_dual_mov_b32 v34, v45
	s_barrier_wait -1
	s_delay_alu instid0(VALU_DEP_3) | instskip(NEXT) | instid1(VALU_DEP_3)
	v_pk_fma_f32 v[22:23], v[54:55], v[38:39], v[22:23] op_sel_hi:[1,0,1]
	v_pk_fma_f32 v[14:15], v[54:55], v[42:43], v[14:15] op_sel_hi:[1,0,1]
	s_delay_alu instid0(VALU_DEP_2) | instskip(NEXT) | instid1(VALU_DEP_2)
	v_pk_fma_f32 v[22:23], v[46:47], v[38:39], v[22:23] op_sel:[0,1,0]
	v_pk_fma_f32 v[14:15], v[46:47], v[42:43], v[14:15] op_sel:[0,1,0]
	s_delay_alu instid0(VALU_DEP_2) | instskip(NEXT) | instid1(VALU_DEP_2)
	v_pk_fma_f32 v[22:23], v[30:31], v[40:41], v[22:23] op_sel_hi:[1,0,1]
	v_pk_fma_f32 v[14:15], v[30:31], v[44:45], v[14:15] op_sel_hi:[1,0,1]
	s_delay_alu instid0(VALU_DEP_2) | instskip(NEXT) | instid1(VALU_DEP_2)
	v_pk_fma_f32 v[22:23], v[32:33], v[8:9], v[22:23] op_sel_hi:[1,0,1]
	v_pk_fma_f32 v[14:15], v[32:33], v[34:35], v[14:15] op_sel_hi:[1,0,1]
	s_cbranch_scc0 .LBB321_13
.LBB321_9:                              ;   Parent Loop BB321_6 Depth=1
                                        ; =>  This Inner Loop Header: Depth=2
	v_add_nc_u32_e32 v8, s22, v24
	s_delay_alu instid0(VALU_DEP_1) | instskip(SKIP_2) | instid1(SALU_CYCLE_1)
	v_cmp_gt_i32_e32 vcc_lo, s5, v8
	v_mov_b32_e32 v8, 0
	s_and_b32 s24, s0, vcc_lo
	s_and_saveexec_b32 s23, s24
	s_cbranch_execz .LBB321_11
; %bb.10:                               ;   in Loop: Header=BB321_9 Depth=2
	flat_load_b32 v8, v[18:19]
.LBB321_11:                             ;   in Loop: Header=BB321_9 Depth=2
	s_wait_xcnt 0x0
	s_or_b32 exec_lo, exec_lo, s23
	v_add_nc_u32_e32 v30, s22, v25
	s_wait_loadcnt_dscnt 0x0
	ds_store_b32 v26, v8
	v_cmp_gt_i32_e32 vcc_lo, s5, v30
	v_mov_b32_e32 v30, 0
	s_and_b32 s24, vcc_lo, s1
	s_delay_alu instid0(SALU_CYCLE_1)
	s_and_saveexec_b32 s23, s24
	s_cbranch_execz .LBB321_8
; %bb.12:                               ;   in Loop: Header=BB321_9 Depth=2
	flat_load_b32 v30, v[20:21]
	s_branch .LBB321_8
.LBB321_13:                             ;   in Loop: Header=BB321_6 Depth=1
	s_wait_loadcnt 0x0
	v_add_nc_u64_e32 v[16:17], s[2:3], v[16:17]
	s_delay_alu instid0(VALU_DEP_1)
	v_lshl_add_u64 v[18:19], v[2:3], 2, v[16:17]
	s_wait_xcnt 0x0
	s_and_saveexec_b32 s22, s18
	s_cbranch_execz .LBB321_17
; %bb.14:                               ;   in Loop: Header=BB321_6 Depth=1
	v_mul_f32_e32 v8, s6, v22
	v_lshl_add_u64 v[20:21], v[0:1], 2, v[18:19]
	s_and_b32 vcc_lo, exec_lo, s14
	s_cbranch_vccz .LBB321_28
; %bb.15:                               ;   in Loop: Header=BB321_6 Depth=1
	flat_load_b32 v22, v[20:21]
	s_wait_loadcnt_dscnt 0x0
	v_fma_f32 v22, s7, v22, v8
	flat_store_b32 v[20:21], v22
	s_cbranch_execnz .LBB321_17
.LBB321_16:                             ;   in Loop: Header=BB321_6 Depth=1
	flat_store_b32 v[20:21], v8
.LBB321_17:                             ;   in Loop: Header=BB321_6 Depth=1
	s_wait_xcnt 0x0
	s_or_b32 exec_lo, exec_lo, s22
	s_and_saveexec_b32 s22, s19
	s_cbranch_execz .LBB321_21
; %bb.18:                               ;   in Loop: Header=BB321_6 Depth=1
	v_mul_f32_e32 v8, s6, v23
	v_lshl_add_u64 v[18:19], v[6:7], 2, v[18:19]
	s_and_not1_b32 vcc_lo, exec_lo, s14
	s_cbranch_vccnz .LBB321_29
; %bb.19:                               ;   in Loop: Header=BB321_6 Depth=1
	flat_load_b32 v20, v[18:19]
	s_wait_loadcnt_dscnt 0x0
	v_fma_f32 v20, s7, v20, v8
	flat_store_b32 v[18:19], v20
	s_cbranch_execnz .LBB321_21
.LBB321_20:                             ;   in Loop: Header=BB321_6 Depth=1
	flat_store_b32 v[18:19], v8
.LBB321_21:                             ;   in Loop: Header=BB321_6 Depth=1
	s_wait_xcnt 0x0
	s_or_b32 exec_lo, exec_lo, s22
	v_lshl_add_u64 v[16:17], v[4:5], 2, v[16:17]
	s_and_saveexec_b32 s22, s9
	s_cbranch_execz .LBB321_25
; %bb.22:                               ;   in Loop: Header=BB321_6 Depth=1
	v_mul_f32_e32 v8, s6, v14
	s_delay_alu instid0(VALU_DEP_2)
	v_lshl_add_u64 v[18:19], v[0:1], 2, v[16:17]
	s_and_not1_b32 vcc_lo, exec_lo, s14
	s_cbranch_vccnz .LBB321_30
; %bb.23:                               ;   in Loop: Header=BB321_6 Depth=1
	flat_load_b32 v14, v[18:19]
	s_wait_loadcnt_dscnt 0x0
	v_fma_f32 v14, s7, v14, v8
	flat_store_b32 v[18:19], v14
	s_cbranch_execnz .LBB321_25
.LBB321_24:                             ;   in Loop: Header=BB321_6 Depth=1
	flat_store_b32 v[18:19], v8
.LBB321_25:                             ;   in Loop: Header=BB321_6 Depth=1
	s_wait_xcnt 0x0
	s_or_b32 exec_lo, exec_lo, s22
	s_and_saveexec_b32 s22, s4
	s_cbranch_execz .LBB321_5
; %bb.26:                               ;   in Loop: Header=BB321_6 Depth=1
	v_mul_f32_e32 v8, s6, v15
	v_lshl_add_u64 v[14:15], v[6:7], 2, v[16:17]
	s_and_not1_b32 vcc_lo, exec_lo, s14
	s_cbranch_vccnz .LBB321_31
; %bb.27:                               ;   in Loop: Header=BB321_6 Depth=1
	flat_load_b32 v16, v[14:15]
	s_wait_loadcnt_dscnt 0x0
	v_fma_f32 v16, s7, v16, v8
	flat_store_b32 v[14:15], v16
	s_cbranch_execnz .LBB321_5
	s_branch .LBB321_32
.LBB321_28:                             ;   in Loop: Header=BB321_6 Depth=1
	s_branch .LBB321_16
.LBB321_29:                             ;   in Loop: Header=BB321_6 Depth=1
	s_branch .LBB321_20
.LBB321_30:                             ;   in Loop: Header=BB321_6 Depth=1
	s_branch .LBB321_24
.LBB321_31:                             ;   in Loop: Header=BB321_6 Depth=1
.LBB321_32:                             ;   in Loop: Header=BB321_6 Depth=1
	flat_store_b32 v[14:15], v8
	s_branch .LBB321_5
.LBB321_33:
	s_endpgm
	.section	.rodata,"a",@progbits
	.p2align	6, 0x0
	.amdhsa_kernel _ZL29rocblas_internal_gemmt_kernelIiLi16ELi32ELi8ELc67ELc78ELc76ELb0ELb0EffPKPKfPKPfEviT_T9_T10_S7_lS9_S7_lS8_T11_S7_li
		.amdhsa_group_segment_fixed_size 2048
		.amdhsa_private_segment_fixed_size 0
		.amdhsa_kernarg_size 100
		.amdhsa_user_sgpr_count 2
		.amdhsa_user_sgpr_dispatch_ptr 0
		.amdhsa_user_sgpr_queue_ptr 0
		.amdhsa_user_sgpr_kernarg_segment_ptr 1
		.amdhsa_user_sgpr_dispatch_id 0
		.amdhsa_user_sgpr_kernarg_preload_length 0
		.amdhsa_user_sgpr_kernarg_preload_offset 0
		.amdhsa_user_sgpr_private_segment_size 0
		.amdhsa_wavefront_size32 1
		.amdhsa_uses_dynamic_stack 0
		.amdhsa_enable_private_segment 0
		.amdhsa_system_sgpr_workgroup_id_x 1
		.amdhsa_system_sgpr_workgroup_id_y 1
		.amdhsa_system_sgpr_workgroup_id_z 1
		.amdhsa_system_sgpr_workgroup_info 0
		.amdhsa_system_vgpr_workitem_id 1
		.amdhsa_next_free_vgpr 56
		.amdhsa_next_free_sgpr 31
		.amdhsa_named_barrier_count 0
		.amdhsa_reserve_vcc 1
		.amdhsa_float_round_mode_32 0
		.amdhsa_float_round_mode_16_64 0
		.amdhsa_float_denorm_mode_32 3
		.amdhsa_float_denorm_mode_16_64 3
		.amdhsa_fp16_overflow 0
		.amdhsa_memory_ordered 1
		.amdhsa_forward_progress 1
		.amdhsa_inst_pref_size 14
		.amdhsa_round_robin_scheduling 0
		.amdhsa_exception_fp_ieee_invalid_op 0
		.amdhsa_exception_fp_denorm_src 0
		.amdhsa_exception_fp_ieee_div_zero 0
		.amdhsa_exception_fp_ieee_overflow 0
		.amdhsa_exception_fp_ieee_underflow 0
		.amdhsa_exception_fp_ieee_inexact 0
		.amdhsa_exception_int_div_zero 0
	.end_amdhsa_kernel
	.section	.text._ZL29rocblas_internal_gemmt_kernelIiLi16ELi32ELi8ELc67ELc78ELc76ELb0ELb0EffPKPKfPKPfEviT_T9_T10_S7_lS9_S7_lS8_T11_S7_li,"axG",@progbits,_ZL29rocblas_internal_gemmt_kernelIiLi16ELi32ELi8ELc67ELc78ELc76ELb0ELb0EffPKPKfPKPfEviT_T9_T10_S7_lS9_S7_lS8_T11_S7_li,comdat
.Lfunc_end321:
	.size	_ZL29rocblas_internal_gemmt_kernelIiLi16ELi32ELi8ELc67ELc78ELc76ELb0ELb0EffPKPKfPKPfEviT_T9_T10_S7_lS9_S7_lS8_T11_S7_li, .Lfunc_end321-_ZL29rocblas_internal_gemmt_kernelIiLi16ELi32ELi8ELc67ELc78ELc76ELb0ELb0EffPKPKfPKPfEviT_T9_T10_S7_lS9_S7_lS8_T11_S7_li
                                        ; -- End function
	.set _ZL29rocblas_internal_gemmt_kernelIiLi16ELi32ELi8ELc67ELc78ELc76ELb0ELb0EffPKPKfPKPfEviT_T9_T10_S7_lS9_S7_lS8_T11_S7_li.num_vgpr, 56
	.set _ZL29rocblas_internal_gemmt_kernelIiLi16ELi32ELi8ELc67ELc78ELc76ELb0ELb0EffPKPKfPKPfEviT_T9_T10_S7_lS9_S7_lS8_T11_S7_li.num_agpr, 0
	.set _ZL29rocblas_internal_gemmt_kernelIiLi16ELi32ELi8ELc67ELc78ELc76ELb0ELb0EffPKPKfPKPfEviT_T9_T10_S7_lS9_S7_lS8_T11_S7_li.numbered_sgpr, 31
	.set _ZL29rocblas_internal_gemmt_kernelIiLi16ELi32ELi8ELc67ELc78ELc76ELb0ELb0EffPKPKfPKPfEviT_T9_T10_S7_lS9_S7_lS8_T11_S7_li.num_named_barrier, 0
	.set _ZL29rocblas_internal_gemmt_kernelIiLi16ELi32ELi8ELc67ELc78ELc76ELb0ELb0EffPKPKfPKPfEviT_T9_T10_S7_lS9_S7_lS8_T11_S7_li.private_seg_size, 0
	.set _ZL29rocblas_internal_gemmt_kernelIiLi16ELi32ELi8ELc67ELc78ELc76ELb0ELb0EffPKPKfPKPfEviT_T9_T10_S7_lS9_S7_lS8_T11_S7_li.uses_vcc, 1
	.set _ZL29rocblas_internal_gemmt_kernelIiLi16ELi32ELi8ELc67ELc78ELc76ELb0ELb0EffPKPKfPKPfEviT_T9_T10_S7_lS9_S7_lS8_T11_S7_li.uses_flat_scratch, 0
	.set _ZL29rocblas_internal_gemmt_kernelIiLi16ELi32ELi8ELc67ELc78ELc76ELb0ELb0EffPKPKfPKPfEviT_T9_T10_S7_lS9_S7_lS8_T11_S7_li.has_dyn_sized_stack, 0
	.set _ZL29rocblas_internal_gemmt_kernelIiLi16ELi32ELi8ELc67ELc78ELc76ELb0ELb0EffPKPKfPKPfEviT_T9_T10_S7_lS9_S7_lS8_T11_S7_li.has_recursion, 0
	.set _ZL29rocblas_internal_gemmt_kernelIiLi16ELi32ELi8ELc67ELc78ELc76ELb0ELb0EffPKPKfPKPfEviT_T9_T10_S7_lS9_S7_lS8_T11_S7_li.has_indirect_call, 0
	.section	.AMDGPU.csdata,"",@progbits
; Kernel info:
; codeLenInByte = 1680
; TotalNumSgprs: 33
; NumVgprs: 56
; ScratchSize: 0
; MemoryBound: 0
; FloatMode: 240
; IeeeMode: 1
; LDSByteSize: 2048 bytes/workgroup (compile time only)
; SGPRBlocks: 0
; VGPRBlocks: 3
; NumSGPRsForWavesPerEU: 33
; NumVGPRsForWavesPerEU: 56
; NamedBarCnt: 0
; Occupancy: 16
; WaveLimiterHint : 1
; COMPUTE_PGM_RSRC2:SCRATCH_EN: 0
; COMPUTE_PGM_RSRC2:USER_SGPR: 2
; COMPUTE_PGM_RSRC2:TRAP_HANDLER: 0
; COMPUTE_PGM_RSRC2:TGID_X_EN: 1
; COMPUTE_PGM_RSRC2:TGID_Y_EN: 1
; COMPUTE_PGM_RSRC2:TGID_Z_EN: 1
; COMPUTE_PGM_RSRC2:TIDIG_COMP_CNT: 1
	.section	.text._ZL29rocblas_internal_gemmt_kernelIiLi16ELi32ELi8ELc67ELc84ELc76ELb0ELb0EffPKPKfPKPfEviT_T9_T10_S7_lS9_S7_lS8_T11_S7_li,"axG",@progbits,_ZL29rocblas_internal_gemmt_kernelIiLi16ELi32ELi8ELc67ELc84ELc76ELb0ELb0EffPKPKfPKPfEviT_T9_T10_S7_lS9_S7_lS8_T11_S7_li,comdat
	.globl	_ZL29rocblas_internal_gemmt_kernelIiLi16ELi32ELi8ELc67ELc84ELc76ELb0ELb0EffPKPKfPKPfEviT_T9_T10_S7_lS9_S7_lS8_T11_S7_li ; -- Begin function _ZL29rocblas_internal_gemmt_kernelIiLi16ELi32ELi8ELc67ELc84ELc76ELb0ELb0EffPKPKfPKPfEviT_T9_T10_S7_lS9_S7_lS8_T11_S7_li
	.p2align	8
	.type	_ZL29rocblas_internal_gemmt_kernelIiLi16ELi32ELi8ELc67ELc84ELc76ELb0ELb0EffPKPKfPKPfEviT_T9_T10_S7_lS9_S7_lS8_T11_S7_li,@function
_ZL29rocblas_internal_gemmt_kernelIiLi16ELi32ELi8ELc67ELc84ELc76ELb0ELb0EffPKPKfPKPfEviT_T9_T10_S7_lS9_S7_lS8_T11_S7_li: ; @_ZL29rocblas_internal_gemmt_kernelIiLi16ELi32ELi8ELc67ELc84ELc76ELb0ELb0EffPKPKfPKPfEviT_T9_T10_S7_lS9_S7_lS8_T11_S7_li
; %bb.0:
	s_clause 0x1
	s_load_b32 s7, s[0:1], 0x40
	s_load_b96 s[4:6], s[0:1], 0x0
	s_wait_kmcnt 0x0
	s_cmp_neq_f32 s7, 1.0
	s_cselect_b32 s2, -1, 0
	s_delay_alu instid0(SALU_CYCLE_1)
	s_and_b32 vcc_lo, exec_lo, s2
	s_cbranch_vccnz .LBB322_2
; %bb.1:
	s_cmp_lg_u32 s5, 0
	s_cselect_b32 s2, -1, 0
	s_cmp_neq_f32 s6, 0
	s_cselect_b32 s3, -1, 0
	s_delay_alu instid0(SALU_CYCLE_1)
	s_and_b32 s2, s2, s3
.LBB322_2:
	s_delay_alu instid0(SALU_CYCLE_1)
	s_and_not1_b32 vcc_lo, exec_lo, s2
	s_cbranch_vccnz .LBB322_33
; %bb.3:
	s_load_b32 s15, s[0:1], 0x60
	s_bfe_u32 s2, ttmp6, 0x40014
	s_lshr_b32 s3, ttmp7, 16
	s_add_co_i32 s2, s2, 1
	s_bfe_u32 s9, ttmp6, 0x40008
	s_mul_i32 s8, s3, s2
	s_getreg_b32 s2, hwreg(HW_REG_IB_STS2, 6, 4)
	s_add_co_i32 s9, s9, s8
	s_cmp_eq_u32 s2, 0
	s_mov_b32 s21, 0
	s_cselect_b32 s20, s3, s9
	s_wait_kmcnt 0x0
	s_cmp_ge_u32 s20, s15
	s_cbranch_scc1 .LBB322_33
; %bb.4:
	s_clause 0x2
	s_load_b96 s[12:14], s[0:1], 0x10
	s_load_b32 s22, s[0:1], 0x30
	s_load_b96 s[16:18], s[0:1], 0x48
	v_and_b32_e32 v2, 0x3ff, v0
	v_bfe_u32 v11, v0, 10, 10
	s_clause 0x2
	s_load_b128 s[8:11], s[0:1], 0x20
	s_load_b64 s[24:25], s[0:1], 0x38
	s_load_b64 s[26:27], s[0:1], 0x58
	s_wait_xcnt 0x0
	s_bfe_u32 s0, ttmp6, 0x4000c
	s_bfe_u32 s1, ttmp6, 0x40010
	s_and_b32 s28, ttmp7, 0xffff
	s_add_co_i32 s29, s0, 1
	s_add_co_i32 s30, s1, 1
	v_lshl_add_u32 v1, v11, 4, v2
	s_and_b32 s19, ttmp6, 15
	v_and_b32_e32 v0, 7, v0
	v_lshl_add_u32 v29, v11, 5, 0x400
	s_delay_alu instid0(VALU_DEP_3)
	v_dual_mov_b32 v3, 0 :: v_dual_bitop2_b32 v6, 31, v1 bitop3:0x40
	v_dual_lshrrev_b32 v7, 3, v1 :: v_dual_lshrrev_b32 v26, 5, v1
	v_lshlrev_b32_e32 v28, 2, v2
	s_wait_kmcnt 0x0
	s_ashr_i32 s1, s14, 31
	s_mov_b32 s0, s14
	s_mul_i32 s14, ttmp9, s29
	s_mul_i32 s29, s28, s30
	s_bfe_u32 s30, ttmp6, 0x40004
	s_ashr_i32 s23, s22, 31
	s_ashr_i32 s3, s18, 31
	s_add_co_i32 s19, s19, s14
	s_add_co_i32 s30, s30, s29
	s_cmp_eq_u32 s2, 0
	s_cselect_b32 s2, ttmp9, s19
	s_cselect_b32 s14, s28, s30
	s_lshl_b32 s19, s2, 5
	s_lshl_b32 s14, s14, 5
	v_dual_mov_b32 v1, v3 :: v_dual_bitop2_b32 v4, s19, v6 bitop3:0x54
	v_add_nc_u32_e32 v12, s14, v11
	v_add_nc_u32_e32 v14, s14, v7
	s_mov_b32 s2, s18
	s_delay_alu instid0(VALU_DEP_3) | instskip(SKIP_3) | instid1(VALU_DEP_4)
	v_ashrrev_i32_e32 v5, 31, v4
	v_mul_u64_e32 v[18:19], s[22:23], v[0:1]
	v_dual_add_nc_u32 v20, 16, v12 :: v_dual_ashrrev_i32 v13, 31, v12
	v_ashrrev_i32_e32 v15, 31, v14
	v_mul_u64_e32 v[16:17], s[0:1], v[4:5]
	v_dual_lshlrev_b32 v5, 2, v6 :: v_dual_lshlrev_b32 v6, 2, v0
	s_delay_alu instid0(VALU_DEP_4) | instskip(SKIP_2) | instid1(VALU_DEP_4)
	v_ashrrev_i32_e32 v21, 31, v20
	v_cmp_gt_i32_e64 s0, s4, v4
	v_add_nc_u32_e32 v4, s19, v2
	v_lshl_or_b32 v1, v26, 7, v5
	v_lshl_or_b32 v5, v7, 5, v6
	v_mul_u64_e32 v[6:7], s[2:3], v[12:13]
	v_mul_u64_e32 v[8:9], s[2:3], v[20:21]
	s_cmp_neq_f32 s6, 0
	v_add_nc_u32_e32 v10, 16, v4
	v_cmp_le_i32_e32 vcc_lo, v12, v4
	v_cmp_gt_i32_e64 s2, s4, v4
	s_cselect_b32 s28, -1, 0
	s_cmp_gt_i32 s5, 0
	v_add_nc_u32_e32 v27, 0x400, v5
	s_cselect_b32 s29, -1, 0
	s_cmp_neq_f32 s7, 0
	v_ashrrev_i32_e32 v5, 31, v4
	v_cmp_le_i32_e64 s3, v12, v10
	v_lshlrev_b32_e32 v2, 2, v26
	s_cselect_b32 s14, -1, 0
	s_lshl_b64 s[8:9], s[8:9], 2
	s_and_b32 s18, vcc_lo, s2
	v_cmp_le_i32_e32 vcc_lo, v20, v4
	v_cmp_gt_i32_e64 s1, s4, v14
	v_cmp_gt_i32_e64 s4, s4, v10
	v_ashrrev_i32_e32 v11, 31, v10
	v_lshl_add_u64 v[12:13], v[16:17], 2, s[8:9]
	s_lshl_b64 s[8:9], s[24:25], 2
	s_and_b32 s24, vcc_lo, s2
	v_lshl_add_u64 v[16:17], v[18:19], 2, s[8:9]
	v_cmp_le_i32_e32 vcc_lo, v20, v10
	v_add_nc_u64_e32 v[12:13], v[12:13], v[2:3]
	s_and_b32 s19, s3, s4
	s_and_b32 s25, s28, s29
	v_lshl_add_u64 v[14:15], v[14:15], 2, v[16:17]
	s_and_b32 s4, vcc_lo, s4
	s_lshl_b64 s[2:3], s[22:23], 5
	s_lshl_b64 s[8:9], s[26:27], 2
	s_branch .LBB322_6
.LBB322_5:                              ;   in Loop: Header=BB322_6 Depth=1
	s_wait_xcnt 0x0
	s_or_b32 exec_lo, exec_lo, s22
	s_add_co_i32 s20, s20, 0x10000
	s_delay_alu instid0(SALU_CYCLE_1)
	s_cmp_lt_u32 s20, s15
	s_cbranch_scc0 .LBB322_33
.LBB322_6:                              ; =>This Loop Header: Depth=1
                                        ;     Child Loop BB322_9 Depth 2
	v_dual_mov_b32 v2, s20 :: v_dual_mov_b32 v25, 0
	v_dual_mov_b32 v24, 0 :: v_dual_mov_b32 v17, 0
	v_mov_b32_e32 v16, 0
	global_load_b64 v[18:19], v2, s[16:17] scale_offset
	s_and_not1_b32 vcc_lo, exec_lo, s25
	s_cbranch_vccnz .LBB322_13
; %bb.7:                                ;   in Loop: Header=BB322_6 Depth=1
	s_lshl_b64 s[22:23], s[20:21], 3
	v_mov_b32_e32 v16, 0
	s_add_nc_u64 s[26:27], s[12:13], s[22:23]
	s_add_nc_u64 s[22:23], s[10:11], s[22:23]
	s_clause 0x1
	global_load_b64 v[20:21], v3, s[26:27]
	global_load_b64 v[22:23], v3, s[22:23]
	s_wait_xcnt 0x0
	s_mov_b32 s22, 0
	v_dual_mov_b32 v17, v16 :: v_dual_mov_b32 v24, v16
	v_mov_b32_e32 v25, v16
	s_wait_loadcnt 0x1
	v_add_nc_u64_e32 v[20:21], v[20:21], v[12:13]
	s_wait_loadcnt 0x0
	v_add_nc_u64_e32 v[22:23], v[22:23], v[14:15]
	s_branch .LBB322_9
.LBB322_8:                              ;   in Loop: Header=BB322_9 Depth=2
	s_wait_xcnt 0x0
	s_or_b32 exec_lo, exec_lo, s23
	s_wait_loadcnt_dscnt 0x0
	ds_store_b32 v27, v30
	s_wait_dscnt 0x0
	s_barrier_signal -1
	s_barrier_wait -1
	ds_load_b128 v[30:33], v29
	ds_load_2addr_b32 v[46:47], v28 offset1:16
	ds_load_b128 v[34:37], v29 offset:512
	ds_load_2addr_b32 v[48:49], v28 offset0:32 offset1:48
	ds_load_2addr_b32 v[50:51], v28 offset0:64 offset1:80
	;; [unrolled: 1-line block ×3, first 2 shown]
	ds_load_b128 v[38:41], v29 offset:16
	ds_load_2addr_b32 v[54:55], v28 offset0:128 offset1:144
	ds_load_b128 v[42:45], v29 offset:528
	v_add_nc_u64_e32 v[20:21], 32, v[20:21]
	v_add_nc_u64_e32 v[22:23], s[2:3], v[22:23]
	s_add_co_i32 s22, s22, 8
	s_delay_alu instid0(SALU_CYCLE_1)
	s_cmp_lt_i32 s22, s5
	s_wait_dscnt 0x8
	v_mov_b32_e32 v2, v33
	s_wait_dscnt 0x7
	v_pk_fma_f32 v[24:25], v[46:47], v[30:31], v[24:25] op_sel_hi:[1,0,1]
	s_wait_dscnt 0x6
	v_pk_fma_f32 v[16:17], v[46:47], v[34:35], v[16:17] op_sel_hi:[1,0,1]
	ds_load_2addr_b32 v[46:47], v28 offset0:160 offset1:176
	s_wait_dscnt 0x6
	v_pk_fma_f32 v[24:25], v[48:49], v[30:31], v[24:25] op_sel:[0,1,0]
	v_pk_fma_f32 v[16:17], v[48:49], v[34:35], v[16:17] op_sel:[0,1,0]
	ds_load_2addr_b32 v[30:31], v28 offset0:192 offset1:208
	v_mov_b32_e32 v34, v37
	s_wait_dscnt 0x6
	v_pk_fma_f32 v[24:25], v[50:51], v[32:33], v[24:25] op_sel_hi:[1,0,1]
	v_pk_fma_f32 v[16:17], v[50:51], v[36:37], v[16:17] op_sel_hi:[1,0,1]
	ds_load_2addr_b32 v[32:33], v28 offset0:224 offset1:240
	s_wait_dscnt 0x0
	s_barrier_signal -1
	v_pk_fma_f32 v[24:25], v[52:53], v[2:3], v[24:25] op_sel_hi:[1,0,1]
	v_pk_fma_f32 v[16:17], v[52:53], v[34:35], v[16:17] op_sel_hi:[1,0,1]
	v_dual_mov_b32 v2, v41 :: v_dual_mov_b32 v34, v45
	s_barrier_wait -1
	s_delay_alu instid0(VALU_DEP_3) | instskip(NEXT) | instid1(VALU_DEP_3)
	v_pk_fma_f32 v[24:25], v[54:55], v[38:39], v[24:25] op_sel_hi:[1,0,1]
	v_pk_fma_f32 v[16:17], v[54:55], v[42:43], v[16:17] op_sel_hi:[1,0,1]
	s_delay_alu instid0(VALU_DEP_2) | instskip(NEXT) | instid1(VALU_DEP_2)
	v_pk_fma_f32 v[24:25], v[46:47], v[38:39], v[24:25] op_sel:[0,1,0]
	v_pk_fma_f32 v[16:17], v[46:47], v[42:43], v[16:17] op_sel:[0,1,0]
	s_delay_alu instid0(VALU_DEP_2) | instskip(NEXT) | instid1(VALU_DEP_2)
	v_pk_fma_f32 v[24:25], v[30:31], v[40:41], v[24:25] op_sel_hi:[1,0,1]
	v_pk_fma_f32 v[16:17], v[30:31], v[44:45], v[16:17] op_sel_hi:[1,0,1]
	s_delay_alu instid0(VALU_DEP_2) | instskip(NEXT) | instid1(VALU_DEP_2)
	v_pk_fma_f32 v[24:25], v[32:33], v[2:3], v[24:25] op_sel_hi:[1,0,1]
	v_pk_fma_f32 v[16:17], v[32:33], v[34:35], v[16:17] op_sel_hi:[1,0,1]
	s_cbranch_scc0 .LBB322_13
.LBB322_9:                              ;   Parent Loop BB322_6 Depth=1
                                        ; =>  This Inner Loop Header: Depth=2
	v_add_nc_u32_e32 v2, s22, v26
	s_delay_alu instid0(VALU_DEP_1) | instskip(SKIP_2) | instid1(SALU_CYCLE_1)
	v_cmp_gt_i32_e32 vcc_lo, s5, v2
	v_mov_b32_e32 v2, 0
	s_and_b32 s26, s0, vcc_lo
	s_and_saveexec_b32 s23, s26
	s_cbranch_execz .LBB322_11
; %bb.10:                               ;   in Loop: Header=BB322_9 Depth=2
	flat_load_b32 v2, v[20:21]
.LBB322_11:                             ;   in Loop: Header=BB322_9 Depth=2
	s_wait_xcnt 0x0
	s_or_b32 exec_lo, exec_lo, s23
	v_add_nc_u32_e32 v30, s22, v0
	s_wait_loadcnt_dscnt 0x0
	ds_store_b32 v1, v2
	v_cmp_gt_i32_e32 vcc_lo, s5, v30
	v_mov_b32_e32 v30, 0
	s_and_b32 s26, vcc_lo, s1
	s_delay_alu instid0(SALU_CYCLE_1)
	s_and_saveexec_b32 s23, s26
	s_cbranch_execz .LBB322_8
; %bb.12:                               ;   in Loop: Header=BB322_9 Depth=2
	flat_load_b32 v30, v[22:23]
	s_branch .LBB322_8
.LBB322_13:                             ;   in Loop: Header=BB322_6 Depth=1
	s_wait_loadcnt 0x0
	v_add_nc_u64_e32 v[18:19], s[8:9], v[18:19]
	s_delay_alu instid0(VALU_DEP_1)
	v_lshl_add_u64 v[20:21], v[6:7], 2, v[18:19]
	s_wait_xcnt 0x0
	s_and_saveexec_b32 s22, s18
	s_cbranch_execz .LBB322_17
; %bb.14:                               ;   in Loop: Header=BB322_6 Depth=1
	v_mul_f32_e32 v2, s6, v24
	v_lshl_add_u64 v[22:23], v[4:5], 2, v[20:21]
	s_and_b32 vcc_lo, exec_lo, s14
	s_cbranch_vccz .LBB322_28
; %bb.15:                               ;   in Loop: Header=BB322_6 Depth=1
	flat_load_b32 v24, v[22:23]
	s_wait_loadcnt_dscnt 0x0
	v_fma_f32 v24, s7, v24, v2
	flat_store_b32 v[22:23], v24
	s_cbranch_execnz .LBB322_17
.LBB322_16:                             ;   in Loop: Header=BB322_6 Depth=1
	flat_store_b32 v[22:23], v2
.LBB322_17:                             ;   in Loop: Header=BB322_6 Depth=1
	s_wait_xcnt 0x0
	s_or_b32 exec_lo, exec_lo, s22
	s_and_saveexec_b32 s22, s19
	s_cbranch_execz .LBB322_21
; %bb.18:                               ;   in Loop: Header=BB322_6 Depth=1
	v_mul_f32_e32 v2, s6, v25
	v_lshl_add_u64 v[20:21], v[10:11], 2, v[20:21]
	s_and_not1_b32 vcc_lo, exec_lo, s14
	s_cbranch_vccnz .LBB322_29
; %bb.19:                               ;   in Loop: Header=BB322_6 Depth=1
	flat_load_b32 v22, v[20:21]
	s_wait_loadcnt_dscnt 0x0
	v_fma_f32 v22, s7, v22, v2
	flat_store_b32 v[20:21], v22
	s_cbranch_execnz .LBB322_21
.LBB322_20:                             ;   in Loop: Header=BB322_6 Depth=1
	flat_store_b32 v[20:21], v2
.LBB322_21:                             ;   in Loop: Header=BB322_6 Depth=1
	s_wait_xcnt 0x0
	s_or_b32 exec_lo, exec_lo, s22
	v_lshl_add_u64 v[18:19], v[8:9], 2, v[18:19]
	s_and_saveexec_b32 s22, s24
	s_cbranch_execz .LBB322_25
; %bb.22:                               ;   in Loop: Header=BB322_6 Depth=1
	v_mul_f32_e32 v2, s6, v16
	s_delay_alu instid0(VALU_DEP_2)
	v_lshl_add_u64 v[20:21], v[4:5], 2, v[18:19]
	s_and_not1_b32 vcc_lo, exec_lo, s14
	s_cbranch_vccnz .LBB322_30
; %bb.23:                               ;   in Loop: Header=BB322_6 Depth=1
	flat_load_b32 v16, v[20:21]
	s_wait_loadcnt_dscnt 0x0
	v_fma_f32 v16, s7, v16, v2
	flat_store_b32 v[20:21], v16
	s_cbranch_execnz .LBB322_25
.LBB322_24:                             ;   in Loop: Header=BB322_6 Depth=1
	flat_store_b32 v[20:21], v2
.LBB322_25:                             ;   in Loop: Header=BB322_6 Depth=1
	s_wait_xcnt 0x0
	s_or_b32 exec_lo, exec_lo, s22
	s_and_saveexec_b32 s22, s4
	s_cbranch_execz .LBB322_5
; %bb.26:                               ;   in Loop: Header=BB322_6 Depth=1
	v_mul_f32_e32 v2, s6, v17
	v_lshl_add_u64 v[16:17], v[10:11], 2, v[18:19]
	s_and_not1_b32 vcc_lo, exec_lo, s14
	s_cbranch_vccnz .LBB322_31
; %bb.27:                               ;   in Loop: Header=BB322_6 Depth=1
	flat_load_b32 v18, v[16:17]
	s_wait_loadcnt_dscnt 0x0
	v_fma_f32 v18, s7, v18, v2
	flat_store_b32 v[16:17], v18
	s_cbranch_execnz .LBB322_5
	s_branch .LBB322_32
.LBB322_28:                             ;   in Loop: Header=BB322_6 Depth=1
	s_branch .LBB322_16
.LBB322_29:                             ;   in Loop: Header=BB322_6 Depth=1
	s_branch .LBB322_20
.LBB322_30:                             ;   in Loop: Header=BB322_6 Depth=1
	s_branch .LBB322_24
.LBB322_31:                             ;   in Loop: Header=BB322_6 Depth=1
.LBB322_32:                             ;   in Loop: Header=BB322_6 Depth=1
	flat_store_b32 v[16:17], v2
	s_branch .LBB322_5
.LBB322_33:
	s_endpgm
	.section	.rodata,"a",@progbits
	.p2align	6, 0x0
	.amdhsa_kernel _ZL29rocblas_internal_gemmt_kernelIiLi16ELi32ELi8ELc67ELc84ELc76ELb0ELb0EffPKPKfPKPfEviT_T9_T10_S7_lS9_S7_lS8_T11_S7_li
		.amdhsa_group_segment_fixed_size 2048
		.amdhsa_private_segment_fixed_size 0
		.amdhsa_kernarg_size 100
		.amdhsa_user_sgpr_count 2
		.amdhsa_user_sgpr_dispatch_ptr 0
		.amdhsa_user_sgpr_queue_ptr 0
		.amdhsa_user_sgpr_kernarg_segment_ptr 1
		.amdhsa_user_sgpr_dispatch_id 0
		.amdhsa_user_sgpr_kernarg_preload_length 0
		.amdhsa_user_sgpr_kernarg_preload_offset 0
		.amdhsa_user_sgpr_private_segment_size 0
		.amdhsa_wavefront_size32 1
		.amdhsa_uses_dynamic_stack 0
		.amdhsa_enable_private_segment 0
		.amdhsa_system_sgpr_workgroup_id_x 1
		.amdhsa_system_sgpr_workgroup_id_y 1
		.amdhsa_system_sgpr_workgroup_id_z 1
		.amdhsa_system_sgpr_workgroup_info 0
		.amdhsa_system_vgpr_workitem_id 1
		.amdhsa_next_free_vgpr 56
		.amdhsa_next_free_sgpr 31
		.amdhsa_named_barrier_count 0
		.amdhsa_reserve_vcc 1
		.amdhsa_float_round_mode_32 0
		.amdhsa_float_round_mode_16_64 0
		.amdhsa_float_denorm_mode_32 3
		.amdhsa_float_denorm_mode_16_64 3
		.amdhsa_fp16_overflow 0
		.amdhsa_memory_ordered 1
		.amdhsa_forward_progress 1
		.amdhsa_inst_pref_size 13
		.amdhsa_round_robin_scheduling 0
		.amdhsa_exception_fp_ieee_invalid_op 0
		.amdhsa_exception_fp_denorm_src 0
		.amdhsa_exception_fp_ieee_div_zero 0
		.amdhsa_exception_fp_ieee_overflow 0
		.amdhsa_exception_fp_ieee_underflow 0
		.amdhsa_exception_fp_ieee_inexact 0
		.amdhsa_exception_int_div_zero 0
	.end_amdhsa_kernel
	.section	.text._ZL29rocblas_internal_gemmt_kernelIiLi16ELi32ELi8ELc67ELc84ELc76ELb0ELb0EffPKPKfPKPfEviT_T9_T10_S7_lS9_S7_lS8_T11_S7_li,"axG",@progbits,_ZL29rocblas_internal_gemmt_kernelIiLi16ELi32ELi8ELc67ELc84ELc76ELb0ELb0EffPKPKfPKPfEviT_T9_T10_S7_lS9_S7_lS8_T11_S7_li,comdat
.Lfunc_end322:
	.size	_ZL29rocblas_internal_gemmt_kernelIiLi16ELi32ELi8ELc67ELc84ELc76ELb0ELb0EffPKPKfPKPfEviT_T9_T10_S7_lS9_S7_lS8_T11_S7_li, .Lfunc_end322-_ZL29rocblas_internal_gemmt_kernelIiLi16ELi32ELi8ELc67ELc84ELc76ELb0ELb0EffPKPKfPKPfEviT_T9_T10_S7_lS9_S7_lS8_T11_S7_li
                                        ; -- End function
	.set _ZL29rocblas_internal_gemmt_kernelIiLi16ELi32ELi8ELc67ELc84ELc76ELb0ELb0EffPKPKfPKPfEviT_T9_T10_S7_lS9_S7_lS8_T11_S7_li.num_vgpr, 56
	.set _ZL29rocblas_internal_gemmt_kernelIiLi16ELi32ELi8ELc67ELc84ELc76ELb0ELb0EffPKPKfPKPfEviT_T9_T10_S7_lS9_S7_lS8_T11_S7_li.num_agpr, 0
	.set _ZL29rocblas_internal_gemmt_kernelIiLi16ELi32ELi8ELc67ELc84ELc76ELb0ELb0EffPKPKfPKPfEviT_T9_T10_S7_lS9_S7_lS8_T11_S7_li.numbered_sgpr, 31
	.set _ZL29rocblas_internal_gemmt_kernelIiLi16ELi32ELi8ELc67ELc84ELc76ELb0ELb0EffPKPKfPKPfEviT_T9_T10_S7_lS9_S7_lS8_T11_S7_li.num_named_barrier, 0
	.set _ZL29rocblas_internal_gemmt_kernelIiLi16ELi32ELi8ELc67ELc84ELc76ELb0ELb0EffPKPKfPKPfEviT_T9_T10_S7_lS9_S7_lS8_T11_S7_li.private_seg_size, 0
	.set _ZL29rocblas_internal_gemmt_kernelIiLi16ELi32ELi8ELc67ELc84ELc76ELb0ELb0EffPKPKfPKPfEviT_T9_T10_S7_lS9_S7_lS8_T11_S7_li.uses_vcc, 1
	.set _ZL29rocblas_internal_gemmt_kernelIiLi16ELi32ELi8ELc67ELc84ELc76ELb0ELb0EffPKPKfPKPfEviT_T9_T10_S7_lS9_S7_lS8_T11_S7_li.uses_flat_scratch, 0
	.set _ZL29rocblas_internal_gemmt_kernelIiLi16ELi32ELi8ELc67ELc84ELc76ELb0ELb0EffPKPKfPKPfEviT_T9_T10_S7_lS9_S7_lS8_T11_S7_li.has_dyn_sized_stack, 0
	.set _ZL29rocblas_internal_gemmt_kernelIiLi16ELi32ELi8ELc67ELc84ELc76ELb0ELb0EffPKPKfPKPfEviT_T9_T10_S7_lS9_S7_lS8_T11_S7_li.has_recursion, 0
	.set _ZL29rocblas_internal_gemmt_kernelIiLi16ELi32ELi8ELc67ELc84ELc76ELb0ELb0EffPKPKfPKPfEviT_T9_T10_S7_lS9_S7_lS8_T11_S7_li.has_indirect_call, 0
	.section	.AMDGPU.csdata,"",@progbits
; Kernel info:
; codeLenInByte = 1660
; TotalNumSgprs: 33
; NumVgprs: 56
; ScratchSize: 0
; MemoryBound: 0
; FloatMode: 240
; IeeeMode: 1
; LDSByteSize: 2048 bytes/workgroup (compile time only)
; SGPRBlocks: 0
; VGPRBlocks: 3
; NumSGPRsForWavesPerEU: 33
; NumVGPRsForWavesPerEU: 56
; NamedBarCnt: 0
; Occupancy: 16
; WaveLimiterHint : 1
; COMPUTE_PGM_RSRC2:SCRATCH_EN: 0
; COMPUTE_PGM_RSRC2:USER_SGPR: 2
; COMPUTE_PGM_RSRC2:TRAP_HANDLER: 0
; COMPUTE_PGM_RSRC2:TGID_X_EN: 1
; COMPUTE_PGM_RSRC2:TGID_Y_EN: 1
; COMPUTE_PGM_RSRC2:TGID_Z_EN: 1
; COMPUTE_PGM_RSRC2:TIDIG_COMP_CNT: 1
	.section	.text._ZL29rocblas_internal_gemmt_kernelIiLi16ELi32ELi8ELc67ELc67ELc76ELb0ELb0EffPKPKfPKPfEviT_T9_T10_S7_lS9_S7_lS8_T11_S7_li,"axG",@progbits,_ZL29rocblas_internal_gemmt_kernelIiLi16ELi32ELi8ELc67ELc67ELc76ELb0ELb0EffPKPKfPKPfEviT_T9_T10_S7_lS9_S7_lS8_T11_S7_li,comdat
	.globl	_ZL29rocblas_internal_gemmt_kernelIiLi16ELi32ELi8ELc67ELc67ELc76ELb0ELb0EffPKPKfPKPfEviT_T9_T10_S7_lS9_S7_lS8_T11_S7_li ; -- Begin function _ZL29rocblas_internal_gemmt_kernelIiLi16ELi32ELi8ELc67ELc67ELc76ELb0ELb0EffPKPKfPKPfEviT_T9_T10_S7_lS9_S7_lS8_T11_S7_li
	.p2align	8
	.type	_ZL29rocblas_internal_gemmt_kernelIiLi16ELi32ELi8ELc67ELc67ELc76ELb0ELb0EffPKPKfPKPfEviT_T9_T10_S7_lS9_S7_lS8_T11_S7_li,@function
_ZL29rocblas_internal_gemmt_kernelIiLi16ELi32ELi8ELc67ELc67ELc76ELb0ELb0EffPKPKfPKPfEviT_T9_T10_S7_lS9_S7_lS8_T11_S7_li: ; @_ZL29rocblas_internal_gemmt_kernelIiLi16ELi32ELi8ELc67ELc67ELc76ELb0ELb0EffPKPKfPKPfEviT_T9_T10_S7_lS9_S7_lS8_T11_S7_li
; %bb.0:
	s_clause 0x1
	s_load_b32 s7, s[0:1], 0x40
	s_load_b96 s[4:6], s[0:1], 0x0
	s_wait_kmcnt 0x0
	s_cmp_neq_f32 s7, 1.0
	s_cselect_b32 s2, -1, 0
	s_delay_alu instid0(SALU_CYCLE_1)
	s_and_b32 vcc_lo, exec_lo, s2
	s_cbranch_vccnz .LBB323_2
; %bb.1:
	s_cmp_lg_u32 s5, 0
	s_cselect_b32 s2, -1, 0
	s_cmp_neq_f32 s6, 0
	s_cselect_b32 s3, -1, 0
	s_delay_alu instid0(SALU_CYCLE_1)
	s_and_b32 s2, s2, s3
.LBB323_2:
	s_delay_alu instid0(SALU_CYCLE_1)
	s_and_not1_b32 vcc_lo, exec_lo, s2
	s_cbranch_vccnz .LBB323_33
; %bb.3:
	s_load_b32 s15, s[0:1], 0x60
	s_bfe_u32 s2, ttmp6, 0x40014
	s_lshr_b32 s3, ttmp7, 16
	s_add_co_i32 s2, s2, 1
	s_bfe_u32 s9, ttmp6, 0x40008
	s_mul_i32 s8, s3, s2
	s_getreg_b32 s2, hwreg(HW_REG_IB_STS2, 6, 4)
	s_add_co_i32 s9, s9, s8
	s_cmp_eq_u32 s2, 0
	s_mov_b32 s21, 0
	s_cselect_b32 s20, s3, s9
	s_wait_kmcnt 0x0
	s_cmp_ge_u32 s20, s15
	s_cbranch_scc1 .LBB323_33
; %bb.4:
	s_clause 0x2
	s_load_b96 s[12:14], s[0:1], 0x10
	s_load_b32 s22, s[0:1], 0x30
	s_load_b96 s[16:18], s[0:1], 0x48
	v_and_b32_e32 v2, 0x3ff, v0
	v_bfe_u32 v11, v0, 10, 10
	s_clause 0x2
	s_load_b128 s[8:11], s[0:1], 0x20
	s_load_b64 s[24:25], s[0:1], 0x38
	s_load_b64 s[26:27], s[0:1], 0x58
	s_wait_xcnt 0x0
	s_bfe_u32 s0, ttmp6, 0x4000c
	s_bfe_u32 s1, ttmp6, 0x40010
	s_and_b32 s28, ttmp7, 0xffff
	s_add_co_i32 s29, s0, 1
	s_add_co_i32 s30, s1, 1
	v_lshl_add_u32 v1, v11, 4, v2
	s_and_b32 s19, ttmp6, 15
	v_and_b32_e32 v0, 7, v0
	v_lshl_add_u32 v29, v11, 5, 0x400
	s_delay_alu instid0(VALU_DEP_3)
	v_dual_mov_b32 v3, 0 :: v_dual_bitop2_b32 v6, 31, v1 bitop3:0x40
	v_dual_lshrrev_b32 v7, 3, v1 :: v_dual_lshrrev_b32 v26, 5, v1
	v_lshlrev_b32_e32 v28, 2, v2
	s_wait_kmcnt 0x0
	s_ashr_i32 s1, s14, 31
	s_mov_b32 s0, s14
	s_mul_i32 s14, ttmp9, s29
	s_mul_i32 s29, s28, s30
	s_bfe_u32 s30, ttmp6, 0x40004
	s_ashr_i32 s23, s22, 31
	s_ashr_i32 s3, s18, 31
	s_add_co_i32 s19, s19, s14
	s_add_co_i32 s30, s30, s29
	s_cmp_eq_u32 s2, 0
	s_cselect_b32 s2, ttmp9, s19
	s_cselect_b32 s14, s28, s30
	s_lshl_b32 s19, s2, 5
	s_lshl_b32 s14, s14, 5
	v_dual_mov_b32 v1, v3 :: v_dual_bitop2_b32 v4, s19, v6 bitop3:0x54
	v_add_nc_u32_e32 v12, s14, v11
	v_add_nc_u32_e32 v14, s14, v7
	s_mov_b32 s2, s18
	s_delay_alu instid0(VALU_DEP_3) | instskip(SKIP_3) | instid1(VALU_DEP_4)
	v_ashrrev_i32_e32 v5, 31, v4
	v_mul_u64_e32 v[18:19], s[22:23], v[0:1]
	v_dual_add_nc_u32 v20, 16, v12 :: v_dual_ashrrev_i32 v13, 31, v12
	v_ashrrev_i32_e32 v15, 31, v14
	v_mul_u64_e32 v[16:17], s[0:1], v[4:5]
	v_dual_lshlrev_b32 v5, 2, v6 :: v_dual_lshlrev_b32 v6, 2, v0
	s_delay_alu instid0(VALU_DEP_4) | instskip(SKIP_2) | instid1(VALU_DEP_4)
	v_ashrrev_i32_e32 v21, 31, v20
	v_cmp_gt_i32_e64 s0, s4, v4
	v_add_nc_u32_e32 v4, s19, v2
	v_lshl_or_b32 v1, v26, 7, v5
	v_lshl_or_b32 v5, v7, 5, v6
	v_mul_u64_e32 v[6:7], s[2:3], v[12:13]
	v_mul_u64_e32 v[8:9], s[2:3], v[20:21]
	s_cmp_neq_f32 s6, 0
	v_add_nc_u32_e32 v10, 16, v4
	v_cmp_le_i32_e32 vcc_lo, v12, v4
	v_cmp_gt_i32_e64 s2, s4, v4
	s_cselect_b32 s28, -1, 0
	s_cmp_gt_i32 s5, 0
	v_add_nc_u32_e32 v27, 0x400, v5
	s_cselect_b32 s29, -1, 0
	s_cmp_neq_f32 s7, 0
	v_ashrrev_i32_e32 v5, 31, v4
	v_cmp_le_i32_e64 s3, v12, v10
	v_lshlrev_b32_e32 v2, 2, v26
	s_cselect_b32 s14, -1, 0
	s_lshl_b64 s[8:9], s[8:9], 2
	s_and_b32 s18, vcc_lo, s2
	v_cmp_le_i32_e32 vcc_lo, v20, v4
	v_cmp_gt_i32_e64 s1, s4, v14
	v_cmp_gt_i32_e64 s4, s4, v10
	v_ashrrev_i32_e32 v11, 31, v10
	v_lshl_add_u64 v[12:13], v[16:17], 2, s[8:9]
	s_lshl_b64 s[8:9], s[24:25], 2
	s_and_b32 s24, vcc_lo, s2
	v_lshl_add_u64 v[16:17], v[18:19], 2, s[8:9]
	v_cmp_le_i32_e32 vcc_lo, v20, v10
	v_add_nc_u64_e32 v[12:13], v[12:13], v[2:3]
	s_and_b32 s19, s3, s4
	s_and_b32 s25, s28, s29
	v_lshl_add_u64 v[14:15], v[14:15], 2, v[16:17]
	s_and_b32 s4, vcc_lo, s4
	s_lshl_b64 s[2:3], s[22:23], 5
	s_lshl_b64 s[8:9], s[26:27], 2
	s_branch .LBB323_6
.LBB323_5:                              ;   in Loop: Header=BB323_6 Depth=1
	s_wait_xcnt 0x0
	s_or_b32 exec_lo, exec_lo, s22
	s_add_co_i32 s20, s20, 0x10000
	s_delay_alu instid0(SALU_CYCLE_1)
	s_cmp_lt_u32 s20, s15
	s_cbranch_scc0 .LBB323_33
.LBB323_6:                              ; =>This Loop Header: Depth=1
                                        ;     Child Loop BB323_9 Depth 2
	v_dual_mov_b32 v2, s20 :: v_dual_mov_b32 v25, 0
	v_dual_mov_b32 v24, 0 :: v_dual_mov_b32 v17, 0
	v_mov_b32_e32 v16, 0
	global_load_b64 v[18:19], v2, s[16:17] scale_offset
	s_and_not1_b32 vcc_lo, exec_lo, s25
	s_cbranch_vccnz .LBB323_13
; %bb.7:                                ;   in Loop: Header=BB323_6 Depth=1
	s_lshl_b64 s[22:23], s[20:21], 3
	v_mov_b32_e32 v16, 0
	s_add_nc_u64 s[26:27], s[12:13], s[22:23]
	s_add_nc_u64 s[22:23], s[10:11], s[22:23]
	s_clause 0x1
	global_load_b64 v[20:21], v3, s[26:27]
	global_load_b64 v[22:23], v3, s[22:23]
	s_wait_xcnt 0x0
	s_mov_b32 s22, 0
	v_dual_mov_b32 v17, v16 :: v_dual_mov_b32 v24, v16
	v_mov_b32_e32 v25, v16
	s_wait_loadcnt 0x1
	v_add_nc_u64_e32 v[20:21], v[20:21], v[12:13]
	s_wait_loadcnt 0x0
	v_add_nc_u64_e32 v[22:23], v[22:23], v[14:15]
	s_branch .LBB323_9
.LBB323_8:                              ;   in Loop: Header=BB323_9 Depth=2
	s_wait_xcnt 0x0
	s_or_b32 exec_lo, exec_lo, s23
	s_wait_loadcnt_dscnt 0x0
	ds_store_b32 v27, v30
	s_wait_dscnt 0x0
	s_barrier_signal -1
	s_barrier_wait -1
	ds_load_b128 v[30:33], v29
	ds_load_2addr_b32 v[46:47], v28 offset1:16
	ds_load_b128 v[34:37], v29 offset:512
	ds_load_2addr_b32 v[48:49], v28 offset0:32 offset1:48
	ds_load_2addr_b32 v[50:51], v28 offset0:64 offset1:80
	;; [unrolled: 1-line block ×3, first 2 shown]
	ds_load_b128 v[38:41], v29 offset:16
	ds_load_2addr_b32 v[54:55], v28 offset0:128 offset1:144
	ds_load_b128 v[42:45], v29 offset:528
	v_add_nc_u64_e32 v[20:21], 32, v[20:21]
	v_add_nc_u64_e32 v[22:23], s[2:3], v[22:23]
	s_add_co_i32 s22, s22, 8
	s_delay_alu instid0(SALU_CYCLE_1)
	s_cmp_lt_i32 s22, s5
	s_wait_dscnt 0x8
	v_mov_b32_e32 v2, v33
	s_wait_dscnt 0x7
	v_pk_fma_f32 v[24:25], v[46:47], v[30:31], v[24:25] op_sel_hi:[1,0,1]
	s_wait_dscnt 0x6
	v_pk_fma_f32 v[16:17], v[46:47], v[34:35], v[16:17] op_sel_hi:[1,0,1]
	ds_load_2addr_b32 v[46:47], v28 offset0:160 offset1:176
	s_wait_dscnt 0x6
	v_pk_fma_f32 v[24:25], v[48:49], v[30:31], v[24:25] op_sel:[0,1,0]
	v_pk_fma_f32 v[16:17], v[48:49], v[34:35], v[16:17] op_sel:[0,1,0]
	ds_load_2addr_b32 v[30:31], v28 offset0:192 offset1:208
	v_mov_b32_e32 v34, v37
	s_wait_dscnt 0x6
	v_pk_fma_f32 v[24:25], v[50:51], v[32:33], v[24:25] op_sel_hi:[1,0,1]
	v_pk_fma_f32 v[16:17], v[50:51], v[36:37], v[16:17] op_sel_hi:[1,0,1]
	ds_load_2addr_b32 v[32:33], v28 offset0:224 offset1:240
	s_wait_dscnt 0x0
	s_barrier_signal -1
	v_pk_fma_f32 v[24:25], v[52:53], v[2:3], v[24:25] op_sel_hi:[1,0,1]
	v_pk_fma_f32 v[16:17], v[52:53], v[34:35], v[16:17] op_sel_hi:[1,0,1]
	v_dual_mov_b32 v2, v41 :: v_dual_mov_b32 v34, v45
	s_barrier_wait -1
	s_delay_alu instid0(VALU_DEP_3) | instskip(NEXT) | instid1(VALU_DEP_3)
	v_pk_fma_f32 v[24:25], v[54:55], v[38:39], v[24:25] op_sel_hi:[1,0,1]
	v_pk_fma_f32 v[16:17], v[54:55], v[42:43], v[16:17] op_sel_hi:[1,0,1]
	s_delay_alu instid0(VALU_DEP_2) | instskip(NEXT) | instid1(VALU_DEP_2)
	v_pk_fma_f32 v[24:25], v[46:47], v[38:39], v[24:25] op_sel:[0,1,0]
	v_pk_fma_f32 v[16:17], v[46:47], v[42:43], v[16:17] op_sel:[0,1,0]
	s_delay_alu instid0(VALU_DEP_2) | instskip(NEXT) | instid1(VALU_DEP_2)
	v_pk_fma_f32 v[24:25], v[30:31], v[40:41], v[24:25] op_sel_hi:[1,0,1]
	v_pk_fma_f32 v[16:17], v[30:31], v[44:45], v[16:17] op_sel_hi:[1,0,1]
	s_delay_alu instid0(VALU_DEP_2) | instskip(NEXT) | instid1(VALU_DEP_2)
	v_pk_fma_f32 v[24:25], v[32:33], v[2:3], v[24:25] op_sel_hi:[1,0,1]
	v_pk_fma_f32 v[16:17], v[32:33], v[34:35], v[16:17] op_sel_hi:[1,0,1]
	s_cbranch_scc0 .LBB323_13
.LBB323_9:                              ;   Parent Loop BB323_6 Depth=1
                                        ; =>  This Inner Loop Header: Depth=2
	v_add_nc_u32_e32 v2, s22, v26
	s_delay_alu instid0(VALU_DEP_1) | instskip(SKIP_2) | instid1(SALU_CYCLE_1)
	v_cmp_gt_i32_e32 vcc_lo, s5, v2
	v_mov_b32_e32 v2, 0
	s_and_b32 s26, s0, vcc_lo
	s_and_saveexec_b32 s23, s26
	s_cbranch_execz .LBB323_11
; %bb.10:                               ;   in Loop: Header=BB323_9 Depth=2
	flat_load_b32 v2, v[20:21]
.LBB323_11:                             ;   in Loop: Header=BB323_9 Depth=2
	s_wait_xcnt 0x0
	s_or_b32 exec_lo, exec_lo, s23
	v_add_nc_u32_e32 v30, s22, v0
	s_wait_loadcnt_dscnt 0x0
	ds_store_b32 v1, v2
	v_cmp_gt_i32_e32 vcc_lo, s5, v30
	v_mov_b32_e32 v30, 0
	s_and_b32 s26, vcc_lo, s1
	s_delay_alu instid0(SALU_CYCLE_1)
	s_and_saveexec_b32 s23, s26
	s_cbranch_execz .LBB323_8
; %bb.12:                               ;   in Loop: Header=BB323_9 Depth=2
	flat_load_b32 v30, v[22:23]
	s_branch .LBB323_8
.LBB323_13:                             ;   in Loop: Header=BB323_6 Depth=1
	s_wait_loadcnt 0x0
	v_add_nc_u64_e32 v[18:19], s[8:9], v[18:19]
	s_delay_alu instid0(VALU_DEP_1)
	v_lshl_add_u64 v[20:21], v[6:7], 2, v[18:19]
	s_wait_xcnt 0x0
	s_and_saveexec_b32 s22, s18
	s_cbranch_execz .LBB323_17
; %bb.14:                               ;   in Loop: Header=BB323_6 Depth=1
	v_mul_f32_e32 v2, s6, v24
	v_lshl_add_u64 v[22:23], v[4:5], 2, v[20:21]
	s_and_b32 vcc_lo, exec_lo, s14
	s_cbranch_vccz .LBB323_28
; %bb.15:                               ;   in Loop: Header=BB323_6 Depth=1
	flat_load_b32 v24, v[22:23]
	s_wait_loadcnt_dscnt 0x0
	v_fma_f32 v24, s7, v24, v2
	flat_store_b32 v[22:23], v24
	s_cbranch_execnz .LBB323_17
.LBB323_16:                             ;   in Loop: Header=BB323_6 Depth=1
	flat_store_b32 v[22:23], v2
.LBB323_17:                             ;   in Loop: Header=BB323_6 Depth=1
	s_wait_xcnt 0x0
	s_or_b32 exec_lo, exec_lo, s22
	s_and_saveexec_b32 s22, s19
	s_cbranch_execz .LBB323_21
; %bb.18:                               ;   in Loop: Header=BB323_6 Depth=1
	v_mul_f32_e32 v2, s6, v25
	v_lshl_add_u64 v[20:21], v[10:11], 2, v[20:21]
	s_and_not1_b32 vcc_lo, exec_lo, s14
	s_cbranch_vccnz .LBB323_29
; %bb.19:                               ;   in Loop: Header=BB323_6 Depth=1
	flat_load_b32 v22, v[20:21]
	s_wait_loadcnt_dscnt 0x0
	v_fma_f32 v22, s7, v22, v2
	flat_store_b32 v[20:21], v22
	s_cbranch_execnz .LBB323_21
.LBB323_20:                             ;   in Loop: Header=BB323_6 Depth=1
	flat_store_b32 v[20:21], v2
.LBB323_21:                             ;   in Loop: Header=BB323_6 Depth=1
	s_wait_xcnt 0x0
	s_or_b32 exec_lo, exec_lo, s22
	v_lshl_add_u64 v[18:19], v[8:9], 2, v[18:19]
	s_and_saveexec_b32 s22, s24
	s_cbranch_execz .LBB323_25
; %bb.22:                               ;   in Loop: Header=BB323_6 Depth=1
	v_mul_f32_e32 v2, s6, v16
	s_delay_alu instid0(VALU_DEP_2)
	v_lshl_add_u64 v[20:21], v[4:5], 2, v[18:19]
	s_and_not1_b32 vcc_lo, exec_lo, s14
	s_cbranch_vccnz .LBB323_30
; %bb.23:                               ;   in Loop: Header=BB323_6 Depth=1
	flat_load_b32 v16, v[20:21]
	s_wait_loadcnt_dscnt 0x0
	v_fma_f32 v16, s7, v16, v2
	flat_store_b32 v[20:21], v16
	s_cbranch_execnz .LBB323_25
.LBB323_24:                             ;   in Loop: Header=BB323_6 Depth=1
	flat_store_b32 v[20:21], v2
.LBB323_25:                             ;   in Loop: Header=BB323_6 Depth=1
	s_wait_xcnt 0x0
	s_or_b32 exec_lo, exec_lo, s22
	s_and_saveexec_b32 s22, s4
	s_cbranch_execz .LBB323_5
; %bb.26:                               ;   in Loop: Header=BB323_6 Depth=1
	v_mul_f32_e32 v2, s6, v17
	v_lshl_add_u64 v[16:17], v[10:11], 2, v[18:19]
	s_and_not1_b32 vcc_lo, exec_lo, s14
	s_cbranch_vccnz .LBB323_31
; %bb.27:                               ;   in Loop: Header=BB323_6 Depth=1
	flat_load_b32 v18, v[16:17]
	s_wait_loadcnt_dscnt 0x0
	v_fma_f32 v18, s7, v18, v2
	flat_store_b32 v[16:17], v18
	s_cbranch_execnz .LBB323_5
	s_branch .LBB323_32
.LBB323_28:                             ;   in Loop: Header=BB323_6 Depth=1
	s_branch .LBB323_16
.LBB323_29:                             ;   in Loop: Header=BB323_6 Depth=1
	s_branch .LBB323_20
.LBB323_30:                             ;   in Loop: Header=BB323_6 Depth=1
	s_branch .LBB323_24
.LBB323_31:                             ;   in Loop: Header=BB323_6 Depth=1
.LBB323_32:                             ;   in Loop: Header=BB323_6 Depth=1
	flat_store_b32 v[16:17], v2
	s_branch .LBB323_5
.LBB323_33:
	s_endpgm
	.section	.rodata,"a",@progbits
	.p2align	6, 0x0
	.amdhsa_kernel _ZL29rocblas_internal_gemmt_kernelIiLi16ELi32ELi8ELc67ELc67ELc76ELb0ELb0EffPKPKfPKPfEviT_T9_T10_S7_lS9_S7_lS8_T11_S7_li
		.amdhsa_group_segment_fixed_size 2048
		.amdhsa_private_segment_fixed_size 0
		.amdhsa_kernarg_size 100
		.amdhsa_user_sgpr_count 2
		.amdhsa_user_sgpr_dispatch_ptr 0
		.amdhsa_user_sgpr_queue_ptr 0
		.amdhsa_user_sgpr_kernarg_segment_ptr 1
		.amdhsa_user_sgpr_dispatch_id 0
		.amdhsa_user_sgpr_kernarg_preload_length 0
		.amdhsa_user_sgpr_kernarg_preload_offset 0
		.amdhsa_user_sgpr_private_segment_size 0
		.amdhsa_wavefront_size32 1
		.amdhsa_uses_dynamic_stack 0
		.amdhsa_enable_private_segment 0
		.amdhsa_system_sgpr_workgroup_id_x 1
		.amdhsa_system_sgpr_workgroup_id_y 1
		.amdhsa_system_sgpr_workgroup_id_z 1
		.amdhsa_system_sgpr_workgroup_info 0
		.amdhsa_system_vgpr_workitem_id 1
		.amdhsa_next_free_vgpr 56
		.amdhsa_next_free_sgpr 31
		.amdhsa_named_barrier_count 0
		.amdhsa_reserve_vcc 1
		.amdhsa_float_round_mode_32 0
		.amdhsa_float_round_mode_16_64 0
		.amdhsa_float_denorm_mode_32 3
		.amdhsa_float_denorm_mode_16_64 3
		.amdhsa_fp16_overflow 0
		.amdhsa_memory_ordered 1
		.amdhsa_forward_progress 1
		.amdhsa_inst_pref_size 13
		.amdhsa_round_robin_scheduling 0
		.amdhsa_exception_fp_ieee_invalid_op 0
		.amdhsa_exception_fp_denorm_src 0
		.amdhsa_exception_fp_ieee_div_zero 0
		.amdhsa_exception_fp_ieee_overflow 0
		.amdhsa_exception_fp_ieee_underflow 0
		.amdhsa_exception_fp_ieee_inexact 0
		.amdhsa_exception_int_div_zero 0
	.end_amdhsa_kernel
	.section	.text._ZL29rocblas_internal_gemmt_kernelIiLi16ELi32ELi8ELc67ELc67ELc76ELb0ELb0EffPKPKfPKPfEviT_T9_T10_S7_lS9_S7_lS8_T11_S7_li,"axG",@progbits,_ZL29rocblas_internal_gemmt_kernelIiLi16ELi32ELi8ELc67ELc67ELc76ELb0ELb0EffPKPKfPKPfEviT_T9_T10_S7_lS9_S7_lS8_T11_S7_li,comdat
.Lfunc_end323:
	.size	_ZL29rocblas_internal_gemmt_kernelIiLi16ELi32ELi8ELc67ELc67ELc76ELb0ELb0EffPKPKfPKPfEviT_T9_T10_S7_lS9_S7_lS8_T11_S7_li, .Lfunc_end323-_ZL29rocblas_internal_gemmt_kernelIiLi16ELi32ELi8ELc67ELc67ELc76ELb0ELb0EffPKPKfPKPfEviT_T9_T10_S7_lS9_S7_lS8_T11_S7_li
                                        ; -- End function
	.set _ZL29rocblas_internal_gemmt_kernelIiLi16ELi32ELi8ELc67ELc67ELc76ELb0ELb0EffPKPKfPKPfEviT_T9_T10_S7_lS9_S7_lS8_T11_S7_li.num_vgpr, 56
	.set _ZL29rocblas_internal_gemmt_kernelIiLi16ELi32ELi8ELc67ELc67ELc76ELb0ELb0EffPKPKfPKPfEviT_T9_T10_S7_lS9_S7_lS8_T11_S7_li.num_agpr, 0
	.set _ZL29rocblas_internal_gemmt_kernelIiLi16ELi32ELi8ELc67ELc67ELc76ELb0ELb0EffPKPKfPKPfEviT_T9_T10_S7_lS9_S7_lS8_T11_S7_li.numbered_sgpr, 31
	.set _ZL29rocblas_internal_gemmt_kernelIiLi16ELi32ELi8ELc67ELc67ELc76ELb0ELb0EffPKPKfPKPfEviT_T9_T10_S7_lS9_S7_lS8_T11_S7_li.num_named_barrier, 0
	.set _ZL29rocblas_internal_gemmt_kernelIiLi16ELi32ELi8ELc67ELc67ELc76ELb0ELb0EffPKPKfPKPfEviT_T9_T10_S7_lS9_S7_lS8_T11_S7_li.private_seg_size, 0
	.set _ZL29rocblas_internal_gemmt_kernelIiLi16ELi32ELi8ELc67ELc67ELc76ELb0ELb0EffPKPKfPKPfEviT_T9_T10_S7_lS9_S7_lS8_T11_S7_li.uses_vcc, 1
	.set _ZL29rocblas_internal_gemmt_kernelIiLi16ELi32ELi8ELc67ELc67ELc76ELb0ELb0EffPKPKfPKPfEviT_T9_T10_S7_lS9_S7_lS8_T11_S7_li.uses_flat_scratch, 0
	.set _ZL29rocblas_internal_gemmt_kernelIiLi16ELi32ELi8ELc67ELc67ELc76ELb0ELb0EffPKPKfPKPfEviT_T9_T10_S7_lS9_S7_lS8_T11_S7_li.has_dyn_sized_stack, 0
	.set _ZL29rocblas_internal_gemmt_kernelIiLi16ELi32ELi8ELc67ELc67ELc76ELb0ELb0EffPKPKfPKPfEviT_T9_T10_S7_lS9_S7_lS8_T11_S7_li.has_recursion, 0
	.set _ZL29rocblas_internal_gemmt_kernelIiLi16ELi32ELi8ELc67ELc67ELc76ELb0ELb0EffPKPKfPKPfEviT_T9_T10_S7_lS9_S7_lS8_T11_S7_li.has_indirect_call, 0
	.section	.AMDGPU.csdata,"",@progbits
; Kernel info:
; codeLenInByte = 1660
; TotalNumSgprs: 33
; NumVgprs: 56
; ScratchSize: 0
; MemoryBound: 0
; FloatMode: 240
; IeeeMode: 1
; LDSByteSize: 2048 bytes/workgroup (compile time only)
; SGPRBlocks: 0
; VGPRBlocks: 3
; NumSGPRsForWavesPerEU: 33
; NumVGPRsForWavesPerEU: 56
; NamedBarCnt: 0
; Occupancy: 16
; WaveLimiterHint : 1
; COMPUTE_PGM_RSRC2:SCRATCH_EN: 0
; COMPUTE_PGM_RSRC2:USER_SGPR: 2
; COMPUTE_PGM_RSRC2:TRAP_HANDLER: 0
; COMPUTE_PGM_RSRC2:TGID_X_EN: 1
; COMPUTE_PGM_RSRC2:TGID_Y_EN: 1
; COMPUTE_PGM_RSRC2:TGID_Z_EN: 1
; COMPUTE_PGM_RSRC2:TIDIG_COMP_CNT: 1
	.section	.text._ZL29rocblas_internal_gemmt_kernelIiLi16ELi32ELi8ELc78ELc78ELc85ELb0ELb0EdPKdPKS1_PKPdEviT_T9_T10_S7_lS9_S7_lS8_T11_S7_li,"axG",@progbits,_ZL29rocblas_internal_gemmt_kernelIiLi16ELi32ELi8ELc78ELc78ELc85ELb0ELb0EdPKdPKS1_PKPdEviT_T9_T10_S7_lS9_S7_lS8_T11_S7_li,comdat
	.globl	_ZL29rocblas_internal_gemmt_kernelIiLi16ELi32ELi8ELc78ELc78ELc85ELb0ELb0EdPKdPKS1_PKPdEviT_T9_T10_S7_lS9_S7_lS8_T11_S7_li ; -- Begin function _ZL29rocblas_internal_gemmt_kernelIiLi16ELi32ELi8ELc78ELc78ELc85ELb0ELb0EdPKdPKS1_PKPdEviT_T9_T10_S7_lS9_S7_lS8_T11_S7_li
	.p2align	8
	.type	_ZL29rocblas_internal_gemmt_kernelIiLi16ELi32ELi8ELc78ELc78ELc85ELb0ELb0EdPKdPKS1_PKPdEviT_T9_T10_S7_lS9_S7_lS8_T11_S7_li,@function
_ZL29rocblas_internal_gemmt_kernelIiLi16ELi32ELi8ELc78ELc78ELc85ELb0ELb0EdPKdPKS1_PKPdEviT_T9_T10_S7_lS9_S7_lS8_T11_S7_li: ; @_ZL29rocblas_internal_gemmt_kernelIiLi16ELi32ELi8ELc78ELc78ELc85ELb0ELb0EdPKdPKS1_PKPdEviT_T9_T10_S7_lS9_S7_lS8_T11_S7_li
; %bb.0:
	s_load_b128 s[12:15], s[0:1], 0x38
	s_wait_kmcnt 0x0
	s_load_b64 s[20:21], s[14:15], 0x0
	s_load_b128 s[4:7], s[0:1], 0x8
	s_wait_xcnt 0x0
	s_load_b64 s[14:15], s[0:1], 0x0
	s_wait_kmcnt 0x0
	s_load_b64 s[22:23], s[4:5], 0x0
	v_cmp_neq_f64_e64 s2, s[20:21], 1.0
	s_and_b32 vcc_lo, exec_lo, s2
	s_cbranch_vccnz .LBB324_2
; %bb.1:
	s_wait_kmcnt 0x0
	v_cmp_neq_f64_e64 s2, s[22:23], 0
	s_cmp_lg_u32 s15, 0
	s_cselect_b32 s3, -1, 0
	s_delay_alu instid0(SALU_CYCLE_1)
	s_and_b32 s2, s3, s2
.LBB324_2:
	s_delay_alu instid0(SALU_CYCLE_1)
	s_and_not1_b32 vcc_lo, exec_lo, s2
	s_cbranch_vccnz .LBB324_33
; %bb.3:
	s_load_b32 s19, s[0:1], 0x60
	s_bfe_u32 s2, ttmp6, 0x40014
	s_lshr_b32 s3, ttmp7, 16
	s_add_co_i32 s2, s2, 1
	s_wait_xcnt 0x0
	s_bfe_u32 s4, ttmp6, 0x40008
	s_mul_i32 s2, s3, s2
	s_getreg_b32 s28, hwreg(HW_REG_IB_STS2, 6, 4)
	s_add_co_i32 s4, s4, s2
	s_cmp_eq_u32 s28, 0
	s_mov_b32 s5, 0
	s_cselect_b32 s4, s3, s4
	s_wait_kmcnt 0x0
	s_cmp_ge_u32 s4, s19
	s_cbranch_scc1 .LBB324_33
; %bb.4:
	s_clause 0x3
	s_load_b32 s24, s[0:1], 0x18
	s_load_b32 s2, s[0:1], 0x30
	s_load_b96 s[16:18], s[0:1], 0x48
	s_load_b128 s[8:11], s[0:1], 0x20
	v_and_b32_e32 v1, 0x3ff, v0
	v_bfe_u32 v9, v0, 10, 10
	s_load_b64 s[26:27], s[0:1], 0x58
	s_wait_xcnt 0x0
	s_bfe_u32 s1, ttmp6, 0x4000c
	s_bfe_u32 s3, ttmp6, 0x40010
	s_and_b32 s30, ttmp7, 0xffff
	s_add_co_i32 s1, s1, 1
	s_add_co_i32 s3, s3, 1
	v_lshl_add_u32 v3, v9, 4, v1
	s_and_b32 s0, ttmp6, 15
	s_bfe_u32 s31, ttmp6, 0x40004
	s_mul_i32 s1, ttmp9, s1
	s_mul_i32 s33, s30, s3
	s_add_co_i32 s0, s0, s1
	s_add_co_i32 s31, s31, s33
	v_dual_lshrrev_b32 v2, 5, v3 :: v_dual_lshrrev_b32 v8, 3, v3
	s_wait_kmcnt 0x0
	s_ashr_i32 s25, s24, 31
	s_ashr_i32 s3, s2, 31
	;; [unrolled: 1-line block ×3, first 2 shown]
	s_cmp_eq_u32 s28, 0
	v_and_b32_e32 v32, 7, v0
	s_cselect_b32 s1, s30, s31
	s_cselect_b32 s0, ttmp9, s0
	s_lshl_b32 s1, s1, 5
	s_delay_alu instid0(SALU_CYCLE_1) | instskip(SKIP_3) | instid1(VALU_DEP_2)
	v_dual_add_nc_u32 v10, s1, v8 :: v_dual_bitop2_b32 v0, 31, v3 bitop3:0x40
	v_mov_b32_e32 v3, 0
	s_mov_b32 s28, s18
	s_lshl_b32 s18, s0, 5
	v_dual_add_nc_u32 v16, s1, v9 :: v_dual_ashrrev_i32 v11, 31, v10
	v_or_b32_e32 v12, s18, v0
	v_mul_u64_e32 v[14:15], s[24:25], v[2:3]
	v_lshlrev_b32_e32 v0, 3, v0
	s_delay_alu instid0(VALU_DEP_4) | instskip(SKIP_2) | instid1(VALU_DEP_4)
	v_dual_add_nc_u32 v20, 16, v16 :: v_dual_ashrrev_i32 v17, 31, v16
	v_mul_u64_e32 v[18:19], s[2:3], v[10:11]
	v_cmp_neq_f64_e64 s30, s[22:23], 0
	v_lshl_or_b32 v33, v2, 8, v0
	s_delay_alu instid0(VALU_DEP_4) | instskip(SKIP_3) | instid1(VALU_DEP_4)
	v_dual_ashrrev_i32 v21, 31, v20 :: v_dual_add_nc_u32 v0, s18, v1
	v_cmp_neq_f64_e64 s18, s[20:21], 0
	v_mul_u64_e32 v[4:5], s[28:29], v[16:17]
	v_dual_lshlrev_b32 v22, 3, v32 :: v_dual_lshlrev_b32 v35, 3, v1
	v_mul_u64_e32 v[6:7], s[28:29], v[20:21]
	s_cmp_gt_i32 s15, 0
	v_cmp_gt_i32_e32 vcc_lo, s14, v16
	s_delay_alu instid0(VALU_DEP_3)
	v_lshl_or_b32 v11, v8, 6, v22
	v_dual_add_nc_u32 v8, 16, v0 :: v_dual_ashrrev_i32 v1, 31, v0
	v_cmp_le_i32_e64 s2, v0, v16
	s_cselect_b32 s31, -1, 0
	s_lshl_b64 s[8:9], s[8:9], 3
	v_cmp_le_i32_e64 s3, v8, v16
	v_cmp_gt_i32_e64 s1, s14, v10
	v_dual_mov_b32 v23, v3 :: v_dual_add_nc_u32 v34, 0x800, v11
	s_and_b32 s28, vcc_lo, s2
	s_and_b32 s29, vcc_lo, s3
	v_cmp_gt_i32_e32 vcc_lo, s14, v20
	v_cmp_le_i32_e64 s2, v0, v20
	v_ashrrev_i32_e32 v13, 31, v12
	v_cmp_gt_i32_e64 s0, s14, v12
	v_lshl_add_u64 v[10:11], v[14:15], 3, s[8:9]
	s_lshl_b64 s[8:9], s[12:13], 3
	s_and_b32 s12, vcc_lo, s2
	v_cmp_le_i32_e64 s2, v8, v20
	v_lshl_add_u64 v[14:15], v[18:19], 3, s[8:9]
	v_lshl_add_u64 v[10:11], v[12:13], 3, v[10:11]
	v_lshl_add_u32 v36, v9, 6, 0x800
	v_ashrrev_i32_e32 v9, 31, v8
	s_and_b32 s13, s30, s31
	v_add_nc_u64_e32 v[12:13], v[14:15], v[22:23]
	s_and_b32 s14, vcc_lo, s2
	s_lshl_b64 s[2:3], s[24:25], 6
	s_lshl_b64 s[8:9], s[26:27], 3
	s_branch .LBB324_6
.LBB324_5:                              ;   in Loop: Header=BB324_6 Depth=1
	s_wait_xcnt 0x0
	s_or_b32 exec_lo, exec_lo, s24
	s_add_co_i32 s4, s4, 0x10000
	s_delay_alu instid0(SALU_CYCLE_1)
	s_cmp_lt_u32 s4, s19
	s_cbranch_scc0 .LBB324_33
.LBB324_6:                              ; =>This Loop Header: Depth=1
                                        ;     Child Loop BB324_9 Depth 2
	v_mov_b32_e32 v14, s4
	v_mov_b64_e32 v[22:23], 0
	v_mov_b64_e32 v[18:19], 0
	;; [unrolled: 1-line block ×3, first 2 shown]
	s_and_not1_b32 vcc_lo, exec_lo, s13
	global_load_b64 v[20:21], v14, s[16:17] scale_offset
	s_wait_xcnt 0x0
	v_mov_b64_e32 v[14:15], 0
	s_cbranch_vccnz .LBB324_13
; %bb.7:                                ;   in Loop: Header=BB324_6 Depth=1
	s_lshl_b64 s[24:25], s[4:5], 3
	v_mov_b64_e32 v[14:15], 0
	s_add_nc_u64 s[26:27], s[6:7], s[24:25]
	s_add_nc_u64 s[24:25], s[10:11], s[24:25]
	s_clause 0x1
	global_load_b64 v[22:23], v3, s[26:27]
	global_load_b64 v[26:27], v3, s[24:25]
	v_mov_b64_e32 v[16:17], 0
	v_mov_b64_e32 v[18:19], 0
	s_wait_xcnt 0x0
	s_mov_b32 s24, 0
	s_wait_loadcnt 0x1
	v_add_nc_u64_e32 v[24:25], v[22:23], v[10:11]
	s_wait_loadcnt 0x0
	v_add_nc_u64_e32 v[26:27], v[26:27], v[12:13]
	v_mov_b64_e32 v[22:23], 0
	s_branch .LBB324_9
.LBB324_8:                              ;   in Loop: Header=BB324_9 Depth=2
	s_wait_xcnt 0x0
	s_or_b32 exec_lo, exec_lo, s25
	s_wait_loadcnt_dscnt 0x0
	ds_store_b64 v34, v[30:31]
	s_wait_dscnt 0x0
	s_barrier_signal -1
	s_barrier_wait -1
	ds_load_b128 v[28:31], v36
	ds_load_2addr_b64 v[38:41], v35 offset1:16
	ds_load_b128 v[42:45], v36 offset:1024
	ds_load_b128 v[46:49], v36 offset:16
	;; [unrolled: 1-line block ×3, first 2 shown]
	v_add_nc_u64_e32 v[24:25], s[2:3], v[24:25]
	v_add_nc_u64_e32 v[26:27], 64, v[26:27]
	s_add_co_i32 s24, s24, 8
	s_delay_alu instid0(SALU_CYCLE_1)
	s_cmp_lt_i32 s24, s15
	s_wait_dscnt 0x3
	v_fmac_f64_e32 v[22:23], v[38:39], v[28:29]
	v_fmac_f64_e32 v[18:19], v[40:41], v[28:29]
	s_wait_dscnt 0x2
	v_fmac_f64_e32 v[16:17], v[38:39], v[42:43]
	v_fmac_f64_e32 v[14:15], v[40:41], v[42:43]
	ds_load_2addr_b64 v[38:41], v35 offset0:32 offset1:48
	s_wait_dscnt 0x0
	v_fmac_f64_e32 v[22:23], v[38:39], v[30:31]
	v_fmac_f64_e32 v[18:19], v[40:41], v[30:31]
	v_fmac_f64_e32 v[16:17], v[38:39], v[44:45]
	v_fmac_f64_e32 v[14:15], v[40:41], v[44:45]
	ds_load_2addr_b64 v[28:31], v35 offset0:64 offset1:80
	s_wait_dscnt 0x0
	v_fmac_f64_e32 v[22:23], v[28:29], v[46:47]
	v_fmac_f64_e32 v[18:19], v[30:31], v[46:47]
	;; [unrolled: 6-line block ×3, first 2 shown]
	v_fmac_f64_e32 v[16:17], v[28:29], v[52:53]
	v_fmac_f64_e32 v[14:15], v[30:31], v[52:53]
	ds_load_b128 v[28:31], v36 offset:32
	ds_load_2addr_b64 v[38:41], v35 offset0:128 offset1:144
	ds_load_b128 v[42:45], v36 offset:1056
	ds_load_b128 v[46:49], v36 offset:48
	;; [unrolled: 1-line block ×3, first 2 shown]
	s_wait_dscnt 0x3
	v_fmac_f64_e32 v[22:23], v[38:39], v[28:29]
	v_fmac_f64_e32 v[18:19], v[40:41], v[28:29]
	s_wait_dscnt 0x2
	v_fmac_f64_e32 v[16:17], v[38:39], v[42:43]
	v_fmac_f64_e32 v[14:15], v[40:41], v[42:43]
	ds_load_2addr_b64 v[38:41], v35 offset0:160 offset1:176
	s_wait_dscnt 0x0
	v_fmac_f64_e32 v[22:23], v[38:39], v[30:31]
	v_fmac_f64_e32 v[18:19], v[40:41], v[30:31]
	;; [unrolled: 1-line block ×4, first 2 shown]
	ds_load_2addr_b64 v[28:31], v35 offset0:192 offset1:208
	s_wait_dscnt 0x0
	v_fmac_f64_e32 v[22:23], v[28:29], v[46:47]
	v_fmac_f64_e32 v[18:19], v[30:31], v[46:47]
	;; [unrolled: 1-line block ×4, first 2 shown]
	ds_load_2addr_b64 v[28:31], v35 offset0:224 offset1:240
	s_wait_dscnt 0x0
	s_barrier_signal -1
	s_barrier_wait -1
	v_fmac_f64_e32 v[22:23], v[28:29], v[48:49]
	v_fmac_f64_e32 v[18:19], v[30:31], v[48:49]
	;; [unrolled: 1-line block ×4, first 2 shown]
	s_cbranch_scc0 .LBB324_13
.LBB324_9:                              ;   Parent Loop BB324_6 Depth=1
                                        ; =>  This Inner Loop Header: Depth=2
	v_add_nc_u32_e32 v28, s24, v2
	s_delay_alu instid0(VALU_DEP_1) | instskip(SKIP_2) | instid1(SALU_CYCLE_1)
	v_cmp_gt_i32_e32 vcc_lo, s15, v28
	v_mov_b64_e32 v[28:29], 0
	s_and_b32 s26, s0, vcc_lo
	s_and_saveexec_b32 s25, s26
	s_cbranch_execz .LBB324_11
; %bb.10:                               ;   in Loop: Header=BB324_9 Depth=2
	flat_load_b64 v[28:29], v[24:25]
.LBB324_11:                             ;   in Loop: Header=BB324_9 Depth=2
	s_wait_xcnt 0x0
	s_or_b32 exec_lo, exec_lo, s25
	v_add_nc_u32_e32 v30, s24, v32
	s_wait_loadcnt_dscnt 0x0
	ds_store_b64 v33, v[28:29]
	v_cmp_gt_i32_e32 vcc_lo, s15, v30
	v_mov_b64_e32 v[30:31], 0
	s_and_b32 s26, vcc_lo, s1
	s_delay_alu instid0(SALU_CYCLE_1)
	s_and_saveexec_b32 s25, s26
	s_cbranch_execz .LBB324_8
; %bb.12:                               ;   in Loop: Header=BB324_9 Depth=2
	flat_load_b64 v[30:31], v[26:27]
	s_branch .LBB324_8
.LBB324_13:                             ;   in Loop: Header=BB324_6 Depth=1
	s_wait_loadcnt 0x0
	v_add_nc_u64_e32 v[20:21], s[8:9], v[20:21]
	s_delay_alu instid0(VALU_DEP_1)
	v_lshl_add_u64 v[24:25], v[4:5], 3, v[20:21]
	s_and_saveexec_b32 s24, s28
	s_cbranch_execz .LBB324_17
; %bb.14:                               ;   in Loop: Header=BB324_6 Depth=1
	v_mul_f64_e32 v[22:23], s[22:23], v[22:23]
	s_delay_alu instid0(VALU_DEP_2)
	v_lshl_add_u64 v[26:27], v[0:1], 3, v[24:25]
	s_and_b32 vcc_lo, exec_lo, s18
	s_cbranch_vccz .LBB324_28
; %bb.15:                               ;   in Loop: Header=BB324_6 Depth=1
	flat_load_b64 v[28:29], v[26:27]
	s_wait_loadcnt_dscnt 0x0
	v_fma_f64 v[28:29], s[20:21], v[28:29], v[22:23]
	flat_store_b64 v[26:27], v[28:29]
	s_cbranch_execnz .LBB324_17
.LBB324_16:                             ;   in Loop: Header=BB324_6 Depth=1
	flat_store_b64 v[26:27], v[22:23]
.LBB324_17:                             ;   in Loop: Header=BB324_6 Depth=1
	s_wait_xcnt 0x0
	s_or_b32 exec_lo, exec_lo, s24
	s_and_saveexec_b32 s24, s29
	s_cbranch_execz .LBB324_21
; %bb.18:                               ;   in Loop: Header=BB324_6 Depth=1
	v_mul_f64_e32 v[18:19], s[22:23], v[18:19]
	v_lshl_add_u64 v[22:23], v[8:9], 3, v[24:25]
	s_and_not1_b32 vcc_lo, exec_lo, s18
	s_cbranch_vccnz .LBB324_29
; %bb.19:                               ;   in Loop: Header=BB324_6 Depth=1
	flat_load_b64 v[24:25], v[22:23]
	s_wait_loadcnt_dscnt 0x0
	v_fma_f64 v[24:25], s[20:21], v[24:25], v[18:19]
	flat_store_b64 v[22:23], v[24:25]
	s_cbranch_execnz .LBB324_21
.LBB324_20:                             ;   in Loop: Header=BB324_6 Depth=1
	flat_store_b64 v[22:23], v[18:19]
.LBB324_21:                             ;   in Loop: Header=BB324_6 Depth=1
	s_wait_xcnt 0x0
	s_or_b32 exec_lo, exec_lo, s24
	v_lshl_add_u64 v[18:19], v[6:7], 3, v[20:21]
	s_and_saveexec_b32 s24, s12
	s_cbranch_execz .LBB324_25
; %bb.22:                               ;   in Loop: Header=BB324_6 Depth=1
	v_mul_f64_e32 v[16:17], s[22:23], v[16:17]
	s_delay_alu instid0(VALU_DEP_2)
	v_lshl_add_u64 v[20:21], v[0:1], 3, v[18:19]
	s_and_not1_b32 vcc_lo, exec_lo, s18
	s_cbranch_vccnz .LBB324_30
; %bb.23:                               ;   in Loop: Header=BB324_6 Depth=1
	flat_load_b64 v[22:23], v[20:21]
	s_wait_loadcnt_dscnt 0x0
	v_fma_f64 v[22:23], s[20:21], v[22:23], v[16:17]
	flat_store_b64 v[20:21], v[22:23]
	s_cbranch_execnz .LBB324_25
.LBB324_24:                             ;   in Loop: Header=BB324_6 Depth=1
	flat_store_b64 v[20:21], v[16:17]
.LBB324_25:                             ;   in Loop: Header=BB324_6 Depth=1
	s_wait_xcnt 0x0
	s_or_b32 exec_lo, exec_lo, s24
	s_and_saveexec_b32 s24, s14
	s_cbranch_execz .LBB324_5
; %bb.26:                               ;   in Loop: Header=BB324_6 Depth=1
	s_delay_alu instid0(VALU_DEP_4)
	v_mul_f64_e32 v[14:15], s[22:23], v[14:15]
	v_lshl_add_u64 v[16:17], v[8:9], 3, v[18:19]
	s_and_not1_b32 vcc_lo, exec_lo, s18
	s_cbranch_vccnz .LBB324_31
; %bb.27:                               ;   in Loop: Header=BB324_6 Depth=1
	flat_load_b64 v[18:19], v[16:17]
	s_wait_loadcnt_dscnt 0x0
	v_fma_f64 v[18:19], s[20:21], v[18:19], v[14:15]
	flat_store_b64 v[16:17], v[18:19]
	s_cbranch_execnz .LBB324_5
	s_branch .LBB324_32
.LBB324_28:                             ;   in Loop: Header=BB324_6 Depth=1
	s_branch .LBB324_16
.LBB324_29:                             ;   in Loop: Header=BB324_6 Depth=1
	s_branch .LBB324_20
.LBB324_30:                             ;   in Loop: Header=BB324_6 Depth=1
	s_branch .LBB324_24
.LBB324_31:                             ;   in Loop: Header=BB324_6 Depth=1
.LBB324_32:                             ;   in Loop: Header=BB324_6 Depth=1
	flat_store_b64 v[16:17], v[14:15]
	s_branch .LBB324_5
.LBB324_33:
	s_endpgm
	.section	.rodata,"a",@progbits
	.p2align	6, 0x0
	.amdhsa_kernel _ZL29rocblas_internal_gemmt_kernelIiLi16ELi32ELi8ELc78ELc78ELc85ELb0ELb0EdPKdPKS1_PKPdEviT_T9_T10_S7_lS9_S7_lS8_T11_S7_li
		.amdhsa_group_segment_fixed_size 4096
		.amdhsa_private_segment_fixed_size 0
		.amdhsa_kernarg_size 100
		.amdhsa_user_sgpr_count 2
		.amdhsa_user_sgpr_dispatch_ptr 0
		.amdhsa_user_sgpr_queue_ptr 0
		.amdhsa_user_sgpr_kernarg_segment_ptr 1
		.amdhsa_user_sgpr_dispatch_id 0
		.amdhsa_user_sgpr_kernarg_preload_length 0
		.amdhsa_user_sgpr_kernarg_preload_offset 0
		.amdhsa_user_sgpr_private_segment_size 0
		.amdhsa_wavefront_size32 1
		.amdhsa_uses_dynamic_stack 0
		.amdhsa_enable_private_segment 0
		.amdhsa_system_sgpr_workgroup_id_x 1
		.amdhsa_system_sgpr_workgroup_id_y 1
		.amdhsa_system_sgpr_workgroup_id_z 1
		.amdhsa_system_sgpr_workgroup_info 0
		.amdhsa_system_vgpr_workitem_id 1
		.amdhsa_next_free_vgpr 54
		.amdhsa_next_free_sgpr 34
		.amdhsa_named_barrier_count 0
		.amdhsa_reserve_vcc 1
		.amdhsa_float_round_mode_32 0
		.amdhsa_float_round_mode_16_64 0
		.amdhsa_float_denorm_mode_32 3
		.amdhsa_float_denorm_mode_16_64 3
		.amdhsa_fp16_overflow 0
		.amdhsa_memory_ordered 1
		.amdhsa_forward_progress 1
		.amdhsa_inst_pref_size 14
		.amdhsa_round_robin_scheduling 0
		.amdhsa_exception_fp_ieee_invalid_op 0
		.amdhsa_exception_fp_denorm_src 0
		.amdhsa_exception_fp_ieee_div_zero 0
		.amdhsa_exception_fp_ieee_overflow 0
		.amdhsa_exception_fp_ieee_underflow 0
		.amdhsa_exception_fp_ieee_inexact 0
		.amdhsa_exception_int_div_zero 0
	.end_amdhsa_kernel
	.section	.text._ZL29rocblas_internal_gemmt_kernelIiLi16ELi32ELi8ELc78ELc78ELc85ELb0ELb0EdPKdPKS1_PKPdEviT_T9_T10_S7_lS9_S7_lS8_T11_S7_li,"axG",@progbits,_ZL29rocblas_internal_gemmt_kernelIiLi16ELi32ELi8ELc78ELc78ELc85ELb0ELb0EdPKdPKS1_PKPdEviT_T9_T10_S7_lS9_S7_lS8_T11_S7_li,comdat
.Lfunc_end324:
	.size	_ZL29rocblas_internal_gemmt_kernelIiLi16ELi32ELi8ELc78ELc78ELc85ELb0ELb0EdPKdPKS1_PKPdEviT_T9_T10_S7_lS9_S7_lS8_T11_S7_li, .Lfunc_end324-_ZL29rocblas_internal_gemmt_kernelIiLi16ELi32ELi8ELc78ELc78ELc85ELb0ELb0EdPKdPKS1_PKPdEviT_T9_T10_S7_lS9_S7_lS8_T11_S7_li
                                        ; -- End function
	.set _ZL29rocblas_internal_gemmt_kernelIiLi16ELi32ELi8ELc78ELc78ELc85ELb0ELb0EdPKdPKS1_PKPdEviT_T9_T10_S7_lS9_S7_lS8_T11_S7_li.num_vgpr, 54
	.set _ZL29rocblas_internal_gemmt_kernelIiLi16ELi32ELi8ELc78ELc78ELc85ELb0ELb0EdPKdPKS1_PKPdEviT_T9_T10_S7_lS9_S7_lS8_T11_S7_li.num_agpr, 0
	.set _ZL29rocblas_internal_gemmt_kernelIiLi16ELi32ELi8ELc78ELc78ELc85ELb0ELb0EdPKdPKS1_PKPdEviT_T9_T10_S7_lS9_S7_lS8_T11_S7_li.numbered_sgpr, 34
	.set _ZL29rocblas_internal_gemmt_kernelIiLi16ELi32ELi8ELc78ELc78ELc85ELb0ELb0EdPKdPKS1_PKPdEviT_T9_T10_S7_lS9_S7_lS8_T11_S7_li.num_named_barrier, 0
	.set _ZL29rocblas_internal_gemmt_kernelIiLi16ELi32ELi8ELc78ELc78ELc85ELb0ELb0EdPKdPKS1_PKPdEviT_T9_T10_S7_lS9_S7_lS8_T11_S7_li.private_seg_size, 0
	.set _ZL29rocblas_internal_gemmt_kernelIiLi16ELi32ELi8ELc78ELc78ELc85ELb0ELb0EdPKdPKS1_PKPdEviT_T9_T10_S7_lS9_S7_lS8_T11_S7_li.uses_vcc, 1
	.set _ZL29rocblas_internal_gemmt_kernelIiLi16ELi32ELi8ELc78ELc78ELc85ELb0ELb0EdPKdPKS1_PKPdEviT_T9_T10_S7_lS9_S7_lS8_T11_S7_li.uses_flat_scratch, 0
	.set _ZL29rocblas_internal_gemmt_kernelIiLi16ELi32ELi8ELc78ELc78ELc85ELb0ELb0EdPKdPKS1_PKPdEviT_T9_T10_S7_lS9_S7_lS8_T11_S7_li.has_dyn_sized_stack, 0
	.set _ZL29rocblas_internal_gemmt_kernelIiLi16ELi32ELi8ELc78ELc78ELc85ELb0ELb0EdPKdPKS1_PKPdEviT_T9_T10_S7_lS9_S7_lS8_T11_S7_li.has_recursion, 0
	.set _ZL29rocblas_internal_gemmt_kernelIiLi16ELi32ELi8ELc78ELc78ELc85ELb0ELb0EdPKdPKS1_PKPdEviT_T9_T10_S7_lS9_S7_lS8_T11_S7_li.has_indirect_call, 0
	.section	.AMDGPU.csdata,"",@progbits
; Kernel info:
; codeLenInByte = 1708
; TotalNumSgprs: 36
; NumVgprs: 54
; ScratchSize: 0
; MemoryBound: 0
; FloatMode: 240
; IeeeMode: 1
; LDSByteSize: 4096 bytes/workgroup (compile time only)
; SGPRBlocks: 0
; VGPRBlocks: 3
; NumSGPRsForWavesPerEU: 36
; NumVGPRsForWavesPerEU: 54
; NamedBarCnt: 0
; Occupancy: 16
; WaveLimiterHint : 1
; COMPUTE_PGM_RSRC2:SCRATCH_EN: 0
; COMPUTE_PGM_RSRC2:USER_SGPR: 2
; COMPUTE_PGM_RSRC2:TRAP_HANDLER: 0
; COMPUTE_PGM_RSRC2:TGID_X_EN: 1
; COMPUTE_PGM_RSRC2:TGID_Y_EN: 1
; COMPUTE_PGM_RSRC2:TGID_Z_EN: 1
; COMPUTE_PGM_RSRC2:TIDIG_COMP_CNT: 1
	.section	.text._ZL29rocblas_internal_gemmt_kernelIiLi16ELi32ELi8ELc78ELc84ELc85ELb0ELb0EdPKdPKS1_PKPdEviT_T9_T10_S7_lS9_S7_lS8_T11_S7_li,"axG",@progbits,_ZL29rocblas_internal_gemmt_kernelIiLi16ELi32ELi8ELc78ELc84ELc85ELb0ELb0EdPKdPKS1_PKPdEviT_T9_T10_S7_lS9_S7_lS8_T11_S7_li,comdat
	.globl	_ZL29rocblas_internal_gemmt_kernelIiLi16ELi32ELi8ELc78ELc84ELc85ELb0ELb0EdPKdPKS1_PKPdEviT_T9_T10_S7_lS9_S7_lS8_T11_S7_li ; -- Begin function _ZL29rocblas_internal_gemmt_kernelIiLi16ELi32ELi8ELc78ELc84ELc85ELb0ELb0EdPKdPKS1_PKPdEviT_T9_T10_S7_lS9_S7_lS8_T11_S7_li
	.p2align	8
	.type	_ZL29rocblas_internal_gemmt_kernelIiLi16ELi32ELi8ELc78ELc84ELc85ELb0ELb0EdPKdPKS1_PKPdEviT_T9_T10_S7_lS9_S7_lS8_T11_S7_li,@function
_ZL29rocblas_internal_gemmt_kernelIiLi16ELi32ELi8ELc78ELc84ELc85ELb0ELb0EdPKdPKS1_PKPdEviT_T9_T10_S7_lS9_S7_lS8_T11_S7_li: ; @_ZL29rocblas_internal_gemmt_kernelIiLi16ELi32ELi8ELc78ELc84ELc85ELb0ELb0EdPKdPKS1_PKPdEviT_T9_T10_S7_lS9_S7_lS8_T11_S7_li
; %bb.0:
	s_load_b128 s[12:15], s[0:1], 0x38
	s_wait_kmcnt 0x0
	s_load_b64 s[20:21], s[14:15], 0x0
	s_load_b128 s[4:7], s[0:1], 0x8
	s_wait_xcnt 0x0
	s_load_b64 s[14:15], s[0:1], 0x0
	s_wait_kmcnt 0x0
	s_load_b64 s[22:23], s[4:5], 0x0
	v_cmp_neq_f64_e64 s2, s[20:21], 1.0
	s_and_b32 vcc_lo, exec_lo, s2
	s_cbranch_vccnz .LBB325_2
; %bb.1:
	s_wait_kmcnt 0x0
	v_cmp_neq_f64_e64 s2, s[22:23], 0
	s_cmp_lg_u32 s15, 0
	s_cselect_b32 s3, -1, 0
	s_delay_alu instid0(SALU_CYCLE_1)
	s_and_b32 s2, s3, s2
.LBB325_2:
	s_delay_alu instid0(SALU_CYCLE_1)
	s_and_not1_b32 vcc_lo, exec_lo, s2
	s_cbranch_vccnz .LBB325_33
; %bb.3:
	s_load_b32 s19, s[0:1], 0x60
	s_bfe_u32 s2, ttmp6, 0x40014
	s_lshr_b32 s3, ttmp7, 16
	s_add_co_i32 s2, s2, 1
	s_wait_xcnt 0x0
	s_bfe_u32 s5, ttmp6, 0x40008
	s_mul_i32 s4, s3, s2
	s_getreg_b32 s2, hwreg(HW_REG_IB_STS2, 6, 4)
	s_add_co_i32 s5, s5, s4
	s_cmp_eq_u32 s2, 0
	s_cselect_b32 s4, s3, s5
	s_mov_b32 s5, 0
	s_wait_kmcnt 0x0
	s_cmp_ge_u32 s4, s19
	s_cbranch_scc1 .LBB325_33
; %bb.4:
	s_clause 0x4
	s_load_b32 s24, s[0:1], 0x18
	s_load_b32 s26, s[0:1], 0x30
	s_load_b96 s[16:18], s[0:1], 0x48
	s_load_b128 s[8:11], s[0:1], 0x20
	s_load_b64 s[28:29], s[0:1], 0x58
	s_wait_xcnt 0x0
	s_bfe_u32 s1, ttmp6, 0x4000c
	s_bfe_u32 s25, ttmp6, 0x40010
	v_and_b32_e32 v5, 0x3ff, v0
	v_bfe_u32 v11, v0, 10, 10
	s_and_b32 s3, ttmp7, 0xffff
	s_add_co_i32 s1, s1, 1
	s_add_co_i32 s33, s25, 1
	s_and_b32 s0, ttmp6, 15
	s_mul_i32 s1, ttmp9, s1
	v_lshl_add_u32 v1, v11, 4, v5
	s_add_co_i32 s0, s0, s1
	v_and_b32_e32 v0, 7, v0
	v_cmp_neq_f64_e64 s34, s[22:23], 0
	v_lshl_add_u32 v36, v11, 6, 0x800
	v_dual_lshrrev_b32 v4, 3, v1 :: v_dual_bitop2_b32 v6, 31, v1 bitop3:0x40
	s_wait_kmcnt 0x0
	s_ashr_i32 s25, s24, 31
	s_ashr_i32 s31, s18, 31
	s_mov_b32 s30, s18
	s_mul_i32 s18, s3, s33
	s_bfe_u32 s33, ttmp6, 0x40004
	s_ashr_i32 s27, s26, 31
	s_add_co_i32 s33, s33, s18
	s_cmp_eq_u32 s2, 0
	v_lshrrev_b32_e32 v2, 5, v1
	s_cselect_b32 s0, ttmp9, s0
	s_cselect_b32 s1, s3, s33
	s_lshl_b32 s2, s0, 5
	s_delay_alu instid0(SALU_CYCLE_1) | instskip(SKIP_1) | instid1(SALU_CYCLE_1)
	v_dual_mov_b32 v3, 0 :: v_dual_bitop2_b32 v12, s2, v6 bitop3:0x54
	s_lshl_b32 s0, s1, 5
	v_dual_lshlrev_b32 v6, 3, v6 :: v_dual_add_nc_u32 v16, s0, v11
	s_delay_alu instid0(VALU_DEP_2) | instskip(SKIP_2) | instid1(VALU_DEP_4)
	v_dual_mov_b32 v1, v3 :: v_dual_add_nc_u32 v14, s0, v4
	v_mul_u64_e32 v[18:19], s[24:25], v[2:3]
	v_cmp_neq_f64_e64 s18, s[20:21], 0
	v_dual_add_nc_u32 v22, 16, v16 :: v_dual_ashrrev_i32 v17, 31, v16
	s_delay_alu instid0(VALU_DEP_4) | instskip(SKIP_2) | instid1(VALU_DEP_4)
	v_mul_u64_e32 v[20:21], s[26:27], v[0:1]
	v_lshlrev_b32_e32 v7, 3, v0
	v_lshl_or_b32 v1, v2, 8, v6
	v_ashrrev_i32_e32 v23, 31, v22
	v_ashrrev_i32_e32 v15, 31, v14
	s_cmp_gt_i32 s15, 0
	v_lshl_or_b32 v13, v4, 6, v7
	v_mul_u64_e32 v[6:7], s[30:31], v[16:17]
	v_mul_u64_e32 v[8:9], s[30:31], v[22:23]
	v_add_nc_u32_e32 v4, s2, v5
	s_cselect_b32 s35, -1, 0
	s_lshl_b64 s[8:9], s[8:9], 3
	v_cmp_gt_i32_e32 vcc_lo, s14, v16
	s_delay_alu instid0(VALU_DEP_2)
	v_dual_lshlrev_b32 v35, 3, v5 :: v_dual_add_nc_u32 v10, 16, v4
	v_cmp_le_i32_e64 s2, v4, v16
	v_add_nc_u32_e32 v34, 0x800, v13
	v_ashrrev_i32_e32 v13, 31, v12
	v_cmp_gt_i32_e64 s0, s14, v12
	v_cmp_le_i32_e64 s3, v10, v16
	s_and_b32 s30, vcc_lo, s2
	v_cmp_le_i32_e64 s2, v4, v22
	v_cmp_gt_i32_e64 s1, s14, v14
	v_dual_ashrrev_i32 v5, 31, v4 :: v_dual_ashrrev_i32 v11, 31, v10
	s_and_b32 s31, vcc_lo, s3
	v_cmp_gt_i32_e32 vcc_lo, s14, v22
	v_cmp_le_i32_e64 s3, v10, v22
	v_lshl_add_u64 v[16:17], v[18:19], 3, s[8:9]
	s_lshl_b64 s[8:9], s[12:13], 3
	s_and_b32 s34, s34, s35
	s_and_b32 s14, vcc_lo, s2
	v_lshl_add_u64 v[18:19], v[20:21], 3, s[8:9]
	v_lshl_add_u64 v[12:13], v[12:13], 3, v[16:17]
	s_and_b32 s33, vcc_lo, s3
	s_lshl_b64 s[2:3], s[24:25], 6
	s_lshl_b64 s[8:9], s[26:27], 6
	v_lshl_add_u64 v[14:15], v[14:15], 3, v[18:19]
	s_lshl_b64 s[12:13], s[28:29], 3
	s_branch .LBB325_6
.LBB325_5:                              ;   in Loop: Header=BB325_6 Depth=1
	s_wait_xcnt 0x0
	s_or_b32 exec_lo, exec_lo, s24
	s_add_co_i32 s4, s4, 0x10000
	s_delay_alu instid0(SALU_CYCLE_1)
	s_cmp_lt_u32 s4, s19
	s_cbranch_scc0 .LBB325_33
.LBB325_6:                              ; =>This Loop Header: Depth=1
                                        ;     Child Loop BB325_9 Depth 2
	v_mov_b32_e32 v16, s4
	v_mov_b64_e32 v[24:25], 0
	v_mov_b64_e32 v[20:21], 0
	;; [unrolled: 1-line block ×3, first 2 shown]
	s_and_not1_b32 vcc_lo, exec_lo, s34
	global_load_b64 v[22:23], v16, s[16:17] scale_offset
	s_wait_xcnt 0x0
	v_mov_b64_e32 v[16:17], 0
	s_cbranch_vccnz .LBB325_13
; %bb.7:                                ;   in Loop: Header=BB325_6 Depth=1
	s_lshl_b64 s[24:25], s[4:5], 3
	v_mov_b64_e32 v[16:17], 0
	s_add_nc_u64 s[26:27], s[6:7], s[24:25]
	s_add_nc_u64 s[24:25], s[10:11], s[24:25]
	s_clause 0x1
	global_load_b64 v[24:25], v3, s[26:27]
	global_load_b64 v[28:29], v3, s[24:25]
	v_mov_b64_e32 v[18:19], 0
	v_mov_b64_e32 v[20:21], 0
	s_wait_xcnt 0x0
	s_mov_b32 s24, 0
	s_wait_loadcnt 0x1
	v_add_nc_u64_e32 v[26:27], v[24:25], v[12:13]
	s_wait_loadcnt 0x0
	v_add_nc_u64_e32 v[28:29], v[28:29], v[14:15]
	v_mov_b64_e32 v[24:25], 0
	s_branch .LBB325_9
.LBB325_8:                              ;   in Loop: Header=BB325_9 Depth=2
	s_wait_xcnt 0x0
	s_or_b32 exec_lo, exec_lo, s25
	s_wait_loadcnt_dscnt 0x0
	ds_store_b64 v34, v[32:33]
	s_wait_dscnt 0x0
	s_barrier_signal -1
	s_barrier_wait -1
	ds_load_b128 v[30:33], v36
	ds_load_2addr_b64 v[38:41], v35 offset1:16
	ds_load_b128 v[42:45], v36 offset:1024
	ds_load_b128 v[46:49], v36 offset:16
	;; [unrolled: 1-line block ×3, first 2 shown]
	v_add_nc_u64_e32 v[26:27], s[2:3], v[26:27]
	v_add_nc_u64_e32 v[28:29], s[8:9], v[28:29]
	s_add_co_i32 s24, s24, 8
	s_delay_alu instid0(SALU_CYCLE_1)
	s_cmp_lt_i32 s24, s15
	s_wait_dscnt 0x3
	v_fmac_f64_e32 v[24:25], v[38:39], v[30:31]
	v_fmac_f64_e32 v[20:21], v[40:41], v[30:31]
	s_wait_dscnt 0x2
	v_fmac_f64_e32 v[18:19], v[38:39], v[42:43]
	v_fmac_f64_e32 v[16:17], v[40:41], v[42:43]
	ds_load_2addr_b64 v[38:41], v35 offset0:32 offset1:48
	s_wait_dscnt 0x0
	v_fmac_f64_e32 v[24:25], v[38:39], v[32:33]
	v_fmac_f64_e32 v[20:21], v[40:41], v[32:33]
	v_fmac_f64_e32 v[18:19], v[38:39], v[44:45]
	v_fmac_f64_e32 v[16:17], v[40:41], v[44:45]
	ds_load_2addr_b64 v[30:33], v35 offset0:64 offset1:80
	s_wait_dscnt 0x0
	v_fmac_f64_e32 v[24:25], v[30:31], v[46:47]
	v_fmac_f64_e32 v[20:21], v[32:33], v[46:47]
	;; [unrolled: 6-line block ×3, first 2 shown]
	v_fmac_f64_e32 v[18:19], v[30:31], v[52:53]
	v_fmac_f64_e32 v[16:17], v[32:33], v[52:53]
	ds_load_b128 v[30:33], v36 offset:32
	ds_load_2addr_b64 v[38:41], v35 offset0:128 offset1:144
	ds_load_b128 v[42:45], v36 offset:1056
	ds_load_b128 v[46:49], v36 offset:48
	;; [unrolled: 1-line block ×3, first 2 shown]
	s_wait_dscnt 0x3
	v_fmac_f64_e32 v[24:25], v[38:39], v[30:31]
	v_fmac_f64_e32 v[20:21], v[40:41], v[30:31]
	s_wait_dscnt 0x2
	v_fmac_f64_e32 v[18:19], v[38:39], v[42:43]
	v_fmac_f64_e32 v[16:17], v[40:41], v[42:43]
	ds_load_2addr_b64 v[38:41], v35 offset0:160 offset1:176
	s_wait_dscnt 0x0
	v_fmac_f64_e32 v[24:25], v[38:39], v[32:33]
	v_fmac_f64_e32 v[20:21], v[40:41], v[32:33]
	;; [unrolled: 1-line block ×4, first 2 shown]
	ds_load_2addr_b64 v[30:33], v35 offset0:192 offset1:208
	s_wait_dscnt 0x0
	v_fmac_f64_e32 v[24:25], v[30:31], v[46:47]
	v_fmac_f64_e32 v[20:21], v[32:33], v[46:47]
	;; [unrolled: 1-line block ×4, first 2 shown]
	ds_load_2addr_b64 v[30:33], v35 offset0:224 offset1:240
	s_wait_dscnt 0x0
	s_barrier_signal -1
	s_barrier_wait -1
	v_fmac_f64_e32 v[24:25], v[30:31], v[48:49]
	v_fmac_f64_e32 v[20:21], v[32:33], v[48:49]
	v_fmac_f64_e32 v[18:19], v[30:31], v[52:53]
	v_fmac_f64_e32 v[16:17], v[32:33], v[52:53]
	s_cbranch_scc0 .LBB325_13
.LBB325_9:                              ;   Parent Loop BB325_6 Depth=1
                                        ; =>  This Inner Loop Header: Depth=2
	v_add_nc_u32_e32 v30, s24, v2
	s_delay_alu instid0(VALU_DEP_1) | instskip(SKIP_2) | instid1(SALU_CYCLE_1)
	v_cmp_gt_i32_e32 vcc_lo, s15, v30
	v_mov_b64_e32 v[30:31], 0
	s_and_b32 s26, s0, vcc_lo
	s_and_saveexec_b32 s25, s26
	s_cbranch_execz .LBB325_11
; %bb.10:                               ;   in Loop: Header=BB325_9 Depth=2
	flat_load_b64 v[30:31], v[26:27]
.LBB325_11:                             ;   in Loop: Header=BB325_9 Depth=2
	s_wait_xcnt 0x0
	s_or_b32 exec_lo, exec_lo, s25
	v_add_nc_u32_e32 v32, s24, v0
	s_wait_loadcnt_dscnt 0x0
	ds_store_b64 v1, v[30:31]
	v_cmp_gt_i32_e32 vcc_lo, s15, v32
	v_mov_b64_e32 v[32:33], 0
	s_and_b32 s26, vcc_lo, s1
	s_delay_alu instid0(SALU_CYCLE_1)
	s_and_saveexec_b32 s25, s26
	s_cbranch_execz .LBB325_8
; %bb.12:                               ;   in Loop: Header=BB325_9 Depth=2
	flat_load_b64 v[32:33], v[28:29]
	s_branch .LBB325_8
.LBB325_13:                             ;   in Loop: Header=BB325_6 Depth=1
	s_wait_loadcnt 0x0
	v_add_nc_u64_e32 v[22:23], s[12:13], v[22:23]
	s_delay_alu instid0(VALU_DEP_1)
	v_lshl_add_u64 v[26:27], v[6:7], 3, v[22:23]
	s_and_saveexec_b32 s24, s30
	s_cbranch_execz .LBB325_17
; %bb.14:                               ;   in Loop: Header=BB325_6 Depth=1
	v_mul_f64_e32 v[24:25], s[22:23], v[24:25]
	s_delay_alu instid0(VALU_DEP_2)
	v_lshl_add_u64 v[28:29], v[4:5], 3, v[26:27]
	s_and_b32 vcc_lo, exec_lo, s18
	s_cbranch_vccz .LBB325_28
; %bb.15:                               ;   in Loop: Header=BB325_6 Depth=1
	flat_load_b64 v[30:31], v[28:29]
	s_wait_loadcnt_dscnt 0x0
	v_fma_f64 v[30:31], s[20:21], v[30:31], v[24:25]
	flat_store_b64 v[28:29], v[30:31]
	s_cbranch_execnz .LBB325_17
.LBB325_16:                             ;   in Loop: Header=BB325_6 Depth=1
	flat_store_b64 v[28:29], v[24:25]
.LBB325_17:                             ;   in Loop: Header=BB325_6 Depth=1
	s_wait_xcnt 0x0
	s_or_b32 exec_lo, exec_lo, s24
	s_and_saveexec_b32 s24, s31
	s_cbranch_execz .LBB325_21
; %bb.18:                               ;   in Loop: Header=BB325_6 Depth=1
	v_mul_f64_e32 v[20:21], s[22:23], v[20:21]
	v_lshl_add_u64 v[24:25], v[10:11], 3, v[26:27]
	s_and_not1_b32 vcc_lo, exec_lo, s18
	s_cbranch_vccnz .LBB325_29
; %bb.19:                               ;   in Loop: Header=BB325_6 Depth=1
	flat_load_b64 v[26:27], v[24:25]
	s_wait_loadcnt_dscnt 0x0
	v_fma_f64 v[26:27], s[20:21], v[26:27], v[20:21]
	flat_store_b64 v[24:25], v[26:27]
	s_cbranch_execnz .LBB325_21
.LBB325_20:                             ;   in Loop: Header=BB325_6 Depth=1
	flat_store_b64 v[24:25], v[20:21]
.LBB325_21:                             ;   in Loop: Header=BB325_6 Depth=1
	s_wait_xcnt 0x0
	s_or_b32 exec_lo, exec_lo, s24
	v_lshl_add_u64 v[20:21], v[8:9], 3, v[22:23]
	s_and_saveexec_b32 s24, s14
	s_cbranch_execz .LBB325_25
; %bb.22:                               ;   in Loop: Header=BB325_6 Depth=1
	v_mul_f64_e32 v[18:19], s[22:23], v[18:19]
	s_delay_alu instid0(VALU_DEP_2)
	v_lshl_add_u64 v[22:23], v[4:5], 3, v[20:21]
	s_and_not1_b32 vcc_lo, exec_lo, s18
	s_cbranch_vccnz .LBB325_30
; %bb.23:                               ;   in Loop: Header=BB325_6 Depth=1
	flat_load_b64 v[24:25], v[22:23]
	s_wait_loadcnt_dscnt 0x0
	v_fma_f64 v[24:25], s[20:21], v[24:25], v[18:19]
	flat_store_b64 v[22:23], v[24:25]
	s_cbranch_execnz .LBB325_25
.LBB325_24:                             ;   in Loop: Header=BB325_6 Depth=1
	flat_store_b64 v[22:23], v[18:19]
.LBB325_25:                             ;   in Loop: Header=BB325_6 Depth=1
	s_wait_xcnt 0x0
	s_or_b32 exec_lo, exec_lo, s24
	s_and_saveexec_b32 s24, s33
	s_cbranch_execz .LBB325_5
; %bb.26:                               ;   in Loop: Header=BB325_6 Depth=1
	s_delay_alu instid0(VALU_DEP_4)
	v_mul_f64_e32 v[16:17], s[22:23], v[16:17]
	v_lshl_add_u64 v[18:19], v[10:11], 3, v[20:21]
	s_and_not1_b32 vcc_lo, exec_lo, s18
	s_cbranch_vccnz .LBB325_31
; %bb.27:                               ;   in Loop: Header=BB325_6 Depth=1
	flat_load_b64 v[20:21], v[18:19]
	s_wait_loadcnt_dscnt 0x0
	v_fma_f64 v[20:21], s[20:21], v[20:21], v[16:17]
	flat_store_b64 v[18:19], v[20:21]
	s_cbranch_execnz .LBB325_5
	s_branch .LBB325_32
.LBB325_28:                             ;   in Loop: Header=BB325_6 Depth=1
	s_branch .LBB325_16
.LBB325_29:                             ;   in Loop: Header=BB325_6 Depth=1
	s_branch .LBB325_20
.LBB325_30:                             ;   in Loop: Header=BB325_6 Depth=1
	s_branch .LBB325_24
.LBB325_31:                             ;   in Loop: Header=BB325_6 Depth=1
.LBB325_32:                             ;   in Loop: Header=BB325_6 Depth=1
	flat_store_b64 v[18:19], v[16:17]
	s_branch .LBB325_5
.LBB325_33:
	s_endpgm
	.section	.rodata,"a",@progbits
	.p2align	6, 0x0
	.amdhsa_kernel _ZL29rocblas_internal_gemmt_kernelIiLi16ELi32ELi8ELc78ELc84ELc85ELb0ELb0EdPKdPKS1_PKPdEviT_T9_T10_S7_lS9_S7_lS8_T11_S7_li
		.amdhsa_group_segment_fixed_size 4096
		.amdhsa_private_segment_fixed_size 0
		.amdhsa_kernarg_size 100
		.amdhsa_user_sgpr_count 2
		.amdhsa_user_sgpr_dispatch_ptr 0
		.amdhsa_user_sgpr_queue_ptr 0
		.amdhsa_user_sgpr_kernarg_segment_ptr 1
		.amdhsa_user_sgpr_dispatch_id 0
		.amdhsa_user_sgpr_kernarg_preload_length 0
		.amdhsa_user_sgpr_kernarg_preload_offset 0
		.amdhsa_user_sgpr_private_segment_size 0
		.amdhsa_wavefront_size32 1
		.amdhsa_uses_dynamic_stack 0
		.amdhsa_enable_private_segment 0
		.amdhsa_system_sgpr_workgroup_id_x 1
		.amdhsa_system_sgpr_workgroup_id_y 1
		.amdhsa_system_sgpr_workgroup_id_z 1
		.amdhsa_system_sgpr_workgroup_info 0
		.amdhsa_system_vgpr_workitem_id 1
		.amdhsa_next_free_vgpr 54
		.amdhsa_next_free_sgpr 36
		.amdhsa_named_barrier_count 0
		.amdhsa_reserve_vcc 1
		.amdhsa_float_round_mode_32 0
		.amdhsa_float_round_mode_16_64 0
		.amdhsa_float_denorm_mode_32 3
		.amdhsa_float_denorm_mode_16_64 3
		.amdhsa_fp16_overflow 0
		.amdhsa_memory_ordered 1
		.amdhsa_forward_progress 1
		.amdhsa_inst_pref_size 14
		.amdhsa_round_robin_scheduling 0
		.amdhsa_exception_fp_ieee_invalid_op 0
		.amdhsa_exception_fp_denorm_src 0
		.amdhsa_exception_fp_ieee_div_zero 0
		.amdhsa_exception_fp_ieee_overflow 0
		.amdhsa_exception_fp_ieee_underflow 0
		.amdhsa_exception_fp_ieee_inexact 0
		.amdhsa_exception_int_div_zero 0
	.end_amdhsa_kernel
	.section	.text._ZL29rocblas_internal_gemmt_kernelIiLi16ELi32ELi8ELc78ELc84ELc85ELb0ELb0EdPKdPKS1_PKPdEviT_T9_T10_S7_lS9_S7_lS8_T11_S7_li,"axG",@progbits,_ZL29rocblas_internal_gemmt_kernelIiLi16ELi32ELi8ELc78ELc84ELc85ELb0ELb0EdPKdPKS1_PKPdEviT_T9_T10_S7_lS9_S7_lS8_T11_S7_li,comdat
.Lfunc_end325:
	.size	_ZL29rocblas_internal_gemmt_kernelIiLi16ELi32ELi8ELc78ELc84ELc85ELb0ELb0EdPKdPKS1_PKPdEviT_T9_T10_S7_lS9_S7_lS8_T11_S7_li, .Lfunc_end325-_ZL29rocblas_internal_gemmt_kernelIiLi16ELi32ELi8ELc78ELc84ELc85ELb0ELb0EdPKdPKS1_PKPdEviT_T9_T10_S7_lS9_S7_lS8_T11_S7_li
                                        ; -- End function
	.set _ZL29rocblas_internal_gemmt_kernelIiLi16ELi32ELi8ELc78ELc84ELc85ELb0ELb0EdPKdPKS1_PKPdEviT_T9_T10_S7_lS9_S7_lS8_T11_S7_li.num_vgpr, 54
	.set _ZL29rocblas_internal_gemmt_kernelIiLi16ELi32ELi8ELc78ELc84ELc85ELb0ELb0EdPKdPKS1_PKPdEviT_T9_T10_S7_lS9_S7_lS8_T11_S7_li.num_agpr, 0
	.set _ZL29rocblas_internal_gemmt_kernelIiLi16ELi32ELi8ELc78ELc84ELc85ELb0ELb0EdPKdPKS1_PKPdEviT_T9_T10_S7_lS9_S7_lS8_T11_S7_li.numbered_sgpr, 36
	.set _ZL29rocblas_internal_gemmt_kernelIiLi16ELi32ELi8ELc78ELc84ELc85ELb0ELb0EdPKdPKS1_PKPdEviT_T9_T10_S7_lS9_S7_lS8_T11_S7_li.num_named_barrier, 0
	.set _ZL29rocblas_internal_gemmt_kernelIiLi16ELi32ELi8ELc78ELc84ELc85ELb0ELb0EdPKdPKS1_PKPdEviT_T9_T10_S7_lS9_S7_lS8_T11_S7_li.private_seg_size, 0
	.set _ZL29rocblas_internal_gemmt_kernelIiLi16ELi32ELi8ELc78ELc84ELc85ELb0ELb0EdPKdPKS1_PKPdEviT_T9_T10_S7_lS9_S7_lS8_T11_S7_li.uses_vcc, 1
	.set _ZL29rocblas_internal_gemmt_kernelIiLi16ELi32ELi8ELc78ELc84ELc85ELb0ELb0EdPKdPKS1_PKPdEviT_T9_T10_S7_lS9_S7_lS8_T11_S7_li.uses_flat_scratch, 0
	.set _ZL29rocblas_internal_gemmt_kernelIiLi16ELi32ELi8ELc78ELc84ELc85ELb0ELb0EdPKdPKS1_PKPdEviT_T9_T10_S7_lS9_S7_lS8_T11_S7_li.has_dyn_sized_stack, 0
	.set _ZL29rocblas_internal_gemmt_kernelIiLi16ELi32ELi8ELc78ELc84ELc85ELb0ELb0EdPKdPKS1_PKPdEviT_T9_T10_S7_lS9_S7_lS8_T11_S7_li.has_recursion, 0
	.set _ZL29rocblas_internal_gemmt_kernelIiLi16ELi32ELi8ELc78ELc84ELc85ELb0ELb0EdPKdPKS1_PKPdEviT_T9_T10_S7_lS9_S7_lS8_T11_S7_li.has_indirect_call, 0
	.section	.AMDGPU.csdata,"",@progbits
; Kernel info:
; codeLenInByte = 1712
; TotalNumSgprs: 38
; NumVgprs: 54
; ScratchSize: 0
; MemoryBound: 0
; FloatMode: 240
; IeeeMode: 1
; LDSByteSize: 4096 bytes/workgroup (compile time only)
; SGPRBlocks: 0
; VGPRBlocks: 3
; NumSGPRsForWavesPerEU: 38
; NumVGPRsForWavesPerEU: 54
; NamedBarCnt: 0
; Occupancy: 16
; WaveLimiterHint : 1
; COMPUTE_PGM_RSRC2:SCRATCH_EN: 0
; COMPUTE_PGM_RSRC2:USER_SGPR: 2
; COMPUTE_PGM_RSRC2:TRAP_HANDLER: 0
; COMPUTE_PGM_RSRC2:TGID_X_EN: 1
; COMPUTE_PGM_RSRC2:TGID_Y_EN: 1
; COMPUTE_PGM_RSRC2:TGID_Z_EN: 1
; COMPUTE_PGM_RSRC2:TIDIG_COMP_CNT: 1
	.section	.text._ZL29rocblas_internal_gemmt_kernelIiLi16ELi32ELi8ELc78ELc67ELc85ELb0ELb0EdPKdPKS1_PKPdEviT_T9_T10_S7_lS9_S7_lS8_T11_S7_li,"axG",@progbits,_ZL29rocblas_internal_gemmt_kernelIiLi16ELi32ELi8ELc78ELc67ELc85ELb0ELb0EdPKdPKS1_PKPdEviT_T9_T10_S7_lS9_S7_lS8_T11_S7_li,comdat
	.globl	_ZL29rocblas_internal_gemmt_kernelIiLi16ELi32ELi8ELc78ELc67ELc85ELb0ELb0EdPKdPKS1_PKPdEviT_T9_T10_S7_lS9_S7_lS8_T11_S7_li ; -- Begin function _ZL29rocblas_internal_gemmt_kernelIiLi16ELi32ELi8ELc78ELc67ELc85ELb0ELb0EdPKdPKS1_PKPdEviT_T9_T10_S7_lS9_S7_lS8_T11_S7_li
	.p2align	8
	.type	_ZL29rocblas_internal_gemmt_kernelIiLi16ELi32ELi8ELc78ELc67ELc85ELb0ELb0EdPKdPKS1_PKPdEviT_T9_T10_S7_lS9_S7_lS8_T11_S7_li,@function
_ZL29rocblas_internal_gemmt_kernelIiLi16ELi32ELi8ELc78ELc67ELc85ELb0ELb0EdPKdPKS1_PKPdEviT_T9_T10_S7_lS9_S7_lS8_T11_S7_li: ; @_ZL29rocblas_internal_gemmt_kernelIiLi16ELi32ELi8ELc78ELc67ELc85ELb0ELb0EdPKdPKS1_PKPdEviT_T9_T10_S7_lS9_S7_lS8_T11_S7_li
; %bb.0:
	s_load_b128 s[12:15], s[0:1], 0x38
	s_wait_kmcnt 0x0
	s_load_b64 s[20:21], s[14:15], 0x0
	s_load_b128 s[4:7], s[0:1], 0x8
	s_wait_xcnt 0x0
	s_load_b64 s[14:15], s[0:1], 0x0
	s_wait_kmcnt 0x0
	s_load_b64 s[22:23], s[4:5], 0x0
	v_cmp_neq_f64_e64 s2, s[20:21], 1.0
	s_and_b32 vcc_lo, exec_lo, s2
	s_cbranch_vccnz .LBB326_2
; %bb.1:
	s_wait_kmcnt 0x0
	v_cmp_neq_f64_e64 s2, s[22:23], 0
	s_cmp_lg_u32 s15, 0
	s_cselect_b32 s3, -1, 0
	s_delay_alu instid0(SALU_CYCLE_1)
	s_and_b32 s2, s3, s2
.LBB326_2:
	s_delay_alu instid0(SALU_CYCLE_1)
	s_and_not1_b32 vcc_lo, exec_lo, s2
	s_cbranch_vccnz .LBB326_33
; %bb.3:
	s_load_b32 s19, s[0:1], 0x60
	s_bfe_u32 s2, ttmp6, 0x40014
	s_lshr_b32 s3, ttmp7, 16
	s_add_co_i32 s2, s2, 1
	s_wait_xcnt 0x0
	s_bfe_u32 s5, ttmp6, 0x40008
	s_mul_i32 s4, s3, s2
	s_getreg_b32 s2, hwreg(HW_REG_IB_STS2, 6, 4)
	s_add_co_i32 s5, s5, s4
	s_cmp_eq_u32 s2, 0
	s_cselect_b32 s4, s3, s5
	s_mov_b32 s5, 0
	s_wait_kmcnt 0x0
	s_cmp_ge_u32 s4, s19
	s_cbranch_scc1 .LBB326_33
; %bb.4:
	s_clause 0x4
	s_load_b32 s24, s[0:1], 0x18
	s_load_b32 s26, s[0:1], 0x30
	s_load_b96 s[16:18], s[0:1], 0x48
	s_load_b128 s[8:11], s[0:1], 0x20
	s_load_b64 s[28:29], s[0:1], 0x58
	s_wait_xcnt 0x0
	s_bfe_u32 s1, ttmp6, 0x4000c
	s_bfe_u32 s25, ttmp6, 0x40010
	v_and_b32_e32 v5, 0x3ff, v0
	v_bfe_u32 v11, v0, 10, 10
	s_and_b32 s3, ttmp7, 0xffff
	s_add_co_i32 s1, s1, 1
	s_add_co_i32 s33, s25, 1
	s_and_b32 s0, ttmp6, 15
	s_mul_i32 s1, ttmp9, s1
	v_lshl_add_u32 v1, v11, 4, v5
	s_add_co_i32 s0, s0, s1
	v_and_b32_e32 v0, 7, v0
	v_cmp_neq_f64_e64 s34, s[22:23], 0
	v_lshl_add_u32 v36, v11, 6, 0x800
	v_dual_lshrrev_b32 v4, 3, v1 :: v_dual_bitop2_b32 v6, 31, v1 bitop3:0x40
	s_wait_kmcnt 0x0
	s_ashr_i32 s25, s24, 31
	s_ashr_i32 s31, s18, 31
	s_mov_b32 s30, s18
	s_mul_i32 s18, s3, s33
	s_bfe_u32 s33, ttmp6, 0x40004
	s_ashr_i32 s27, s26, 31
	s_add_co_i32 s33, s33, s18
	s_cmp_eq_u32 s2, 0
	v_lshrrev_b32_e32 v2, 5, v1
	s_cselect_b32 s0, ttmp9, s0
	s_cselect_b32 s1, s3, s33
	s_lshl_b32 s2, s0, 5
	s_delay_alu instid0(SALU_CYCLE_1) | instskip(SKIP_1) | instid1(SALU_CYCLE_1)
	v_dual_mov_b32 v3, 0 :: v_dual_bitop2_b32 v12, s2, v6 bitop3:0x54
	s_lshl_b32 s0, s1, 5
	v_dual_lshlrev_b32 v6, 3, v6 :: v_dual_add_nc_u32 v16, s0, v11
	s_delay_alu instid0(VALU_DEP_2) | instskip(SKIP_2) | instid1(VALU_DEP_4)
	v_dual_mov_b32 v1, v3 :: v_dual_add_nc_u32 v14, s0, v4
	v_mul_u64_e32 v[18:19], s[24:25], v[2:3]
	v_cmp_neq_f64_e64 s18, s[20:21], 0
	v_dual_add_nc_u32 v22, 16, v16 :: v_dual_ashrrev_i32 v17, 31, v16
	s_delay_alu instid0(VALU_DEP_4) | instskip(SKIP_2) | instid1(VALU_DEP_4)
	v_mul_u64_e32 v[20:21], s[26:27], v[0:1]
	v_lshlrev_b32_e32 v7, 3, v0
	v_lshl_or_b32 v1, v2, 8, v6
	v_ashrrev_i32_e32 v23, 31, v22
	v_ashrrev_i32_e32 v15, 31, v14
	s_cmp_gt_i32 s15, 0
	v_lshl_or_b32 v13, v4, 6, v7
	v_mul_u64_e32 v[6:7], s[30:31], v[16:17]
	v_mul_u64_e32 v[8:9], s[30:31], v[22:23]
	v_add_nc_u32_e32 v4, s2, v5
	s_cselect_b32 s35, -1, 0
	s_lshl_b64 s[8:9], s[8:9], 3
	v_cmp_gt_i32_e32 vcc_lo, s14, v16
	s_delay_alu instid0(VALU_DEP_2)
	v_dual_lshlrev_b32 v35, 3, v5 :: v_dual_add_nc_u32 v10, 16, v4
	v_cmp_le_i32_e64 s2, v4, v16
	v_add_nc_u32_e32 v34, 0x800, v13
	v_ashrrev_i32_e32 v13, 31, v12
	v_cmp_gt_i32_e64 s0, s14, v12
	v_cmp_le_i32_e64 s3, v10, v16
	s_and_b32 s30, vcc_lo, s2
	v_cmp_le_i32_e64 s2, v4, v22
	v_cmp_gt_i32_e64 s1, s14, v14
	v_dual_ashrrev_i32 v5, 31, v4 :: v_dual_ashrrev_i32 v11, 31, v10
	s_and_b32 s31, vcc_lo, s3
	v_cmp_gt_i32_e32 vcc_lo, s14, v22
	v_cmp_le_i32_e64 s3, v10, v22
	v_lshl_add_u64 v[16:17], v[18:19], 3, s[8:9]
	s_lshl_b64 s[8:9], s[12:13], 3
	s_and_b32 s34, s34, s35
	s_and_b32 s14, vcc_lo, s2
	v_lshl_add_u64 v[18:19], v[20:21], 3, s[8:9]
	v_lshl_add_u64 v[12:13], v[12:13], 3, v[16:17]
	s_and_b32 s33, vcc_lo, s3
	s_lshl_b64 s[2:3], s[24:25], 6
	s_lshl_b64 s[8:9], s[26:27], 6
	v_lshl_add_u64 v[14:15], v[14:15], 3, v[18:19]
	s_lshl_b64 s[12:13], s[28:29], 3
	s_branch .LBB326_6
.LBB326_5:                              ;   in Loop: Header=BB326_6 Depth=1
	s_wait_xcnt 0x0
	s_or_b32 exec_lo, exec_lo, s24
	s_add_co_i32 s4, s4, 0x10000
	s_delay_alu instid0(SALU_CYCLE_1)
	s_cmp_lt_u32 s4, s19
	s_cbranch_scc0 .LBB326_33
.LBB326_6:                              ; =>This Loop Header: Depth=1
                                        ;     Child Loop BB326_9 Depth 2
	v_mov_b32_e32 v16, s4
	v_mov_b64_e32 v[24:25], 0
	v_mov_b64_e32 v[20:21], 0
	;; [unrolled: 1-line block ×3, first 2 shown]
	s_and_not1_b32 vcc_lo, exec_lo, s34
	global_load_b64 v[22:23], v16, s[16:17] scale_offset
	s_wait_xcnt 0x0
	v_mov_b64_e32 v[16:17], 0
	s_cbranch_vccnz .LBB326_13
; %bb.7:                                ;   in Loop: Header=BB326_6 Depth=1
	s_lshl_b64 s[24:25], s[4:5], 3
	v_mov_b64_e32 v[16:17], 0
	s_add_nc_u64 s[26:27], s[6:7], s[24:25]
	s_add_nc_u64 s[24:25], s[10:11], s[24:25]
	s_clause 0x1
	global_load_b64 v[24:25], v3, s[26:27]
	global_load_b64 v[28:29], v3, s[24:25]
	v_mov_b64_e32 v[18:19], 0
	v_mov_b64_e32 v[20:21], 0
	s_wait_xcnt 0x0
	s_mov_b32 s24, 0
	s_wait_loadcnt 0x1
	v_add_nc_u64_e32 v[26:27], v[24:25], v[12:13]
	s_wait_loadcnt 0x0
	v_add_nc_u64_e32 v[28:29], v[28:29], v[14:15]
	v_mov_b64_e32 v[24:25], 0
	s_branch .LBB326_9
.LBB326_8:                              ;   in Loop: Header=BB326_9 Depth=2
	s_wait_xcnt 0x0
	s_or_b32 exec_lo, exec_lo, s25
	s_wait_loadcnt_dscnt 0x0
	ds_store_b64 v34, v[32:33]
	s_wait_dscnt 0x0
	s_barrier_signal -1
	s_barrier_wait -1
	ds_load_b128 v[30:33], v36
	ds_load_2addr_b64 v[38:41], v35 offset1:16
	ds_load_b128 v[42:45], v36 offset:1024
	ds_load_b128 v[46:49], v36 offset:16
	;; [unrolled: 1-line block ×3, first 2 shown]
	v_add_nc_u64_e32 v[26:27], s[2:3], v[26:27]
	v_add_nc_u64_e32 v[28:29], s[8:9], v[28:29]
	s_add_co_i32 s24, s24, 8
	s_delay_alu instid0(SALU_CYCLE_1)
	s_cmp_lt_i32 s24, s15
	s_wait_dscnt 0x3
	v_fmac_f64_e32 v[24:25], v[38:39], v[30:31]
	v_fmac_f64_e32 v[20:21], v[40:41], v[30:31]
	s_wait_dscnt 0x2
	v_fmac_f64_e32 v[18:19], v[38:39], v[42:43]
	v_fmac_f64_e32 v[16:17], v[40:41], v[42:43]
	ds_load_2addr_b64 v[38:41], v35 offset0:32 offset1:48
	s_wait_dscnt 0x0
	v_fmac_f64_e32 v[24:25], v[38:39], v[32:33]
	v_fmac_f64_e32 v[20:21], v[40:41], v[32:33]
	v_fmac_f64_e32 v[18:19], v[38:39], v[44:45]
	v_fmac_f64_e32 v[16:17], v[40:41], v[44:45]
	ds_load_2addr_b64 v[30:33], v35 offset0:64 offset1:80
	s_wait_dscnt 0x0
	v_fmac_f64_e32 v[24:25], v[30:31], v[46:47]
	v_fmac_f64_e32 v[20:21], v[32:33], v[46:47]
	;; [unrolled: 6-line block ×3, first 2 shown]
	v_fmac_f64_e32 v[18:19], v[30:31], v[52:53]
	v_fmac_f64_e32 v[16:17], v[32:33], v[52:53]
	ds_load_b128 v[30:33], v36 offset:32
	ds_load_2addr_b64 v[38:41], v35 offset0:128 offset1:144
	ds_load_b128 v[42:45], v36 offset:1056
	ds_load_b128 v[46:49], v36 offset:48
	;; [unrolled: 1-line block ×3, first 2 shown]
	s_wait_dscnt 0x3
	v_fmac_f64_e32 v[24:25], v[38:39], v[30:31]
	v_fmac_f64_e32 v[20:21], v[40:41], v[30:31]
	s_wait_dscnt 0x2
	v_fmac_f64_e32 v[18:19], v[38:39], v[42:43]
	v_fmac_f64_e32 v[16:17], v[40:41], v[42:43]
	ds_load_2addr_b64 v[38:41], v35 offset0:160 offset1:176
	s_wait_dscnt 0x0
	v_fmac_f64_e32 v[24:25], v[38:39], v[32:33]
	v_fmac_f64_e32 v[20:21], v[40:41], v[32:33]
	;; [unrolled: 1-line block ×4, first 2 shown]
	ds_load_2addr_b64 v[30:33], v35 offset0:192 offset1:208
	s_wait_dscnt 0x0
	v_fmac_f64_e32 v[24:25], v[30:31], v[46:47]
	v_fmac_f64_e32 v[20:21], v[32:33], v[46:47]
	v_fmac_f64_e32 v[18:19], v[30:31], v[50:51]
	v_fmac_f64_e32 v[16:17], v[32:33], v[50:51]
	ds_load_2addr_b64 v[30:33], v35 offset0:224 offset1:240
	s_wait_dscnt 0x0
	s_barrier_signal -1
	s_barrier_wait -1
	v_fmac_f64_e32 v[24:25], v[30:31], v[48:49]
	v_fmac_f64_e32 v[20:21], v[32:33], v[48:49]
	;; [unrolled: 1-line block ×4, first 2 shown]
	s_cbranch_scc0 .LBB326_13
.LBB326_9:                              ;   Parent Loop BB326_6 Depth=1
                                        ; =>  This Inner Loop Header: Depth=2
	v_add_nc_u32_e32 v30, s24, v2
	s_delay_alu instid0(VALU_DEP_1) | instskip(SKIP_2) | instid1(SALU_CYCLE_1)
	v_cmp_gt_i32_e32 vcc_lo, s15, v30
	v_mov_b64_e32 v[30:31], 0
	s_and_b32 s26, s0, vcc_lo
	s_and_saveexec_b32 s25, s26
	s_cbranch_execz .LBB326_11
; %bb.10:                               ;   in Loop: Header=BB326_9 Depth=2
	flat_load_b64 v[30:31], v[26:27]
.LBB326_11:                             ;   in Loop: Header=BB326_9 Depth=2
	s_wait_xcnt 0x0
	s_or_b32 exec_lo, exec_lo, s25
	v_add_nc_u32_e32 v32, s24, v0
	s_wait_loadcnt_dscnt 0x0
	ds_store_b64 v1, v[30:31]
	v_cmp_gt_i32_e32 vcc_lo, s15, v32
	v_mov_b64_e32 v[32:33], 0
	s_and_b32 s26, vcc_lo, s1
	s_delay_alu instid0(SALU_CYCLE_1)
	s_and_saveexec_b32 s25, s26
	s_cbranch_execz .LBB326_8
; %bb.12:                               ;   in Loop: Header=BB326_9 Depth=2
	flat_load_b64 v[32:33], v[28:29]
	s_branch .LBB326_8
.LBB326_13:                             ;   in Loop: Header=BB326_6 Depth=1
	s_wait_loadcnt 0x0
	v_add_nc_u64_e32 v[22:23], s[12:13], v[22:23]
	s_delay_alu instid0(VALU_DEP_1)
	v_lshl_add_u64 v[26:27], v[6:7], 3, v[22:23]
	s_and_saveexec_b32 s24, s30
	s_cbranch_execz .LBB326_17
; %bb.14:                               ;   in Loop: Header=BB326_6 Depth=1
	v_mul_f64_e32 v[24:25], s[22:23], v[24:25]
	s_delay_alu instid0(VALU_DEP_2)
	v_lshl_add_u64 v[28:29], v[4:5], 3, v[26:27]
	s_and_b32 vcc_lo, exec_lo, s18
	s_cbranch_vccz .LBB326_28
; %bb.15:                               ;   in Loop: Header=BB326_6 Depth=1
	flat_load_b64 v[30:31], v[28:29]
	s_wait_loadcnt_dscnt 0x0
	v_fma_f64 v[30:31], s[20:21], v[30:31], v[24:25]
	flat_store_b64 v[28:29], v[30:31]
	s_cbranch_execnz .LBB326_17
.LBB326_16:                             ;   in Loop: Header=BB326_6 Depth=1
	flat_store_b64 v[28:29], v[24:25]
.LBB326_17:                             ;   in Loop: Header=BB326_6 Depth=1
	s_wait_xcnt 0x0
	s_or_b32 exec_lo, exec_lo, s24
	s_and_saveexec_b32 s24, s31
	s_cbranch_execz .LBB326_21
; %bb.18:                               ;   in Loop: Header=BB326_6 Depth=1
	v_mul_f64_e32 v[20:21], s[22:23], v[20:21]
	v_lshl_add_u64 v[24:25], v[10:11], 3, v[26:27]
	s_and_not1_b32 vcc_lo, exec_lo, s18
	s_cbranch_vccnz .LBB326_29
; %bb.19:                               ;   in Loop: Header=BB326_6 Depth=1
	flat_load_b64 v[26:27], v[24:25]
	s_wait_loadcnt_dscnt 0x0
	v_fma_f64 v[26:27], s[20:21], v[26:27], v[20:21]
	flat_store_b64 v[24:25], v[26:27]
	s_cbranch_execnz .LBB326_21
.LBB326_20:                             ;   in Loop: Header=BB326_6 Depth=1
	flat_store_b64 v[24:25], v[20:21]
.LBB326_21:                             ;   in Loop: Header=BB326_6 Depth=1
	s_wait_xcnt 0x0
	s_or_b32 exec_lo, exec_lo, s24
	v_lshl_add_u64 v[20:21], v[8:9], 3, v[22:23]
	s_and_saveexec_b32 s24, s14
	s_cbranch_execz .LBB326_25
; %bb.22:                               ;   in Loop: Header=BB326_6 Depth=1
	v_mul_f64_e32 v[18:19], s[22:23], v[18:19]
	s_delay_alu instid0(VALU_DEP_2)
	v_lshl_add_u64 v[22:23], v[4:5], 3, v[20:21]
	s_and_not1_b32 vcc_lo, exec_lo, s18
	s_cbranch_vccnz .LBB326_30
; %bb.23:                               ;   in Loop: Header=BB326_6 Depth=1
	flat_load_b64 v[24:25], v[22:23]
	s_wait_loadcnt_dscnt 0x0
	v_fma_f64 v[24:25], s[20:21], v[24:25], v[18:19]
	flat_store_b64 v[22:23], v[24:25]
	s_cbranch_execnz .LBB326_25
.LBB326_24:                             ;   in Loop: Header=BB326_6 Depth=1
	flat_store_b64 v[22:23], v[18:19]
.LBB326_25:                             ;   in Loop: Header=BB326_6 Depth=1
	s_wait_xcnt 0x0
	s_or_b32 exec_lo, exec_lo, s24
	s_and_saveexec_b32 s24, s33
	s_cbranch_execz .LBB326_5
; %bb.26:                               ;   in Loop: Header=BB326_6 Depth=1
	s_delay_alu instid0(VALU_DEP_4)
	v_mul_f64_e32 v[16:17], s[22:23], v[16:17]
	v_lshl_add_u64 v[18:19], v[10:11], 3, v[20:21]
	s_and_not1_b32 vcc_lo, exec_lo, s18
	s_cbranch_vccnz .LBB326_31
; %bb.27:                               ;   in Loop: Header=BB326_6 Depth=1
	flat_load_b64 v[20:21], v[18:19]
	s_wait_loadcnt_dscnt 0x0
	v_fma_f64 v[20:21], s[20:21], v[20:21], v[16:17]
	flat_store_b64 v[18:19], v[20:21]
	s_cbranch_execnz .LBB326_5
	s_branch .LBB326_32
.LBB326_28:                             ;   in Loop: Header=BB326_6 Depth=1
	s_branch .LBB326_16
.LBB326_29:                             ;   in Loop: Header=BB326_6 Depth=1
	s_branch .LBB326_20
.LBB326_30:                             ;   in Loop: Header=BB326_6 Depth=1
	s_branch .LBB326_24
.LBB326_31:                             ;   in Loop: Header=BB326_6 Depth=1
.LBB326_32:                             ;   in Loop: Header=BB326_6 Depth=1
	flat_store_b64 v[18:19], v[16:17]
	s_branch .LBB326_5
.LBB326_33:
	s_endpgm
	.section	.rodata,"a",@progbits
	.p2align	6, 0x0
	.amdhsa_kernel _ZL29rocblas_internal_gemmt_kernelIiLi16ELi32ELi8ELc78ELc67ELc85ELb0ELb0EdPKdPKS1_PKPdEviT_T9_T10_S7_lS9_S7_lS8_T11_S7_li
		.amdhsa_group_segment_fixed_size 4096
		.amdhsa_private_segment_fixed_size 0
		.amdhsa_kernarg_size 100
		.amdhsa_user_sgpr_count 2
		.amdhsa_user_sgpr_dispatch_ptr 0
		.amdhsa_user_sgpr_queue_ptr 0
		.amdhsa_user_sgpr_kernarg_segment_ptr 1
		.amdhsa_user_sgpr_dispatch_id 0
		.amdhsa_user_sgpr_kernarg_preload_length 0
		.amdhsa_user_sgpr_kernarg_preload_offset 0
		.amdhsa_user_sgpr_private_segment_size 0
		.amdhsa_wavefront_size32 1
		.amdhsa_uses_dynamic_stack 0
		.amdhsa_enable_private_segment 0
		.amdhsa_system_sgpr_workgroup_id_x 1
		.amdhsa_system_sgpr_workgroup_id_y 1
		.amdhsa_system_sgpr_workgroup_id_z 1
		.amdhsa_system_sgpr_workgroup_info 0
		.amdhsa_system_vgpr_workitem_id 1
		.amdhsa_next_free_vgpr 54
		.amdhsa_next_free_sgpr 36
		.amdhsa_named_barrier_count 0
		.amdhsa_reserve_vcc 1
		.amdhsa_float_round_mode_32 0
		.amdhsa_float_round_mode_16_64 0
		.amdhsa_float_denorm_mode_32 3
		.amdhsa_float_denorm_mode_16_64 3
		.amdhsa_fp16_overflow 0
		.amdhsa_memory_ordered 1
		.amdhsa_forward_progress 1
		.amdhsa_inst_pref_size 14
		.amdhsa_round_robin_scheduling 0
		.amdhsa_exception_fp_ieee_invalid_op 0
		.amdhsa_exception_fp_denorm_src 0
		.amdhsa_exception_fp_ieee_div_zero 0
		.amdhsa_exception_fp_ieee_overflow 0
		.amdhsa_exception_fp_ieee_underflow 0
		.amdhsa_exception_fp_ieee_inexact 0
		.amdhsa_exception_int_div_zero 0
	.end_amdhsa_kernel
	.section	.text._ZL29rocblas_internal_gemmt_kernelIiLi16ELi32ELi8ELc78ELc67ELc85ELb0ELb0EdPKdPKS1_PKPdEviT_T9_T10_S7_lS9_S7_lS8_T11_S7_li,"axG",@progbits,_ZL29rocblas_internal_gemmt_kernelIiLi16ELi32ELi8ELc78ELc67ELc85ELb0ELb0EdPKdPKS1_PKPdEviT_T9_T10_S7_lS9_S7_lS8_T11_S7_li,comdat
.Lfunc_end326:
	.size	_ZL29rocblas_internal_gemmt_kernelIiLi16ELi32ELi8ELc78ELc67ELc85ELb0ELb0EdPKdPKS1_PKPdEviT_T9_T10_S7_lS9_S7_lS8_T11_S7_li, .Lfunc_end326-_ZL29rocblas_internal_gemmt_kernelIiLi16ELi32ELi8ELc78ELc67ELc85ELb0ELb0EdPKdPKS1_PKPdEviT_T9_T10_S7_lS9_S7_lS8_T11_S7_li
                                        ; -- End function
	.set _ZL29rocblas_internal_gemmt_kernelIiLi16ELi32ELi8ELc78ELc67ELc85ELb0ELb0EdPKdPKS1_PKPdEviT_T9_T10_S7_lS9_S7_lS8_T11_S7_li.num_vgpr, 54
	.set _ZL29rocblas_internal_gemmt_kernelIiLi16ELi32ELi8ELc78ELc67ELc85ELb0ELb0EdPKdPKS1_PKPdEviT_T9_T10_S7_lS9_S7_lS8_T11_S7_li.num_agpr, 0
	.set _ZL29rocblas_internal_gemmt_kernelIiLi16ELi32ELi8ELc78ELc67ELc85ELb0ELb0EdPKdPKS1_PKPdEviT_T9_T10_S7_lS9_S7_lS8_T11_S7_li.numbered_sgpr, 36
	.set _ZL29rocblas_internal_gemmt_kernelIiLi16ELi32ELi8ELc78ELc67ELc85ELb0ELb0EdPKdPKS1_PKPdEviT_T9_T10_S7_lS9_S7_lS8_T11_S7_li.num_named_barrier, 0
	.set _ZL29rocblas_internal_gemmt_kernelIiLi16ELi32ELi8ELc78ELc67ELc85ELb0ELb0EdPKdPKS1_PKPdEviT_T9_T10_S7_lS9_S7_lS8_T11_S7_li.private_seg_size, 0
	.set _ZL29rocblas_internal_gemmt_kernelIiLi16ELi32ELi8ELc78ELc67ELc85ELb0ELb0EdPKdPKS1_PKPdEviT_T9_T10_S7_lS9_S7_lS8_T11_S7_li.uses_vcc, 1
	.set _ZL29rocblas_internal_gemmt_kernelIiLi16ELi32ELi8ELc78ELc67ELc85ELb0ELb0EdPKdPKS1_PKPdEviT_T9_T10_S7_lS9_S7_lS8_T11_S7_li.uses_flat_scratch, 0
	.set _ZL29rocblas_internal_gemmt_kernelIiLi16ELi32ELi8ELc78ELc67ELc85ELb0ELb0EdPKdPKS1_PKPdEviT_T9_T10_S7_lS9_S7_lS8_T11_S7_li.has_dyn_sized_stack, 0
	.set _ZL29rocblas_internal_gemmt_kernelIiLi16ELi32ELi8ELc78ELc67ELc85ELb0ELb0EdPKdPKS1_PKPdEviT_T9_T10_S7_lS9_S7_lS8_T11_S7_li.has_recursion, 0
	.set _ZL29rocblas_internal_gemmt_kernelIiLi16ELi32ELi8ELc78ELc67ELc85ELb0ELb0EdPKdPKS1_PKPdEviT_T9_T10_S7_lS9_S7_lS8_T11_S7_li.has_indirect_call, 0
	.section	.AMDGPU.csdata,"",@progbits
; Kernel info:
; codeLenInByte = 1712
; TotalNumSgprs: 38
; NumVgprs: 54
; ScratchSize: 0
; MemoryBound: 0
; FloatMode: 240
; IeeeMode: 1
; LDSByteSize: 4096 bytes/workgroup (compile time only)
; SGPRBlocks: 0
; VGPRBlocks: 3
; NumSGPRsForWavesPerEU: 38
; NumVGPRsForWavesPerEU: 54
; NamedBarCnt: 0
; Occupancy: 16
; WaveLimiterHint : 1
; COMPUTE_PGM_RSRC2:SCRATCH_EN: 0
; COMPUTE_PGM_RSRC2:USER_SGPR: 2
; COMPUTE_PGM_RSRC2:TRAP_HANDLER: 0
; COMPUTE_PGM_RSRC2:TGID_X_EN: 1
; COMPUTE_PGM_RSRC2:TGID_Y_EN: 1
; COMPUTE_PGM_RSRC2:TGID_Z_EN: 1
; COMPUTE_PGM_RSRC2:TIDIG_COMP_CNT: 1
	.section	.text._ZL29rocblas_internal_gemmt_kernelIiLi16ELi32ELi8ELc84ELc78ELc85ELb0ELb0EdPKdPKS1_PKPdEviT_T9_T10_S7_lS9_S7_lS8_T11_S7_li,"axG",@progbits,_ZL29rocblas_internal_gemmt_kernelIiLi16ELi32ELi8ELc84ELc78ELc85ELb0ELb0EdPKdPKS1_PKPdEviT_T9_T10_S7_lS9_S7_lS8_T11_S7_li,comdat
	.globl	_ZL29rocblas_internal_gemmt_kernelIiLi16ELi32ELi8ELc84ELc78ELc85ELb0ELb0EdPKdPKS1_PKPdEviT_T9_T10_S7_lS9_S7_lS8_T11_S7_li ; -- Begin function _ZL29rocblas_internal_gemmt_kernelIiLi16ELi32ELi8ELc84ELc78ELc85ELb0ELb0EdPKdPKS1_PKPdEviT_T9_T10_S7_lS9_S7_lS8_T11_S7_li
	.p2align	8
	.type	_ZL29rocblas_internal_gemmt_kernelIiLi16ELi32ELi8ELc84ELc78ELc85ELb0ELb0EdPKdPKS1_PKPdEviT_T9_T10_S7_lS9_S7_lS8_T11_S7_li,@function
_ZL29rocblas_internal_gemmt_kernelIiLi16ELi32ELi8ELc84ELc78ELc85ELb0ELb0EdPKdPKS1_PKPdEviT_T9_T10_S7_lS9_S7_lS8_T11_S7_li: ; @_ZL29rocblas_internal_gemmt_kernelIiLi16ELi32ELi8ELc84ELc78ELc85ELb0ELb0EdPKdPKS1_PKPdEviT_T9_T10_S7_lS9_S7_lS8_T11_S7_li
; %bb.0:
	s_load_b128 s[12:15], s[0:1], 0x38
	s_wait_kmcnt 0x0
	s_load_b64 s[20:21], s[14:15], 0x0
	s_load_b128 s[4:7], s[0:1], 0x8
	s_wait_xcnt 0x0
	s_load_b64 s[14:15], s[0:1], 0x0
	s_wait_kmcnt 0x0
	s_load_b64 s[22:23], s[4:5], 0x0
	v_cmp_neq_f64_e64 s2, s[20:21], 1.0
	s_and_b32 vcc_lo, exec_lo, s2
	s_cbranch_vccnz .LBB327_2
; %bb.1:
	s_wait_kmcnt 0x0
	v_cmp_neq_f64_e64 s2, s[22:23], 0
	s_cmp_lg_u32 s15, 0
	s_cselect_b32 s3, -1, 0
	s_delay_alu instid0(SALU_CYCLE_1)
	s_and_b32 s2, s3, s2
.LBB327_2:
	s_delay_alu instid0(SALU_CYCLE_1)
	s_and_not1_b32 vcc_lo, exec_lo, s2
	s_cbranch_vccnz .LBB327_33
; %bb.3:
	s_load_b32 s19, s[0:1], 0x60
	s_bfe_u32 s2, ttmp6, 0x40014
	s_lshr_b32 s3, ttmp7, 16
	s_add_co_i32 s2, s2, 1
	s_wait_xcnt 0x0
	s_bfe_u32 s4, ttmp6, 0x40008
	s_mul_i32 s2, s3, s2
	s_getreg_b32 s28, hwreg(HW_REG_IB_STS2, 6, 4)
	s_add_co_i32 s4, s4, s2
	s_cmp_eq_u32 s28, 0
	s_mov_b32 s5, 0
	s_cselect_b32 s4, s3, s4
	s_wait_kmcnt 0x0
	s_cmp_ge_u32 s4, s19
	s_cbranch_scc1 .LBB327_33
; %bb.4:
	s_clause 0x3
	s_load_b32 s26, s[0:1], 0x18
	s_load_b32 s2, s[0:1], 0x30
	s_load_b96 s[16:18], s[0:1], 0x48
	s_load_b128 s[8:11], s[0:1], 0x20
	v_and_b32_e32 v6, 0x3ff, v0
	v_bfe_u32 v2, v0, 10, 10
	s_load_b64 s[24:25], s[0:1], 0x58
	s_wait_xcnt 0x0
	s_bfe_u32 s1, ttmp6, 0x4000c
	s_bfe_u32 s3, ttmp6, 0x40010
	s_and_b32 s29, ttmp7, 0xffff
	s_add_co_i32 s1, s1, 1
	s_add_co_i32 s3, s3, 1
	v_lshl_add_u32 v3, v2, 4, v6
	s_and_b32 s0, ttmp6, 15
	s_bfe_u32 s30, ttmp6, 0x40004
	s_mul_i32 s31, ttmp9, s1
	s_mul_i32 s33, s29, s3
	s_add_co_i32 s0, s0, s31
	s_add_co_i32 s30, s30, s33
	v_dual_lshrrev_b32 v4, 3, v3 :: v_dual_bitop2_b32 v5, 31, v3 bitop3:0x40
	s_wait_kmcnt 0x0
	s_ashr_i32 s27, s26, 31
	s_ashr_i32 s3, s2, 31
	;; [unrolled: 1-line block ×3, first 2 shown]
	s_cmp_eq_u32 s28, 0
	v_dual_lshlrev_b32 v33, 3, v6 :: v_dual_lshrrev_b32 v35, 5, v3
	s_cselect_b32 s0, ttmp9, s0
	s_cselect_b32 s28, s29, s30
	s_lshl_b32 s29, s0, 5
	s_lshl_b32 s0, s28, 5
	s_delay_alu instid0(SALU_CYCLE_1) | instskip(SKIP_2) | instid1(VALU_DEP_3)
	v_dual_add_nc_u32 v12, s0, v4 :: v_dual_bitop2_b32 v10, s29, v5 bitop3:0x54
	v_dual_add_nc_u32 v14, s0, v2 :: v_dual_bitop2_b32 v32, 7, v0 bitop3:0x40
	v_cmp_neq_f64_e64 s30, s[22:23], 0
	v_dual_ashrrev_i32 v11, 31, v10 :: v_dual_ashrrev_i32 v13, 31, v12
	s_delay_alu instid0(VALU_DEP_3) | instskip(NEXT) | instid1(VALU_DEP_4)
	v_dual_mov_b32 v1, 0 :: v_dual_lshlrev_b32 v20, 3, v32
	v_dual_add_nc_u32 v22, 16, v14 :: v_dual_lshlrev_b32 v0, 3, v5
	s_delay_alu instid0(VALU_DEP_3) | instskip(NEXT) | instid1(VALU_DEP_4)
	v_mul_u64_e32 v[16:17], s[26:27], v[10:11]
	v_mul_u64_e32 v[18:19], s[2:3], v[12:13]
	s_delay_alu instid0(VALU_DEP_4) | instskip(SKIP_3) | instid1(VALU_DEP_3)
	v_lshl_or_b32 v7, v4, 6, v20
	v_dual_mov_b32 v21, v1 :: v_dual_add_nc_u32 v6, s29, v6
	v_ashrrev_i32_e32 v23, 31, v22
	s_mov_b32 s0, s18
	v_add_nc_u32_e32 v37, 0x800, v7
	s_delay_alu instid0(VALU_DEP_3)
	v_dual_add_nc_u32 v8, 16, v6 :: v_dual_ashrrev_i32 v7, 31, v6
	v_ashrrev_i32_e32 v15, 31, v14
	v_cmp_neq_f64_e64 s28, s[20:21], 0
	v_lshl_add_u32 v34, v2, 6, 0x800
	v_lshl_or_b32 v36, v35, 8, v0
	v_ashrrev_i32_e32 v9, 31, v8
	v_mul_u64_e32 v[2:3], s[0:1], v[14:15]
	v_lshlrev_b32_e32 v0, 3, v35
	v_mul_u64_e32 v[4:5], s[0:1], v[22:23]
	s_cmp_gt_i32 s15, 0
	v_cmp_gt_i32_e32 vcc_lo, s14, v14
	s_cselect_b32 s18, -1, 0
	s_lshl_b64 s[26:27], s[8:9], 3
	s_lshl_b64 s[12:13], s[12:13], 3
	v_cmp_le_i32_e64 s2, v6, v14
	v_cmp_gt_i32_e64 s0, s14, v10
	v_cmp_le_i32_e64 s3, v8, v14
	v_cmp_gt_i32_e64 s1, s14, v12
	s_and_b32 s8, vcc_lo, s2
	v_cmp_le_i32_e64 s2, v6, v22
	s_and_b32 s9, vcc_lo, s3
	v_cmp_gt_i32_e32 vcc_lo, s14, v22
	v_lshl_add_u64 v[10:11], v[16:17], 3, s[26:27]
	v_lshl_add_u64 v[12:13], v[18:19], 3, s[12:13]
	v_cmp_le_i32_e64 s3, v8, v22
	s_and_b32 s12, s30, s18
	s_and_b32 s13, vcc_lo, s2
	v_add_nc_u64_e32 v[10:11], v[10:11], v[0:1]
	v_add_nc_u64_e32 v[12:13], v[12:13], v[20:21]
	s_and_b32 s14, vcc_lo, s3
	s_lshl_b64 s[2:3], s[24:25], 3
	s_branch .LBB327_6
.LBB327_5:                              ;   in Loop: Header=BB327_6 Depth=1
	s_wait_xcnt 0x0
	s_or_b32 exec_lo, exec_lo, s18
	s_add_co_i32 s4, s4, 0x10000
	s_delay_alu instid0(SALU_CYCLE_1)
	s_cmp_lt_u32 s4, s19
	s_cbranch_scc0 .LBB327_33
.LBB327_6:                              ; =>This Loop Header: Depth=1
                                        ;     Child Loop BB327_9 Depth 2
	v_mov_b32_e32 v0, s4
	v_mov_b64_e32 v[22:23], 0
	v_mov_b64_e32 v[18:19], 0
	v_mov_b64_e32 v[16:17], 0
	v_mov_b64_e32 v[14:15], 0
	global_load_b64 v[20:21], v0, s[16:17] scale_offset
	s_and_not1_b32 vcc_lo, exec_lo, s12
	s_cbranch_vccnz .LBB327_13
; %bb.7:                                ;   in Loop: Header=BB327_6 Depth=1
	s_lshl_b64 s[24:25], s[4:5], 3
	v_mov_b64_e32 v[14:15], 0
	s_add_nc_u64 s[26:27], s[6:7], s[24:25]
	s_add_nc_u64 s[24:25], s[10:11], s[24:25]
	s_clause 0x1
	global_load_b64 v[22:23], v1, s[26:27]
	global_load_b64 v[26:27], v1, s[24:25]
	v_mov_b64_e32 v[16:17], 0
	v_mov_b64_e32 v[18:19], 0
	s_mov_b32 s18, 0
	s_wait_loadcnt 0x1
	v_add_nc_u64_e32 v[24:25], v[22:23], v[10:11]
	s_wait_loadcnt 0x0
	v_add_nc_u64_e32 v[26:27], v[26:27], v[12:13]
	v_mov_b64_e32 v[22:23], 0
	s_branch .LBB327_9
.LBB327_8:                              ;   in Loop: Header=BB327_9 Depth=2
	s_wait_xcnt 0x0
	s_or_b32 exec_lo, exec_lo, s24
	s_wait_loadcnt_dscnt 0x0
	ds_store_b64 v37, v[30:31]
	s_wait_dscnt 0x0
	s_barrier_signal -1
	s_barrier_wait -1
	ds_load_b128 v[28:31], v34
	ds_load_2addr_b64 v[38:41], v33 offset1:16
	ds_load_b128 v[42:45], v34 offset:1024
	ds_load_b128 v[46:49], v34 offset:16
	;; [unrolled: 1-line block ×3, first 2 shown]
	v_add_nc_u64_e32 v[24:25], 64, v[24:25]
	v_add_nc_u64_e32 v[26:27], 64, v[26:27]
	s_add_co_i32 s18, s18, 8
	s_delay_alu instid0(SALU_CYCLE_1)
	s_cmp_lt_i32 s18, s15
	s_wait_dscnt 0x3
	v_fmac_f64_e32 v[22:23], v[38:39], v[28:29]
	v_fmac_f64_e32 v[18:19], v[40:41], v[28:29]
	s_wait_dscnt 0x2
	v_fmac_f64_e32 v[16:17], v[38:39], v[42:43]
	v_fmac_f64_e32 v[14:15], v[40:41], v[42:43]
	ds_load_2addr_b64 v[38:41], v33 offset0:32 offset1:48
	s_wait_dscnt 0x0
	v_fmac_f64_e32 v[22:23], v[38:39], v[30:31]
	v_fmac_f64_e32 v[18:19], v[40:41], v[30:31]
	v_fmac_f64_e32 v[16:17], v[38:39], v[44:45]
	v_fmac_f64_e32 v[14:15], v[40:41], v[44:45]
	ds_load_2addr_b64 v[28:31], v33 offset0:64 offset1:80
	s_wait_dscnt 0x0
	v_fmac_f64_e32 v[22:23], v[28:29], v[46:47]
	v_fmac_f64_e32 v[18:19], v[30:31], v[46:47]
	;; [unrolled: 6-line block ×3, first 2 shown]
	v_fmac_f64_e32 v[16:17], v[28:29], v[52:53]
	v_fmac_f64_e32 v[14:15], v[30:31], v[52:53]
	ds_load_b128 v[28:31], v34 offset:32
	ds_load_2addr_b64 v[38:41], v33 offset0:128 offset1:144
	ds_load_b128 v[42:45], v34 offset:1056
	ds_load_b128 v[46:49], v34 offset:48
	ds_load_b128 v[50:53], v34 offset:1072
	s_wait_dscnt 0x3
	v_fmac_f64_e32 v[22:23], v[38:39], v[28:29]
	v_fmac_f64_e32 v[18:19], v[40:41], v[28:29]
	s_wait_dscnt 0x2
	v_fmac_f64_e32 v[16:17], v[38:39], v[42:43]
	v_fmac_f64_e32 v[14:15], v[40:41], v[42:43]
	ds_load_2addr_b64 v[38:41], v33 offset0:160 offset1:176
	s_wait_dscnt 0x0
	v_fmac_f64_e32 v[22:23], v[38:39], v[30:31]
	v_fmac_f64_e32 v[18:19], v[40:41], v[30:31]
	;; [unrolled: 1-line block ×4, first 2 shown]
	ds_load_2addr_b64 v[28:31], v33 offset0:192 offset1:208
	s_wait_dscnt 0x0
	v_fmac_f64_e32 v[22:23], v[28:29], v[46:47]
	v_fmac_f64_e32 v[18:19], v[30:31], v[46:47]
	;; [unrolled: 1-line block ×4, first 2 shown]
	ds_load_2addr_b64 v[28:31], v33 offset0:224 offset1:240
	s_wait_dscnt 0x0
	s_barrier_signal -1
	s_barrier_wait -1
	v_fmac_f64_e32 v[22:23], v[28:29], v[48:49]
	v_fmac_f64_e32 v[18:19], v[30:31], v[48:49]
	;; [unrolled: 1-line block ×4, first 2 shown]
	s_cbranch_scc0 .LBB327_13
.LBB327_9:                              ;   Parent Loop BB327_6 Depth=1
                                        ; =>  This Inner Loop Header: Depth=2
	s_wait_xcnt 0x2
	v_add_nc_u32_e32 v0, s18, v35
	v_mov_b64_e32 v[28:29], 0
	s_delay_alu instid0(VALU_DEP_2) | instskip(SKIP_2) | instid1(SALU_CYCLE_1)
	v_cmp_gt_i32_e32 vcc_lo, s15, v0
	s_wait_xcnt 0x0
	s_and_b32 s25, s0, vcc_lo
	s_and_saveexec_b32 s24, s25
	s_cbranch_execz .LBB327_11
; %bb.10:                               ;   in Loop: Header=BB327_9 Depth=2
	flat_load_b64 v[28:29], v[24:25]
.LBB327_11:                             ;   in Loop: Header=BB327_9 Depth=2
	s_wait_xcnt 0x0
	s_or_b32 exec_lo, exec_lo, s24
	v_add_nc_u32_e32 v0, s18, v32
	v_mov_b64_e32 v[30:31], 0
	s_wait_loadcnt_dscnt 0x0
	ds_store_b64 v36, v[28:29]
	v_cmp_gt_i32_e32 vcc_lo, s15, v0
	s_and_b32 s25, vcc_lo, s1
	s_delay_alu instid0(SALU_CYCLE_1)
	s_and_saveexec_b32 s24, s25
	s_cbranch_execz .LBB327_8
; %bb.12:                               ;   in Loop: Header=BB327_9 Depth=2
	flat_load_b64 v[30:31], v[26:27]
	s_branch .LBB327_8
.LBB327_13:                             ;   in Loop: Header=BB327_6 Depth=1
	s_wait_loadcnt 0x0
	v_add_nc_u64_e32 v[20:21], s[2:3], v[20:21]
	s_delay_alu instid0(VALU_DEP_1)
	v_lshl_add_u64 v[24:25], v[2:3], 3, v[20:21]
	s_wait_xcnt 0x0
	s_and_saveexec_b32 s18, s8
	s_cbranch_execz .LBB327_17
; %bb.14:                               ;   in Loop: Header=BB327_6 Depth=1
	v_mul_f64_e32 v[22:23], s[22:23], v[22:23]
	v_lshl_add_u64 v[26:27], v[6:7], 3, v[24:25]
	s_and_b32 vcc_lo, exec_lo, s28
	s_cbranch_vccz .LBB327_28
; %bb.15:                               ;   in Loop: Header=BB327_6 Depth=1
	flat_load_b64 v[28:29], v[26:27]
	s_wait_loadcnt_dscnt 0x0
	v_fma_f64 v[28:29], s[20:21], v[28:29], v[22:23]
	flat_store_b64 v[26:27], v[28:29]
	s_cbranch_execnz .LBB327_17
.LBB327_16:                             ;   in Loop: Header=BB327_6 Depth=1
	flat_store_b64 v[26:27], v[22:23]
.LBB327_17:                             ;   in Loop: Header=BB327_6 Depth=1
	s_wait_xcnt 0x0
	s_or_b32 exec_lo, exec_lo, s18
	s_and_saveexec_b32 s18, s9
	s_cbranch_execz .LBB327_21
; %bb.18:                               ;   in Loop: Header=BB327_6 Depth=1
	v_mul_f64_e32 v[18:19], s[22:23], v[18:19]
	v_lshl_add_u64 v[22:23], v[8:9], 3, v[24:25]
	s_and_not1_b32 vcc_lo, exec_lo, s28
	s_cbranch_vccnz .LBB327_29
; %bb.19:                               ;   in Loop: Header=BB327_6 Depth=1
	flat_load_b64 v[24:25], v[22:23]
	s_wait_loadcnt_dscnt 0x0
	v_fma_f64 v[24:25], s[20:21], v[24:25], v[18:19]
	flat_store_b64 v[22:23], v[24:25]
	s_cbranch_execnz .LBB327_21
.LBB327_20:                             ;   in Loop: Header=BB327_6 Depth=1
	flat_store_b64 v[22:23], v[18:19]
.LBB327_21:                             ;   in Loop: Header=BB327_6 Depth=1
	s_wait_xcnt 0x0
	s_or_b32 exec_lo, exec_lo, s18
	v_lshl_add_u64 v[18:19], v[4:5], 3, v[20:21]
	s_and_saveexec_b32 s18, s13
	s_cbranch_execz .LBB327_25
; %bb.22:                               ;   in Loop: Header=BB327_6 Depth=1
	v_mul_f64_e32 v[16:17], s[22:23], v[16:17]
	s_delay_alu instid0(VALU_DEP_2)
	v_lshl_add_u64 v[20:21], v[6:7], 3, v[18:19]
	s_and_not1_b32 vcc_lo, exec_lo, s28
	s_cbranch_vccnz .LBB327_30
; %bb.23:                               ;   in Loop: Header=BB327_6 Depth=1
	flat_load_b64 v[22:23], v[20:21]
	s_wait_loadcnt_dscnt 0x0
	v_fma_f64 v[22:23], s[20:21], v[22:23], v[16:17]
	flat_store_b64 v[20:21], v[22:23]
	s_cbranch_execnz .LBB327_25
.LBB327_24:                             ;   in Loop: Header=BB327_6 Depth=1
	flat_store_b64 v[20:21], v[16:17]
.LBB327_25:                             ;   in Loop: Header=BB327_6 Depth=1
	s_wait_xcnt 0x0
	s_or_b32 exec_lo, exec_lo, s18
	s_and_saveexec_b32 s18, s14
	s_cbranch_execz .LBB327_5
; %bb.26:                               ;   in Loop: Header=BB327_6 Depth=1
	s_delay_alu instid0(VALU_DEP_4)
	v_mul_f64_e32 v[14:15], s[22:23], v[14:15]
	v_lshl_add_u64 v[16:17], v[8:9], 3, v[18:19]
	s_and_not1_b32 vcc_lo, exec_lo, s28
	s_cbranch_vccnz .LBB327_31
; %bb.27:                               ;   in Loop: Header=BB327_6 Depth=1
	flat_load_b64 v[18:19], v[16:17]
	s_wait_loadcnt_dscnt 0x0
	v_fma_f64 v[18:19], s[20:21], v[18:19], v[14:15]
	flat_store_b64 v[16:17], v[18:19]
	s_cbranch_execnz .LBB327_5
	s_branch .LBB327_32
.LBB327_28:                             ;   in Loop: Header=BB327_6 Depth=1
	s_branch .LBB327_16
.LBB327_29:                             ;   in Loop: Header=BB327_6 Depth=1
	s_branch .LBB327_20
.LBB327_30:                             ;   in Loop: Header=BB327_6 Depth=1
	s_branch .LBB327_24
.LBB327_31:                             ;   in Loop: Header=BB327_6 Depth=1
.LBB327_32:                             ;   in Loop: Header=BB327_6 Depth=1
	flat_store_b64 v[16:17], v[14:15]
	s_branch .LBB327_5
.LBB327_33:
	s_endpgm
	.section	.rodata,"a",@progbits
	.p2align	6, 0x0
	.amdhsa_kernel _ZL29rocblas_internal_gemmt_kernelIiLi16ELi32ELi8ELc84ELc78ELc85ELb0ELb0EdPKdPKS1_PKPdEviT_T9_T10_S7_lS9_S7_lS8_T11_S7_li
		.amdhsa_group_segment_fixed_size 4096
		.amdhsa_private_segment_fixed_size 0
		.amdhsa_kernarg_size 100
		.amdhsa_user_sgpr_count 2
		.amdhsa_user_sgpr_dispatch_ptr 0
		.amdhsa_user_sgpr_queue_ptr 0
		.amdhsa_user_sgpr_kernarg_segment_ptr 1
		.amdhsa_user_sgpr_dispatch_id 0
		.amdhsa_user_sgpr_kernarg_preload_length 0
		.amdhsa_user_sgpr_kernarg_preload_offset 0
		.amdhsa_user_sgpr_private_segment_size 0
		.amdhsa_wavefront_size32 1
		.amdhsa_uses_dynamic_stack 0
		.amdhsa_enable_private_segment 0
		.amdhsa_system_sgpr_workgroup_id_x 1
		.amdhsa_system_sgpr_workgroup_id_y 1
		.amdhsa_system_sgpr_workgroup_id_z 1
		.amdhsa_system_sgpr_workgroup_info 0
		.amdhsa_system_vgpr_workitem_id 1
		.amdhsa_next_free_vgpr 54
		.amdhsa_next_free_sgpr 34
		.amdhsa_named_barrier_count 0
		.amdhsa_reserve_vcc 1
		.amdhsa_float_round_mode_32 0
		.amdhsa_float_round_mode_16_64 0
		.amdhsa_float_denorm_mode_32 3
		.amdhsa_float_denorm_mode_16_64 3
		.amdhsa_fp16_overflow 0
		.amdhsa_memory_ordered 1
		.amdhsa_forward_progress 1
		.amdhsa_inst_pref_size 14
		.amdhsa_round_robin_scheduling 0
		.amdhsa_exception_fp_ieee_invalid_op 0
		.amdhsa_exception_fp_denorm_src 0
		.amdhsa_exception_fp_ieee_div_zero 0
		.amdhsa_exception_fp_ieee_overflow 0
		.amdhsa_exception_fp_ieee_underflow 0
		.amdhsa_exception_fp_ieee_inexact 0
		.amdhsa_exception_int_div_zero 0
	.end_amdhsa_kernel
	.section	.text._ZL29rocblas_internal_gemmt_kernelIiLi16ELi32ELi8ELc84ELc78ELc85ELb0ELb0EdPKdPKS1_PKPdEviT_T9_T10_S7_lS9_S7_lS8_T11_S7_li,"axG",@progbits,_ZL29rocblas_internal_gemmt_kernelIiLi16ELi32ELi8ELc84ELc78ELc85ELb0ELb0EdPKdPKS1_PKPdEviT_T9_T10_S7_lS9_S7_lS8_T11_S7_li,comdat
.Lfunc_end327:
	.size	_ZL29rocblas_internal_gemmt_kernelIiLi16ELi32ELi8ELc84ELc78ELc85ELb0ELb0EdPKdPKS1_PKPdEviT_T9_T10_S7_lS9_S7_lS8_T11_S7_li, .Lfunc_end327-_ZL29rocblas_internal_gemmt_kernelIiLi16ELi32ELi8ELc84ELc78ELc85ELb0ELb0EdPKdPKS1_PKPdEviT_T9_T10_S7_lS9_S7_lS8_T11_S7_li
                                        ; -- End function
	.set _ZL29rocblas_internal_gemmt_kernelIiLi16ELi32ELi8ELc84ELc78ELc85ELb0ELb0EdPKdPKS1_PKPdEviT_T9_T10_S7_lS9_S7_lS8_T11_S7_li.num_vgpr, 54
	.set _ZL29rocblas_internal_gemmt_kernelIiLi16ELi32ELi8ELc84ELc78ELc85ELb0ELb0EdPKdPKS1_PKPdEviT_T9_T10_S7_lS9_S7_lS8_T11_S7_li.num_agpr, 0
	.set _ZL29rocblas_internal_gemmt_kernelIiLi16ELi32ELi8ELc84ELc78ELc85ELb0ELb0EdPKdPKS1_PKPdEviT_T9_T10_S7_lS9_S7_lS8_T11_S7_li.numbered_sgpr, 34
	.set _ZL29rocblas_internal_gemmt_kernelIiLi16ELi32ELi8ELc84ELc78ELc85ELb0ELb0EdPKdPKS1_PKPdEviT_T9_T10_S7_lS9_S7_lS8_T11_S7_li.num_named_barrier, 0
	.set _ZL29rocblas_internal_gemmt_kernelIiLi16ELi32ELi8ELc84ELc78ELc85ELb0ELb0EdPKdPKS1_PKPdEviT_T9_T10_S7_lS9_S7_lS8_T11_S7_li.private_seg_size, 0
	.set _ZL29rocblas_internal_gemmt_kernelIiLi16ELi32ELi8ELc84ELc78ELc85ELb0ELb0EdPKdPKS1_PKPdEviT_T9_T10_S7_lS9_S7_lS8_T11_S7_li.uses_vcc, 1
	.set _ZL29rocblas_internal_gemmt_kernelIiLi16ELi32ELi8ELc84ELc78ELc85ELb0ELb0EdPKdPKS1_PKPdEviT_T9_T10_S7_lS9_S7_lS8_T11_S7_li.uses_flat_scratch, 0
	.set _ZL29rocblas_internal_gemmt_kernelIiLi16ELi32ELi8ELc84ELc78ELc85ELb0ELb0EdPKdPKS1_PKPdEviT_T9_T10_S7_lS9_S7_lS8_T11_S7_li.has_dyn_sized_stack, 0
	.set _ZL29rocblas_internal_gemmt_kernelIiLi16ELi32ELi8ELc84ELc78ELc85ELb0ELb0EdPKdPKS1_PKPdEviT_T9_T10_S7_lS9_S7_lS8_T11_S7_li.has_recursion, 0
	.set _ZL29rocblas_internal_gemmt_kernelIiLi16ELi32ELi8ELc84ELc78ELc85ELb0ELb0EdPKdPKS1_PKPdEviT_T9_T10_S7_lS9_S7_lS8_T11_S7_li.has_indirect_call, 0
	.section	.AMDGPU.csdata,"",@progbits
; Kernel info:
; codeLenInByte = 1708
; TotalNumSgprs: 36
; NumVgprs: 54
; ScratchSize: 0
; MemoryBound: 0
; FloatMode: 240
; IeeeMode: 1
; LDSByteSize: 4096 bytes/workgroup (compile time only)
; SGPRBlocks: 0
; VGPRBlocks: 3
; NumSGPRsForWavesPerEU: 36
; NumVGPRsForWavesPerEU: 54
; NamedBarCnt: 0
; Occupancy: 16
; WaveLimiterHint : 1
; COMPUTE_PGM_RSRC2:SCRATCH_EN: 0
; COMPUTE_PGM_RSRC2:USER_SGPR: 2
; COMPUTE_PGM_RSRC2:TRAP_HANDLER: 0
; COMPUTE_PGM_RSRC2:TGID_X_EN: 1
; COMPUTE_PGM_RSRC2:TGID_Y_EN: 1
; COMPUTE_PGM_RSRC2:TGID_Z_EN: 1
; COMPUTE_PGM_RSRC2:TIDIG_COMP_CNT: 1
	.section	.text._ZL29rocblas_internal_gemmt_kernelIiLi16ELi32ELi8ELc84ELc84ELc85ELb0ELb0EdPKdPKS1_PKPdEviT_T9_T10_S7_lS9_S7_lS8_T11_S7_li,"axG",@progbits,_ZL29rocblas_internal_gemmt_kernelIiLi16ELi32ELi8ELc84ELc84ELc85ELb0ELb0EdPKdPKS1_PKPdEviT_T9_T10_S7_lS9_S7_lS8_T11_S7_li,comdat
	.globl	_ZL29rocblas_internal_gemmt_kernelIiLi16ELi32ELi8ELc84ELc84ELc85ELb0ELb0EdPKdPKS1_PKPdEviT_T9_T10_S7_lS9_S7_lS8_T11_S7_li ; -- Begin function _ZL29rocblas_internal_gemmt_kernelIiLi16ELi32ELi8ELc84ELc84ELc85ELb0ELb0EdPKdPKS1_PKPdEviT_T9_T10_S7_lS9_S7_lS8_T11_S7_li
	.p2align	8
	.type	_ZL29rocblas_internal_gemmt_kernelIiLi16ELi32ELi8ELc84ELc84ELc85ELb0ELb0EdPKdPKS1_PKPdEviT_T9_T10_S7_lS9_S7_lS8_T11_S7_li,@function
_ZL29rocblas_internal_gemmt_kernelIiLi16ELi32ELi8ELc84ELc84ELc85ELb0ELb0EdPKdPKS1_PKPdEviT_T9_T10_S7_lS9_S7_lS8_T11_S7_li: ; @_ZL29rocblas_internal_gemmt_kernelIiLi16ELi32ELi8ELc84ELc84ELc85ELb0ELb0EdPKdPKS1_PKPdEviT_T9_T10_S7_lS9_S7_lS8_T11_S7_li
; %bb.0:
	s_load_b128 s[12:15], s[0:1], 0x38
	s_wait_kmcnt 0x0
	s_load_b64 s[20:21], s[14:15], 0x0
	s_load_b128 s[4:7], s[0:1], 0x8
	s_wait_xcnt 0x0
	s_load_b64 s[14:15], s[0:1], 0x0
	s_wait_kmcnt 0x0
	s_load_b64 s[22:23], s[4:5], 0x0
	v_cmp_neq_f64_e64 s2, s[20:21], 1.0
	s_and_b32 vcc_lo, exec_lo, s2
	s_cbranch_vccnz .LBB328_2
; %bb.1:
	s_wait_kmcnt 0x0
	v_cmp_neq_f64_e64 s2, s[22:23], 0
	s_cmp_lg_u32 s15, 0
	s_cselect_b32 s3, -1, 0
	s_delay_alu instid0(SALU_CYCLE_1)
	s_and_b32 s2, s3, s2
.LBB328_2:
	s_delay_alu instid0(SALU_CYCLE_1)
	s_and_not1_b32 vcc_lo, exec_lo, s2
	s_cbranch_vccnz .LBB328_33
; %bb.3:
	s_load_b32 s19, s[0:1], 0x60
	s_bfe_u32 s2, ttmp6, 0x40014
	s_lshr_b32 s3, ttmp7, 16
	s_add_co_i32 s2, s2, 1
	s_wait_xcnt 0x0
	s_bfe_u32 s4, ttmp6, 0x40008
	s_mul_i32 s2, s3, s2
	s_getreg_b32 s28, hwreg(HW_REG_IB_STS2, 6, 4)
	s_add_co_i32 s4, s4, s2
	s_cmp_eq_u32 s28, 0
	s_mov_b32 s5, 0
	s_cselect_b32 s4, s3, s4
	s_wait_kmcnt 0x0
	s_cmp_ge_u32 s4, s19
	s_cbranch_scc1 .LBB328_33
; %bb.4:
	s_clause 0x3
	s_load_b32 s2, s[0:1], 0x18
	s_load_b32 s24, s[0:1], 0x30
	s_load_b96 s[16:18], s[0:1], 0x48
	s_load_b128 s[8:11], s[0:1], 0x20
	v_and_b32_e32 v2, 0x3ff, v0
	v_bfe_u32 v11, v0, 10, 10
	s_load_b64 s[26:27], s[0:1], 0x58
	s_wait_xcnt 0x0
	s_bfe_u32 s1, ttmp6, 0x4000c
	s_bfe_u32 s3, ttmp6, 0x40010
	s_and_b32 s30, ttmp7, 0xffff
	s_add_co_i32 s1, s1, 1
	s_add_co_i32 s3, s3, 1
	v_lshl_add_u32 v1, v11, 4, v2
	s_and_b32 s0, ttmp6, 15
	s_bfe_u32 s31, ttmp6, 0x40004
	s_mul_i32 s1, ttmp9, s1
	s_mul_i32 s33, s30, s3
	s_add_co_i32 s0, s0, s1
	s_add_co_i32 s31, s31, s33
	v_dual_lshrrev_b32 v34, 5, v1 :: v_dual_bitop2_b32 v6, 31, v1 bitop3:0x40
	s_wait_kmcnt 0x0
	s_ashr_i32 s3, s2, 31
	s_ashr_i32 s25, s24, 31
	;; [unrolled: 1-line block ×3, first 2 shown]
	s_cmp_eq_u32 s28, 0
	v_dual_mov_b32 v3, 0 :: v_dual_bitop2_b32 v0, 7, v0 bitop3:0x40
	s_cselect_b32 s0, ttmp9, s0
	s_cselect_b32 s1, s30, s31
	s_lshl_b32 s30, s0, 5
	s_delay_alu instid0(SALU_CYCLE_1) | instskip(SKIP_1) | instid1(SALU_CYCLE_1)
	v_dual_lshrrev_b32 v7, 3, v1 :: v_dual_bitop2_b32 v4, s30, v6 bitop3:0x54
	s_lshl_b32 s0, s1, 5
	v_dual_mov_b32 v1, v3 :: v_dual_add_nc_u32 v12, s0, v11
	s_delay_alu instid0(VALU_DEP_2) | instskip(SKIP_1) | instid1(VALU_DEP_3)
	v_dual_add_nc_u32 v14, s0, v7 :: v_dual_ashrrev_i32 v5, 31, v4
	v_cmp_gt_i32_e64 s0, s14, v4
	v_mul_u64_e32 v[18:19], s[24:25], v[0:1]
	s_delay_alu instid0(VALU_DEP_4) | instskip(SKIP_3) | instid1(VALU_DEP_4)
	v_add_nc_u32_e32 v20, 16, v12
	v_lshlrev_b32_e32 v1, 3, v0
	v_mul_u64_e32 v[16:17], s[2:3], v[4:5]
	v_dual_lshlrev_b32 v5, 3, v6 :: v_dual_ashrrev_i32 v13, 31, v12
	v_dual_ashrrev_i32 v21, 31, v20 :: v_dual_lshlrev_b32 v36, 3, v2
	v_add_nc_u32_e32 v4, s30, v2
	v_lshl_or_b32 v15, v7, 6, v1
	s_mov_b32 s28, s18
	v_cmp_neq_f64_e64 s31, s[22:23], 0
	v_cmp_neq_f64_e64 s18, s[20:21], 0
	v_mul_u64_e32 v[8:9], s[28:29], v[20:21]
	v_add_nc_u32_e32 v35, 0x800, v15
	v_ashrrev_i32_e32 v15, 31, v14
	v_mul_u64_e32 v[6:7], s[28:29], v[12:13]
	v_add_nc_u32_e32 v10, 16, v4
	v_lshl_or_b32 v1, v34, 8, v5
	v_cmp_gt_i32_e32 vcc_lo, s14, v12
	v_cmp_le_i32_e64 s2, v4, v12
	v_ashrrev_i32_e32 v5, 31, v4
	v_cmp_le_i32_e64 s3, v10, v12
	s_cmp_gt_i32 s15, 0
	v_lshlrev_b32_e32 v2, 3, v34
	s_cselect_b32 s33, -1, 0
	s_lshl_b64 s[8:9], s[8:9], 3
	s_and_b32 s28, vcc_lo, s2
	s_and_b32 s29, vcc_lo, s3
	v_cmp_gt_i32_e32 vcc_lo, s14, v20
	v_cmp_le_i32_e64 s2, v4, v20
	v_cmp_gt_i32_e64 s1, s14, v14
	v_lshl_add_u32 v37, v11, 6, 0x800
	v_ashrrev_i32_e32 v11, 31, v10
	v_lshl_add_u64 v[12:13], v[16:17], 3, s[8:9]
	s_lshl_b64 s[8:9], s[12:13], 3
	s_and_b32 s12, vcc_lo, s2
	v_lshl_add_u64 v[16:17], v[18:19], 3, s[8:9]
	v_cmp_le_i32_e64 s2, v10, v20
	v_add_nc_u64_e32 v[12:13], v[12:13], v[2:3]
	s_lshl_b64 s[8:9], s[26:27], 3
	v_lshl_add_u64 v[14:15], v[14:15], 3, v[16:17]
	s_and_b32 s13, s31, s33
	s_and_b32 s14, vcc_lo, s2
	s_lshl_b64 s[2:3], s[24:25], 6
	s_branch .LBB328_6
.LBB328_5:                              ;   in Loop: Header=BB328_6 Depth=1
	s_wait_xcnt 0x0
	s_or_b32 exec_lo, exec_lo, s24
	s_add_co_i32 s4, s4, 0x10000
	s_delay_alu instid0(SALU_CYCLE_1)
	s_cmp_lt_u32 s4, s19
	s_cbranch_scc0 .LBB328_33
.LBB328_6:                              ; =>This Loop Header: Depth=1
                                        ;     Child Loop BB328_9 Depth 2
	v_mov_b32_e32 v2, s4
	v_mov_b64_e32 v[24:25], 0
	v_mov_b64_e32 v[20:21], 0
	;; [unrolled: 1-line block ×4, first 2 shown]
	global_load_b64 v[22:23], v2, s[16:17] scale_offset
	s_and_not1_b32 vcc_lo, exec_lo, s13
	s_cbranch_vccnz .LBB328_13
; %bb.7:                                ;   in Loop: Header=BB328_6 Depth=1
	s_lshl_b64 s[24:25], s[4:5], 3
	v_mov_b64_e32 v[16:17], 0
	s_add_nc_u64 s[26:27], s[6:7], s[24:25]
	s_add_nc_u64 s[24:25], s[10:11], s[24:25]
	s_clause 0x1
	global_load_b64 v[24:25], v3, s[26:27]
	global_load_b64 v[28:29], v3, s[24:25]
	v_mov_b64_e32 v[18:19], 0
	v_mov_b64_e32 v[20:21], 0
	s_wait_xcnt 0x0
	s_mov_b32 s24, 0
	s_wait_loadcnt 0x1
	v_add_nc_u64_e32 v[26:27], v[24:25], v[12:13]
	s_wait_loadcnt 0x0
	v_add_nc_u64_e32 v[28:29], v[28:29], v[14:15]
	v_mov_b64_e32 v[24:25], 0
	s_branch .LBB328_9
.LBB328_8:                              ;   in Loop: Header=BB328_9 Depth=2
	s_wait_xcnt 0x0
	s_or_b32 exec_lo, exec_lo, s25
	s_wait_loadcnt_dscnt 0x0
	ds_store_b64 v35, v[32:33]
	s_wait_dscnt 0x0
	s_barrier_signal -1
	s_barrier_wait -1
	ds_load_b128 v[30:33], v37
	ds_load_2addr_b64 v[38:41], v36 offset1:16
	ds_load_b128 v[42:45], v37 offset:1024
	ds_load_b128 v[46:49], v37 offset:16
	;; [unrolled: 1-line block ×3, first 2 shown]
	v_add_nc_u64_e32 v[26:27], 64, v[26:27]
	v_add_nc_u64_e32 v[28:29], s[2:3], v[28:29]
	s_add_co_i32 s24, s24, 8
	s_delay_alu instid0(SALU_CYCLE_1)
	s_cmp_lt_i32 s24, s15
	s_wait_dscnt 0x3
	v_fmac_f64_e32 v[24:25], v[38:39], v[30:31]
	v_fmac_f64_e32 v[20:21], v[40:41], v[30:31]
	s_wait_dscnt 0x2
	v_fmac_f64_e32 v[18:19], v[38:39], v[42:43]
	v_fmac_f64_e32 v[16:17], v[40:41], v[42:43]
	ds_load_2addr_b64 v[38:41], v36 offset0:32 offset1:48
	s_wait_dscnt 0x0
	v_fmac_f64_e32 v[24:25], v[38:39], v[32:33]
	v_fmac_f64_e32 v[20:21], v[40:41], v[32:33]
	v_fmac_f64_e32 v[18:19], v[38:39], v[44:45]
	v_fmac_f64_e32 v[16:17], v[40:41], v[44:45]
	ds_load_2addr_b64 v[30:33], v36 offset0:64 offset1:80
	s_wait_dscnt 0x0
	v_fmac_f64_e32 v[24:25], v[30:31], v[46:47]
	v_fmac_f64_e32 v[20:21], v[32:33], v[46:47]
	;; [unrolled: 6-line block ×3, first 2 shown]
	v_fmac_f64_e32 v[18:19], v[30:31], v[52:53]
	v_fmac_f64_e32 v[16:17], v[32:33], v[52:53]
	ds_load_b128 v[30:33], v37 offset:32
	ds_load_2addr_b64 v[38:41], v36 offset0:128 offset1:144
	ds_load_b128 v[42:45], v37 offset:1056
	ds_load_b128 v[46:49], v37 offset:48
	;; [unrolled: 1-line block ×3, first 2 shown]
	s_wait_dscnt 0x3
	v_fmac_f64_e32 v[24:25], v[38:39], v[30:31]
	v_fmac_f64_e32 v[20:21], v[40:41], v[30:31]
	s_wait_dscnt 0x2
	v_fmac_f64_e32 v[18:19], v[38:39], v[42:43]
	v_fmac_f64_e32 v[16:17], v[40:41], v[42:43]
	ds_load_2addr_b64 v[38:41], v36 offset0:160 offset1:176
	s_wait_dscnt 0x0
	v_fmac_f64_e32 v[24:25], v[38:39], v[32:33]
	v_fmac_f64_e32 v[20:21], v[40:41], v[32:33]
	;; [unrolled: 1-line block ×4, first 2 shown]
	ds_load_2addr_b64 v[30:33], v36 offset0:192 offset1:208
	s_wait_dscnt 0x0
	v_fmac_f64_e32 v[24:25], v[30:31], v[46:47]
	v_fmac_f64_e32 v[20:21], v[32:33], v[46:47]
	;; [unrolled: 1-line block ×4, first 2 shown]
	ds_load_2addr_b64 v[30:33], v36 offset0:224 offset1:240
	s_wait_dscnt 0x0
	s_barrier_signal -1
	s_barrier_wait -1
	v_fmac_f64_e32 v[24:25], v[30:31], v[48:49]
	v_fmac_f64_e32 v[20:21], v[32:33], v[48:49]
	;; [unrolled: 1-line block ×4, first 2 shown]
	s_cbranch_scc0 .LBB328_13
.LBB328_9:                              ;   Parent Loop BB328_6 Depth=1
                                        ; =>  This Inner Loop Header: Depth=2
	v_add_nc_u32_e32 v2, s24, v34
	v_mov_b64_e32 v[30:31], 0
	s_delay_alu instid0(VALU_DEP_2) | instskip(SKIP_1) | instid1(SALU_CYCLE_1)
	v_cmp_gt_i32_e32 vcc_lo, s15, v2
	s_and_b32 s26, s0, vcc_lo
	s_and_saveexec_b32 s25, s26
	s_cbranch_execz .LBB328_11
; %bb.10:                               ;   in Loop: Header=BB328_9 Depth=2
	flat_load_b64 v[30:31], v[26:27]
.LBB328_11:                             ;   in Loop: Header=BB328_9 Depth=2
	s_wait_xcnt 0x0
	s_or_b32 exec_lo, exec_lo, s25
	v_add_nc_u32_e32 v2, s24, v0
	v_mov_b64_e32 v[32:33], 0
	s_wait_loadcnt_dscnt 0x0
	ds_store_b64 v1, v[30:31]
	v_cmp_gt_i32_e32 vcc_lo, s15, v2
	s_and_b32 s26, vcc_lo, s1
	s_delay_alu instid0(SALU_CYCLE_1)
	s_and_saveexec_b32 s25, s26
	s_cbranch_execz .LBB328_8
; %bb.12:                               ;   in Loop: Header=BB328_9 Depth=2
	flat_load_b64 v[32:33], v[28:29]
	s_branch .LBB328_8
.LBB328_13:                             ;   in Loop: Header=BB328_6 Depth=1
	s_wait_loadcnt 0x0
	v_add_nc_u64_e32 v[22:23], s[8:9], v[22:23]
	s_delay_alu instid0(VALU_DEP_1)
	v_lshl_add_u64 v[26:27], v[6:7], 3, v[22:23]
	s_wait_xcnt 0x0
	s_and_saveexec_b32 s24, s28
	s_cbranch_execz .LBB328_17
; %bb.14:                               ;   in Loop: Header=BB328_6 Depth=1
	v_mul_f64_e32 v[24:25], s[22:23], v[24:25]
	v_lshl_add_u64 v[28:29], v[4:5], 3, v[26:27]
	s_and_b32 vcc_lo, exec_lo, s18
	s_cbranch_vccz .LBB328_28
; %bb.15:                               ;   in Loop: Header=BB328_6 Depth=1
	flat_load_b64 v[30:31], v[28:29]
	s_wait_loadcnt_dscnt 0x0
	v_fma_f64 v[30:31], s[20:21], v[30:31], v[24:25]
	flat_store_b64 v[28:29], v[30:31]
	s_cbranch_execnz .LBB328_17
.LBB328_16:                             ;   in Loop: Header=BB328_6 Depth=1
	flat_store_b64 v[28:29], v[24:25]
.LBB328_17:                             ;   in Loop: Header=BB328_6 Depth=1
	s_wait_xcnt 0x0
	s_or_b32 exec_lo, exec_lo, s24
	s_and_saveexec_b32 s24, s29
	s_cbranch_execz .LBB328_21
; %bb.18:                               ;   in Loop: Header=BB328_6 Depth=1
	v_mul_f64_e32 v[20:21], s[22:23], v[20:21]
	v_lshl_add_u64 v[24:25], v[10:11], 3, v[26:27]
	s_and_not1_b32 vcc_lo, exec_lo, s18
	s_cbranch_vccnz .LBB328_29
; %bb.19:                               ;   in Loop: Header=BB328_6 Depth=1
	flat_load_b64 v[26:27], v[24:25]
	s_wait_loadcnt_dscnt 0x0
	v_fma_f64 v[26:27], s[20:21], v[26:27], v[20:21]
	flat_store_b64 v[24:25], v[26:27]
	s_cbranch_execnz .LBB328_21
.LBB328_20:                             ;   in Loop: Header=BB328_6 Depth=1
	flat_store_b64 v[24:25], v[20:21]
.LBB328_21:                             ;   in Loop: Header=BB328_6 Depth=1
	s_wait_xcnt 0x0
	s_or_b32 exec_lo, exec_lo, s24
	v_lshl_add_u64 v[20:21], v[8:9], 3, v[22:23]
	s_and_saveexec_b32 s24, s12
	s_cbranch_execz .LBB328_25
; %bb.22:                               ;   in Loop: Header=BB328_6 Depth=1
	v_mul_f64_e32 v[18:19], s[22:23], v[18:19]
	s_delay_alu instid0(VALU_DEP_2)
	v_lshl_add_u64 v[22:23], v[4:5], 3, v[20:21]
	s_and_not1_b32 vcc_lo, exec_lo, s18
	s_cbranch_vccnz .LBB328_30
; %bb.23:                               ;   in Loop: Header=BB328_6 Depth=1
	flat_load_b64 v[24:25], v[22:23]
	s_wait_loadcnt_dscnt 0x0
	v_fma_f64 v[24:25], s[20:21], v[24:25], v[18:19]
	flat_store_b64 v[22:23], v[24:25]
	s_cbranch_execnz .LBB328_25
.LBB328_24:                             ;   in Loop: Header=BB328_6 Depth=1
	flat_store_b64 v[22:23], v[18:19]
.LBB328_25:                             ;   in Loop: Header=BB328_6 Depth=1
	s_wait_xcnt 0x0
	s_or_b32 exec_lo, exec_lo, s24
	s_and_saveexec_b32 s24, s14
	s_cbranch_execz .LBB328_5
; %bb.26:                               ;   in Loop: Header=BB328_6 Depth=1
	s_delay_alu instid0(VALU_DEP_4)
	v_mul_f64_e32 v[16:17], s[22:23], v[16:17]
	v_lshl_add_u64 v[18:19], v[10:11], 3, v[20:21]
	s_and_not1_b32 vcc_lo, exec_lo, s18
	s_cbranch_vccnz .LBB328_31
; %bb.27:                               ;   in Loop: Header=BB328_6 Depth=1
	flat_load_b64 v[20:21], v[18:19]
	s_wait_loadcnt_dscnt 0x0
	v_fma_f64 v[20:21], s[20:21], v[20:21], v[16:17]
	flat_store_b64 v[18:19], v[20:21]
	s_cbranch_execnz .LBB328_5
	s_branch .LBB328_32
.LBB328_28:                             ;   in Loop: Header=BB328_6 Depth=1
	s_branch .LBB328_16
.LBB328_29:                             ;   in Loop: Header=BB328_6 Depth=1
	s_branch .LBB328_20
.LBB328_30:                             ;   in Loop: Header=BB328_6 Depth=1
	s_branch .LBB328_24
.LBB328_31:                             ;   in Loop: Header=BB328_6 Depth=1
.LBB328_32:                             ;   in Loop: Header=BB328_6 Depth=1
	flat_store_b64 v[18:19], v[16:17]
	s_branch .LBB328_5
.LBB328_33:
	s_endpgm
	.section	.rodata,"a",@progbits
	.p2align	6, 0x0
	.amdhsa_kernel _ZL29rocblas_internal_gemmt_kernelIiLi16ELi32ELi8ELc84ELc84ELc85ELb0ELb0EdPKdPKS1_PKPdEviT_T9_T10_S7_lS9_S7_lS8_T11_S7_li
		.amdhsa_group_segment_fixed_size 4096
		.amdhsa_private_segment_fixed_size 0
		.amdhsa_kernarg_size 100
		.amdhsa_user_sgpr_count 2
		.amdhsa_user_sgpr_dispatch_ptr 0
		.amdhsa_user_sgpr_queue_ptr 0
		.amdhsa_user_sgpr_kernarg_segment_ptr 1
		.amdhsa_user_sgpr_dispatch_id 0
		.amdhsa_user_sgpr_kernarg_preload_length 0
		.amdhsa_user_sgpr_kernarg_preload_offset 0
		.amdhsa_user_sgpr_private_segment_size 0
		.amdhsa_wavefront_size32 1
		.amdhsa_uses_dynamic_stack 0
		.amdhsa_enable_private_segment 0
		.amdhsa_system_sgpr_workgroup_id_x 1
		.amdhsa_system_sgpr_workgroup_id_y 1
		.amdhsa_system_sgpr_workgroup_id_z 1
		.amdhsa_system_sgpr_workgroup_info 0
		.amdhsa_system_vgpr_workitem_id 1
		.amdhsa_next_free_vgpr 54
		.amdhsa_next_free_sgpr 34
		.amdhsa_named_barrier_count 0
		.amdhsa_reserve_vcc 1
		.amdhsa_float_round_mode_32 0
		.amdhsa_float_round_mode_16_64 0
		.amdhsa_float_denorm_mode_32 3
		.amdhsa_float_denorm_mode_16_64 3
		.amdhsa_fp16_overflow 0
		.amdhsa_memory_ordered 1
		.amdhsa_forward_progress 1
		.amdhsa_inst_pref_size 14
		.amdhsa_round_robin_scheduling 0
		.amdhsa_exception_fp_ieee_invalid_op 0
		.amdhsa_exception_fp_denorm_src 0
		.amdhsa_exception_fp_ieee_div_zero 0
		.amdhsa_exception_fp_ieee_overflow 0
		.amdhsa_exception_fp_ieee_underflow 0
		.amdhsa_exception_fp_ieee_inexact 0
		.amdhsa_exception_int_div_zero 0
	.end_amdhsa_kernel
	.section	.text._ZL29rocblas_internal_gemmt_kernelIiLi16ELi32ELi8ELc84ELc84ELc85ELb0ELb0EdPKdPKS1_PKPdEviT_T9_T10_S7_lS9_S7_lS8_T11_S7_li,"axG",@progbits,_ZL29rocblas_internal_gemmt_kernelIiLi16ELi32ELi8ELc84ELc84ELc85ELb0ELb0EdPKdPKS1_PKPdEviT_T9_T10_S7_lS9_S7_lS8_T11_S7_li,comdat
.Lfunc_end328:
	.size	_ZL29rocblas_internal_gemmt_kernelIiLi16ELi32ELi8ELc84ELc84ELc85ELb0ELb0EdPKdPKS1_PKPdEviT_T9_T10_S7_lS9_S7_lS8_T11_S7_li, .Lfunc_end328-_ZL29rocblas_internal_gemmt_kernelIiLi16ELi32ELi8ELc84ELc84ELc85ELb0ELb0EdPKdPKS1_PKPdEviT_T9_T10_S7_lS9_S7_lS8_T11_S7_li
                                        ; -- End function
	.set _ZL29rocblas_internal_gemmt_kernelIiLi16ELi32ELi8ELc84ELc84ELc85ELb0ELb0EdPKdPKS1_PKPdEviT_T9_T10_S7_lS9_S7_lS8_T11_S7_li.num_vgpr, 54
	.set _ZL29rocblas_internal_gemmt_kernelIiLi16ELi32ELi8ELc84ELc84ELc85ELb0ELb0EdPKdPKS1_PKPdEviT_T9_T10_S7_lS9_S7_lS8_T11_S7_li.num_agpr, 0
	.set _ZL29rocblas_internal_gemmt_kernelIiLi16ELi32ELi8ELc84ELc84ELc85ELb0ELb0EdPKdPKS1_PKPdEviT_T9_T10_S7_lS9_S7_lS8_T11_S7_li.numbered_sgpr, 34
	.set _ZL29rocblas_internal_gemmt_kernelIiLi16ELi32ELi8ELc84ELc84ELc85ELb0ELb0EdPKdPKS1_PKPdEviT_T9_T10_S7_lS9_S7_lS8_T11_S7_li.num_named_barrier, 0
	.set _ZL29rocblas_internal_gemmt_kernelIiLi16ELi32ELi8ELc84ELc84ELc85ELb0ELb0EdPKdPKS1_PKPdEviT_T9_T10_S7_lS9_S7_lS8_T11_S7_li.private_seg_size, 0
	.set _ZL29rocblas_internal_gemmt_kernelIiLi16ELi32ELi8ELc84ELc84ELc85ELb0ELb0EdPKdPKS1_PKPdEviT_T9_T10_S7_lS9_S7_lS8_T11_S7_li.uses_vcc, 1
	.set _ZL29rocblas_internal_gemmt_kernelIiLi16ELi32ELi8ELc84ELc84ELc85ELb0ELb0EdPKdPKS1_PKPdEviT_T9_T10_S7_lS9_S7_lS8_T11_S7_li.uses_flat_scratch, 0
	.set _ZL29rocblas_internal_gemmt_kernelIiLi16ELi32ELi8ELc84ELc84ELc85ELb0ELb0EdPKdPKS1_PKPdEviT_T9_T10_S7_lS9_S7_lS8_T11_S7_li.has_dyn_sized_stack, 0
	.set _ZL29rocblas_internal_gemmt_kernelIiLi16ELi32ELi8ELc84ELc84ELc85ELb0ELb0EdPKdPKS1_PKPdEviT_T9_T10_S7_lS9_S7_lS8_T11_S7_li.has_recursion, 0
	.set _ZL29rocblas_internal_gemmt_kernelIiLi16ELi32ELi8ELc84ELc84ELc85ELb0ELb0EdPKdPKS1_PKPdEviT_T9_T10_S7_lS9_S7_lS8_T11_S7_li.has_indirect_call, 0
	.section	.AMDGPU.csdata,"",@progbits
; Kernel info:
; codeLenInByte = 1700
; TotalNumSgprs: 36
; NumVgprs: 54
; ScratchSize: 0
; MemoryBound: 0
; FloatMode: 240
; IeeeMode: 1
; LDSByteSize: 4096 bytes/workgroup (compile time only)
; SGPRBlocks: 0
; VGPRBlocks: 3
; NumSGPRsForWavesPerEU: 36
; NumVGPRsForWavesPerEU: 54
; NamedBarCnt: 0
; Occupancy: 16
; WaveLimiterHint : 1
; COMPUTE_PGM_RSRC2:SCRATCH_EN: 0
; COMPUTE_PGM_RSRC2:USER_SGPR: 2
; COMPUTE_PGM_RSRC2:TRAP_HANDLER: 0
; COMPUTE_PGM_RSRC2:TGID_X_EN: 1
; COMPUTE_PGM_RSRC2:TGID_Y_EN: 1
; COMPUTE_PGM_RSRC2:TGID_Z_EN: 1
; COMPUTE_PGM_RSRC2:TIDIG_COMP_CNT: 1
	.section	.text._ZL29rocblas_internal_gemmt_kernelIiLi16ELi32ELi8ELc84ELc67ELc85ELb0ELb0EdPKdPKS1_PKPdEviT_T9_T10_S7_lS9_S7_lS8_T11_S7_li,"axG",@progbits,_ZL29rocblas_internal_gemmt_kernelIiLi16ELi32ELi8ELc84ELc67ELc85ELb0ELb0EdPKdPKS1_PKPdEviT_T9_T10_S7_lS9_S7_lS8_T11_S7_li,comdat
	.globl	_ZL29rocblas_internal_gemmt_kernelIiLi16ELi32ELi8ELc84ELc67ELc85ELb0ELb0EdPKdPKS1_PKPdEviT_T9_T10_S7_lS9_S7_lS8_T11_S7_li ; -- Begin function _ZL29rocblas_internal_gemmt_kernelIiLi16ELi32ELi8ELc84ELc67ELc85ELb0ELb0EdPKdPKS1_PKPdEviT_T9_T10_S7_lS9_S7_lS8_T11_S7_li
	.p2align	8
	.type	_ZL29rocblas_internal_gemmt_kernelIiLi16ELi32ELi8ELc84ELc67ELc85ELb0ELb0EdPKdPKS1_PKPdEviT_T9_T10_S7_lS9_S7_lS8_T11_S7_li,@function
_ZL29rocblas_internal_gemmt_kernelIiLi16ELi32ELi8ELc84ELc67ELc85ELb0ELb0EdPKdPKS1_PKPdEviT_T9_T10_S7_lS9_S7_lS8_T11_S7_li: ; @_ZL29rocblas_internal_gemmt_kernelIiLi16ELi32ELi8ELc84ELc67ELc85ELb0ELb0EdPKdPKS1_PKPdEviT_T9_T10_S7_lS9_S7_lS8_T11_S7_li
; %bb.0:
	s_load_b128 s[12:15], s[0:1], 0x38
	s_wait_kmcnt 0x0
	s_load_b64 s[20:21], s[14:15], 0x0
	s_load_b128 s[4:7], s[0:1], 0x8
	s_wait_xcnt 0x0
	s_load_b64 s[14:15], s[0:1], 0x0
	s_wait_kmcnt 0x0
	s_load_b64 s[22:23], s[4:5], 0x0
	v_cmp_neq_f64_e64 s2, s[20:21], 1.0
	s_and_b32 vcc_lo, exec_lo, s2
	s_cbranch_vccnz .LBB329_2
; %bb.1:
	s_wait_kmcnt 0x0
	v_cmp_neq_f64_e64 s2, s[22:23], 0
	s_cmp_lg_u32 s15, 0
	s_cselect_b32 s3, -1, 0
	s_delay_alu instid0(SALU_CYCLE_1)
	s_and_b32 s2, s3, s2
.LBB329_2:
	s_delay_alu instid0(SALU_CYCLE_1)
	s_and_not1_b32 vcc_lo, exec_lo, s2
	s_cbranch_vccnz .LBB329_33
; %bb.3:
	s_load_b32 s19, s[0:1], 0x60
	s_bfe_u32 s2, ttmp6, 0x40014
	s_lshr_b32 s3, ttmp7, 16
	s_add_co_i32 s2, s2, 1
	s_wait_xcnt 0x0
	s_bfe_u32 s4, ttmp6, 0x40008
	s_mul_i32 s2, s3, s2
	s_getreg_b32 s28, hwreg(HW_REG_IB_STS2, 6, 4)
	s_add_co_i32 s4, s4, s2
	s_cmp_eq_u32 s28, 0
	s_mov_b32 s5, 0
	s_cselect_b32 s4, s3, s4
	s_wait_kmcnt 0x0
	s_cmp_ge_u32 s4, s19
	s_cbranch_scc1 .LBB329_33
; %bb.4:
	s_clause 0x3
	s_load_b32 s2, s[0:1], 0x18
	s_load_b32 s24, s[0:1], 0x30
	s_load_b96 s[16:18], s[0:1], 0x48
	s_load_b128 s[8:11], s[0:1], 0x20
	v_and_b32_e32 v2, 0x3ff, v0
	v_bfe_u32 v11, v0, 10, 10
	s_load_b64 s[26:27], s[0:1], 0x58
	s_wait_xcnt 0x0
	s_bfe_u32 s1, ttmp6, 0x4000c
	s_bfe_u32 s3, ttmp6, 0x40010
	s_and_b32 s30, ttmp7, 0xffff
	s_add_co_i32 s1, s1, 1
	s_add_co_i32 s3, s3, 1
	v_lshl_add_u32 v1, v11, 4, v2
	s_and_b32 s0, ttmp6, 15
	s_bfe_u32 s31, ttmp6, 0x40004
	s_mul_i32 s1, ttmp9, s1
	s_mul_i32 s33, s30, s3
	s_add_co_i32 s0, s0, s1
	s_add_co_i32 s31, s31, s33
	v_dual_lshrrev_b32 v34, 5, v1 :: v_dual_bitop2_b32 v6, 31, v1 bitop3:0x40
	s_wait_kmcnt 0x0
	s_ashr_i32 s3, s2, 31
	s_ashr_i32 s25, s24, 31
	;; [unrolled: 1-line block ×3, first 2 shown]
	s_cmp_eq_u32 s28, 0
	v_dual_mov_b32 v3, 0 :: v_dual_bitop2_b32 v0, 7, v0 bitop3:0x40
	s_cselect_b32 s0, ttmp9, s0
	s_cselect_b32 s1, s30, s31
	s_lshl_b32 s30, s0, 5
	s_delay_alu instid0(SALU_CYCLE_1) | instskip(SKIP_1) | instid1(SALU_CYCLE_1)
	v_dual_lshrrev_b32 v7, 3, v1 :: v_dual_bitop2_b32 v4, s30, v6 bitop3:0x54
	s_lshl_b32 s0, s1, 5
	v_dual_mov_b32 v1, v3 :: v_dual_add_nc_u32 v12, s0, v11
	s_delay_alu instid0(VALU_DEP_2) | instskip(SKIP_1) | instid1(VALU_DEP_3)
	v_dual_add_nc_u32 v14, s0, v7 :: v_dual_ashrrev_i32 v5, 31, v4
	v_cmp_gt_i32_e64 s0, s14, v4
	v_mul_u64_e32 v[18:19], s[24:25], v[0:1]
	s_delay_alu instid0(VALU_DEP_4) | instskip(SKIP_3) | instid1(VALU_DEP_4)
	v_add_nc_u32_e32 v20, 16, v12
	v_lshlrev_b32_e32 v1, 3, v0
	v_mul_u64_e32 v[16:17], s[2:3], v[4:5]
	v_dual_lshlrev_b32 v5, 3, v6 :: v_dual_ashrrev_i32 v13, 31, v12
	v_dual_ashrrev_i32 v21, 31, v20 :: v_dual_lshlrev_b32 v36, 3, v2
	v_add_nc_u32_e32 v4, s30, v2
	v_lshl_or_b32 v15, v7, 6, v1
	s_mov_b32 s28, s18
	v_cmp_neq_f64_e64 s31, s[22:23], 0
	v_cmp_neq_f64_e64 s18, s[20:21], 0
	v_mul_u64_e32 v[8:9], s[28:29], v[20:21]
	v_add_nc_u32_e32 v35, 0x800, v15
	v_ashrrev_i32_e32 v15, 31, v14
	v_mul_u64_e32 v[6:7], s[28:29], v[12:13]
	v_add_nc_u32_e32 v10, 16, v4
	v_lshl_or_b32 v1, v34, 8, v5
	v_cmp_gt_i32_e32 vcc_lo, s14, v12
	v_cmp_le_i32_e64 s2, v4, v12
	v_ashrrev_i32_e32 v5, 31, v4
	v_cmp_le_i32_e64 s3, v10, v12
	s_cmp_gt_i32 s15, 0
	v_lshlrev_b32_e32 v2, 3, v34
	s_cselect_b32 s33, -1, 0
	s_lshl_b64 s[8:9], s[8:9], 3
	s_and_b32 s28, vcc_lo, s2
	s_and_b32 s29, vcc_lo, s3
	v_cmp_gt_i32_e32 vcc_lo, s14, v20
	v_cmp_le_i32_e64 s2, v4, v20
	v_cmp_gt_i32_e64 s1, s14, v14
	v_lshl_add_u32 v37, v11, 6, 0x800
	v_ashrrev_i32_e32 v11, 31, v10
	v_lshl_add_u64 v[12:13], v[16:17], 3, s[8:9]
	s_lshl_b64 s[8:9], s[12:13], 3
	s_and_b32 s12, vcc_lo, s2
	v_lshl_add_u64 v[16:17], v[18:19], 3, s[8:9]
	v_cmp_le_i32_e64 s2, v10, v20
	v_add_nc_u64_e32 v[12:13], v[12:13], v[2:3]
	s_lshl_b64 s[8:9], s[26:27], 3
	v_lshl_add_u64 v[14:15], v[14:15], 3, v[16:17]
	s_and_b32 s13, s31, s33
	s_and_b32 s14, vcc_lo, s2
	s_lshl_b64 s[2:3], s[24:25], 6
	s_branch .LBB329_6
.LBB329_5:                              ;   in Loop: Header=BB329_6 Depth=1
	s_wait_xcnt 0x0
	s_or_b32 exec_lo, exec_lo, s24
	s_add_co_i32 s4, s4, 0x10000
	s_delay_alu instid0(SALU_CYCLE_1)
	s_cmp_lt_u32 s4, s19
	s_cbranch_scc0 .LBB329_33
.LBB329_6:                              ; =>This Loop Header: Depth=1
                                        ;     Child Loop BB329_9 Depth 2
	v_mov_b32_e32 v2, s4
	v_mov_b64_e32 v[24:25], 0
	v_mov_b64_e32 v[20:21], 0
	v_mov_b64_e32 v[18:19], 0
	v_mov_b64_e32 v[16:17], 0
	global_load_b64 v[22:23], v2, s[16:17] scale_offset
	s_and_not1_b32 vcc_lo, exec_lo, s13
	s_cbranch_vccnz .LBB329_13
; %bb.7:                                ;   in Loop: Header=BB329_6 Depth=1
	s_lshl_b64 s[24:25], s[4:5], 3
	v_mov_b64_e32 v[16:17], 0
	s_add_nc_u64 s[26:27], s[6:7], s[24:25]
	s_add_nc_u64 s[24:25], s[10:11], s[24:25]
	s_clause 0x1
	global_load_b64 v[24:25], v3, s[26:27]
	global_load_b64 v[28:29], v3, s[24:25]
	v_mov_b64_e32 v[18:19], 0
	v_mov_b64_e32 v[20:21], 0
	s_wait_xcnt 0x0
	s_mov_b32 s24, 0
	s_wait_loadcnt 0x1
	v_add_nc_u64_e32 v[26:27], v[24:25], v[12:13]
	s_wait_loadcnt 0x0
	v_add_nc_u64_e32 v[28:29], v[28:29], v[14:15]
	v_mov_b64_e32 v[24:25], 0
	s_branch .LBB329_9
.LBB329_8:                              ;   in Loop: Header=BB329_9 Depth=2
	s_wait_xcnt 0x0
	s_or_b32 exec_lo, exec_lo, s25
	s_wait_loadcnt_dscnt 0x0
	ds_store_b64 v35, v[32:33]
	s_wait_dscnt 0x0
	s_barrier_signal -1
	s_barrier_wait -1
	ds_load_b128 v[30:33], v37
	ds_load_2addr_b64 v[38:41], v36 offset1:16
	ds_load_b128 v[42:45], v37 offset:1024
	ds_load_b128 v[46:49], v37 offset:16
	;; [unrolled: 1-line block ×3, first 2 shown]
	v_add_nc_u64_e32 v[26:27], 64, v[26:27]
	v_add_nc_u64_e32 v[28:29], s[2:3], v[28:29]
	s_add_co_i32 s24, s24, 8
	s_delay_alu instid0(SALU_CYCLE_1)
	s_cmp_lt_i32 s24, s15
	s_wait_dscnt 0x3
	v_fmac_f64_e32 v[24:25], v[38:39], v[30:31]
	v_fmac_f64_e32 v[20:21], v[40:41], v[30:31]
	s_wait_dscnt 0x2
	v_fmac_f64_e32 v[18:19], v[38:39], v[42:43]
	v_fmac_f64_e32 v[16:17], v[40:41], v[42:43]
	ds_load_2addr_b64 v[38:41], v36 offset0:32 offset1:48
	s_wait_dscnt 0x0
	v_fmac_f64_e32 v[24:25], v[38:39], v[32:33]
	v_fmac_f64_e32 v[20:21], v[40:41], v[32:33]
	v_fmac_f64_e32 v[18:19], v[38:39], v[44:45]
	v_fmac_f64_e32 v[16:17], v[40:41], v[44:45]
	ds_load_2addr_b64 v[30:33], v36 offset0:64 offset1:80
	s_wait_dscnt 0x0
	v_fmac_f64_e32 v[24:25], v[30:31], v[46:47]
	v_fmac_f64_e32 v[20:21], v[32:33], v[46:47]
	;; [unrolled: 6-line block ×3, first 2 shown]
	v_fmac_f64_e32 v[18:19], v[30:31], v[52:53]
	v_fmac_f64_e32 v[16:17], v[32:33], v[52:53]
	ds_load_b128 v[30:33], v37 offset:32
	ds_load_2addr_b64 v[38:41], v36 offset0:128 offset1:144
	ds_load_b128 v[42:45], v37 offset:1056
	ds_load_b128 v[46:49], v37 offset:48
	;; [unrolled: 1-line block ×3, first 2 shown]
	s_wait_dscnt 0x3
	v_fmac_f64_e32 v[24:25], v[38:39], v[30:31]
	v_fmac_f64_e32 v[20:21], v[40:41], v[30:31]
	s_wait_dscnt 0x2
	v_fmac_f64_e32 v[18:19], v[38:39], v[42:43]
	v_fmac_f64_e32 v[16:17], v[40:41], v[42:43]
	ds_load_2addr_b64 v[38:41], v36 offset0:160 offset1:176
	s_wait_dscnt 0x0
	v_fmac_f64_e32 v[24:25], v[38:39], v[32:33]
	v_fmac_f64_e32 v[20:21], v[40:41], v[32:33]
	;; [unrolled: 1-line block ×4, first 2 shown]
	ds_load_2addr_b64 v[30:33], v36 offset0:192 offset1:208
	s_wait_dscnt 0x0
	v_fmac_f64_e32 v[24:25], v[30:31], v[46:47]
	v_fmac_f64_e32 v[20:21], v[32:33], v[46:47]
	;; [unrolled: 1-line block ×4, first 2 shown]
	ds_load_2addr_b64 v[30:33], v36 offset0:224 offset1:240
	s_wait_dscnt 0x0
	s_barrier_signal -1
	s_barrier_wait -1
	v_fmac_f64_e32 v[24:25], v[30:31], v[48:49]
	v_fmac_f64_e32 v[20:21], v[32:33], v[48:49]
	;; [unrolled: 1-line block ×4, first 2 shown]
	s_cbranch_scc0 .LBB329_13
.LBB329_9:                              ;   Parent Loop BB329_6 Depth=1
                                        ; =>  This Inner Loop Header: Depth=2
	v_add_nc_u32_e32 v2, s24, v34
	v_mov_b64_e32 v[30:31], 0
	s_delay_alu instid0(VALU_DEP_2) | instskip(SKIP_1) | instid1(SALU_CYCLE_1)
	v_cmp_gt_i32_e32 vcc_lo, s15, v2
	s_and_b32 s26, s0, vcc_lo
	s_and_saveexec_b32 s25, s26
	s_cbranch_execz .LBB329_11
; %bb.10:                               ;   in Loop: Header=BB329_9 Depth=2
	flat_load_b64 v[30:31], v[26:27]
.LBB329_11:                             ;   in Loop: Header=BB329_9 Depth=2
	s_wait_xcnt 0x0
	s_or_b32 exec_lo, exec_lo, s25
	v_add_nc_u32_e32 v2, s24, v0
	v_mov_b64_e32 v[32:33], 0
	s_wait_loadcnt_dscnt 0x0
	ds_store_b64 v1, v[30:31]
	v_cmp_gt_i32_e32 vcc_lo, s15, v2
	s_and_b32 s26, vcc_lo, s1
	s_delay_alu instid0(SALU_CYCLE_1)
	s_and_saveexec_b32 s25, s26
	s_cbranch_execz .LBB329_8
; %bb.12:                               ;   in Loop: Header=BB329_9 Depth=2
	flat_load_b64 v[32:33], v[28:29]
	s_branch .LBB329_8
.LBB329_13:                             ;   in Loop: Header=BB329_6 Depth=1
	s_wait_loadcnt 0x0
	v_add_nc_u64_e32 v[22:23], s[8:9], v[22:23]
	s_delay_alu instid0(VALU_DEP_1)
	v_lshl_add_u64 v[26:27], v[6:7], 3, v[22:23]
	s_wait_xcnt 0x0
	s_and_saveexec_b32 s24, s28
	s_cbranch_execz .LBB329_17
; %bb.14:                               ;   in Loop: Header=BB329_6 Depth=1
	v_mul_f64_e32 v[24:25], s[22:23], v[24:25]
	v_lshl_add_u64 v[28:29], v[4:5], 3, v[26:27]
	s_and_b32 vcc_lo, exec_lo, s18
	s_cbranch_vccz .LBB329_28
; %bb.15:                               ;   in Loop: Header=BB329_6 Depth=1
	flat_load_b64 v[30:31], v[28:29]
	s_wait_loadcnt_dscnt 0x0
	v_fma_f64 v[30:31], s[20:21], v[30:31], v[24:25]
	flat_store_b64 v[28:29], v[30:31]
	s_cbranch_execnz .LBB329_17
.LBB329_16:                             ;   in Loop: Header=BB329_6 Depth=1
	flat_store_b64 v[28:29], v[24:25]
.LBB329_17:                             ;   in Loop: Header=BB329_6 Depth=1
	s_wait_xcnt 0x0
	s_or_b32 exec_lo, exec_lo, s24
	s_and_saveexec_b32 s24, s29
	s_cbranch_execz .LBB329_21
; %bb.18:                               ;   in Loop: Header=BB329_6 Depth=1
	v_mul_f64_e32 v[20:21], s[22:23], v[20:21]
	v_lshl_add_u64 v[24:25], v[10:11], 3, v[26:27]
	s_and_not1_b32 vcc_lo, exec_lo, s18
	s_cbranch_vccnz .LBB329_29
; %bb.19:                               ;   in Loop: Header=BB329_6 Depth=1
	flat_load_b64 v[26:27], v[24:25]
	s_wait_loadcnt_dscnt 0x0
	v_fma_f64 v[26:27], s[20:21], v[26:27], v[20:21]
	flat_store_b64 v[24:25], v[26:27]
	s_cbranch_execnz .LBB329_21
.LBB329_20:                             ;   in Loop: Header=BB329_6 Depth=1
	flat_store_b64 v[24:25], v[20:21]
.LBB329_21:                             ;   in Loop: Header=BB329_6 Depth=1
	s_wait_xcnt 0x0
	s_or_b32 exec_lo, exec_lo, s24
	v_lshl_add_u64 v[20:21], v[8:9], 3, v[22:23]
	s_and_saveexec_b32 s24, s12
	s_cbranch_execz .LBB329_25
; %bb.22:                               ;   in Loop: Header=BB329_6 Depth=1
	v_mul_f64_e32 v[18:19], s[22:23], v[18:19]
	s_delay_alu instid0(VALU_DEP_2)
	v_lshl_add_u64 v[22:23], v[4:5], 3, v[20:21]
	s_and_not1_b32 vcc_lo, exec_lo, s18
	s_cbranch_vccnz .LBB329_30
; %bb.23:                               ;   in Loop: Header=BB329_6 Depth=1
	flat_load_b64 v[24:25], v[22:23]
	s_wait_loadcnt_dscnt 0x0
	v_fma_f64 v[24:25], s[20:21], v[24:25], v[18:19]
	flat_store_b64 v[22:23], v[24:25]
	s_cbranch_execnz .LBB329_25
.LBB329_24:                             ;   in Loop: Header=BB329_6 Depth=1
	flat_store_b64 v[22:23], v[18:19]
.LBB329_25:                             ;   in Loop: Header=BB329_6 Depth=1
	s_wait_xcnt 0x0
	s_or_b32 exec_lo, exec_lo, s24
	s_and_saveexec_b32 s24, s14
	s_cbranch_execz .LBB329_5
; %bb.26:                               ;   in Loop: Header=BB329_6 Depth=1
	s_delay_alu instid0(VALU_DEP_4)
	v_mul_f64_e32 v[16:17], s[22:23], v[16:17]
	v_lshl_add_u64 v[18:19], v[10:11], 3, v[20:21]
	s_and_not1_b32 vcc_lo, exec_lo, s18
	s_cbranch_vccnz .LBB329_31
; %bb.27:                               ;   in Loop: Header=BB329_6 Depth=1
	flat_load_b64 v[20:21], v[18:19]
	s_wait_loadcnt_dscnt 0x0
	v_fma_f64 v[20:21], s[20:21], v[20:21], v[16:17]
	flat_store_b64 v[18:19], v[20:21]
	s_cbranch_execnz .LBB329_5
	s_branch .LBB329_32
.LBB329_28:                             ;   in Loop: Header=BB329_6 Depth=1
	s_branch .LBB329_16
.LBB329_29:                             ;   in Loop: Header=BB329_6 Depth=1
	s_branch .LBB329_20
.LBB329_30:                             ;   in Loop: Header=BB329_6 Depth=1
	s_branch .LBB329_24
.LBB329_31:                             ;   in Loop: Header=BB329_6 Depth=1
.LBB329_32:                             ;   in Loop: Header=BB329_6 Depth=1
	flat_store_b64 v[18:19], v[16:17]
	s_branch .LBB329_5
.LBB329_33:
	s_endpgm
	.section	.rodata,"a",@progbits
	.p2align	6, 0x0
	.amdhsa_kernel _ZL29rocblas_internal_gemmt_kernelIiLi16ELi32ELi8ELc84ELc67ELc85ELb0ELb0EdPKdPKS1_PKPdEviT_T9_T10_S7_lS9_S7_lS8_T11_S7_li
		.amdhsa_group_segment_fixed_size 4096
		.amdhsa_private_segment_fixed_size 0
		.amdhsa_kernarg_size 100
		.amdhsa_user_sgpr_count 2
		.amdhsa_user_sgpr_dispatch_ptr 0
		.amdhsa_user_sgpr_queue_ptr 0
		.amdhsa_user_sgpr_kernarg_segment_ptr 1
		.amdhsa_user_sgpr_dispatch_id 0
		.amdhsa_user_sgpr_kernarg_preload_length 0
		.amdhsa_user_sgpr_kernarg_preload_offset 0
		.amdhsa_user_sgpr_private_segment_size 0
		.amdhsa_wavefront_size32 1
		.amdhsa_uses_dynamic_stack 0
		.amdhsa_enable_private_segment 0
		.amdhsa_system_sgpr_workgroup_id_x 1
		.amdhsa_system_sgpr_workgroup_id_y 1
		.amdhsa_system_sgpr_workgroup_id_z 1
		.amdhsa_system_sgpr_workgroup_info 0
		.amdhsa_system_vgpr_workitem_id 1
		.amdhsa_next_free_vgpr 54
		.amdhsa_next_free_sgpr 34
		.amdhsa_named_barrier_count 0
		.amdhsa_reserve_vcc 1
		.amdhsa_float_round_mode_32 0
		.amdhsa_float_round_mode_16_64 0
		.amdhsa_float_denorm_mode_32 3
		.amdhsa_float_denorm_mode_16_64 3
		.amdhsa_fp16_overflow 0
		.amdhsa_memory_ordered 1
		.amdhsa_forward_progress 1
		.amdhsa_inst_pref_size 14
		.amdhsa_round_robin_scheduling 0
		.amdhsa_exception_fp_ieee_invalid_op 0
		.amdhsa_exception_fp_denorm_src 0
		.amdhsa_exception_fp_ieee_div_zero 0
		.amdhsa_exception_fp_ieee_overflow 0
		.amdhsa_exception_fp_ieee_underflow 0
		.amdhsa_exception_fp_ieee_inexact 0
		.amdhsa_exception_int_div_zero 0
	.end_amdhsa_kernel
	.section	.text._ZL29rocblas_internal_gemmt_kernelIiLi16ELi32ELi8ELc84ELc67ELc85ELb0ELb0EdPKdPKS1_PKPdEviT_T9_T10_S7_lS9_S7_lS8_T11_S7_li,"axG",@progbits,_ZL29rocblas_internal_gemmt_kernelIiLi16ELi32ELi8ELc84ELc67ELc85ELb0ELb0EdPKdPKS1_PKPdEviT_T9_T10_S7_lS9_S7_lS8_T11_S7_li,comdat
.Lfunc_end329:
	.size	_ZL29rocblas_internal_gemmt_kernelIiLi16ELi32ELi8ELc84ELc67ELc85ELb0ELb0EdPKdPKS1_PKPdEviT_T9_T10_S7_lS9_S7_lS8_T11_S7_li, .Lfunc_end329-_ZL29rocblas_internal_gemmt_kernelIiLi16ELi32ELi8ELc84ELc67ELc85ELb0ELb0EdPKdPKS1_PKPdEviT_T9_T10_S7_lS9_S7_lS8_T11_S7_li
                                        ; -- End function
	.set _ZL29rocblas_internal_gemmt_kernelIiLi16ELi32ELi8ELc84ELc67ELc85ELb0ELb0EdPKdPKS1_PKPdEviT_T9_T10_S7_lS9_S7_lS8_T11_S7_li.num_vgpr, 54
	.set _ZL29rocblas_internal_gemmt_kernelIiLi16ELi32ELi8ELc84ELc67ELc85ELb0ELb0EdPKdPKS1_PKPdEviT_T9_T10_S7_lS9_S7_lS8_T11_S7_li.num_agpr, 0
	.set _ZL29rocblas_internal_gemmt_kernelIiLi16ELi32ELi8ELc84ELc67ELc85ELb0ELb0EdPKdPKS1_PKPdEviT_T9_T10_S7_lS9_S7_lS8_T11_S7_li.numbered_sgpr, 34
	.set _ZL29rocblas_internal_gemmt_kernelIiLi16ELi32ELi8ELc84ELc67ELc85ELb0ELb0EdPKdPKS1_PKPdEviT_T9_T10_S7_lS9_S7_lS8_T11_S7_li.num_named_barrier, 0
	.set _ZL29rocblas_internal_gemmt_kernelIiLi16ELi32ELi8ELc84ELc67ELc85ELb0ELb0EdPKdPKS1_PKPdEviT_T9_T10_S7_lS9_S7_lS8_T11_S7_li.private_seg_size, 0
	.set _ZL29rocblas_internal_gemmt_kernelIiLi16ELi32ELi8ELc84ELc67ELc85ELb0ELb0EdPKdPKS1_PKPdEviT_T9_T10_S7_lS9_S7_lS8_T11_S7_li.uses_vcc, 1
	.set _ZL29rocblas_internal_gemmt_kernelIiLi16ELi32ELi8ELc84ELc67ELc85ELb0ELb0EdPKdPKS1_PKPdEviT_T9_T10_S7_lS9_S7_lS8_T11_S7_li.uses_flat_scratch, 0
	.set _ZL29rocblas_internal_gemmt_kernelIiLi16ELi32ELi8ELc84ELc67ELc85ELb0ELb0EdPKdPKS1_PKPdEviT_T9_T10_S7_lS9_S7_lS8_T11_S7_li.has_dyn_sized_stack, 0
	.set _ZL29rocblas_internal_gemmt_kernelIiLi16ELi32ELi8ELc84ELc67ELc85ELb0ELb0EdPKdPKS1_PKPdEviT_T9_T10_S7_lS9_S7_lS8_T11_S7_li.has_recursion, 0
	.set _ZL29rocblas_internal_gemmt_kernelIiLi16ELi32ELi8ELc84ELc67ELc85ELb0ELb0EdPKdPKS1_PKPdEviT_T9_T10_S7_lS9_S7_lS8_T11_S7_li.has_indirect_call, 0
	.section	.AMDGPU.csdata,"",@progbits
; Kernel info:
; codeLenInByte = 1700
; TotalNumSgprs: 36
; NumVgprs: 54
; ScratchSize: 0
; MemoryBound: 0
; FloatMode: 240
; IeeeMode: 1
; LDSByteSize: 4096 bytes/workgroup (compile time only)
; SGPRBlocks: 0
; VGPRBlocks: 3
; NumSGPRsForWavesPerEU: 36
; NumVGPRsForWavesPerEU: 54
; NamedBarCnt: 0
; Occupancy: 16
; WaveLimiterHint : 1
; COMPUTE_PGM_RSRC2:SCRATCH_EN: 0
; COMPUTE_PGM_RSRC2:USER_SGPR: 2
; COMPUTE_PGM_RSRC2:TRAP_HANDLER: 0
; COMPUTE_PGM_RSRC2:TGID_X_EN: 1
; COMPUTE_PGM_RSRC2:TGID_Y_EN: 1
; COMPUTE_PGM_RSRC2:TGID_Z_EN: 1
; COMPUTE_PGM_RSRC2:TIDIG_COMP_CNT: 1
	.section	.text._ZL29rocblas_internal_gemmt_kernelIiLi16ELi32ELi8ELc67ELc78ELc85ELb0ELb0EdPKdPKS1_PKPdEviT_T9_T10_S7_lS9_S7_lS8_T11_S7_li,"axG",@progbits,_ZL29rocblas_internal_gemmt_kernelIiLi16ELi32ELi8ELc67ELc78ELc85ELb0ELb0EdPKdPKS1_PKPdEviT_T9_T10_S7_lS9_S7_lS8_T11_S7_li,comdat
	.globl	_ZL29rocblas_internal_gemmt_kernelIiLi16ELi32ELi8ELc67ELc78ELc85ELb0ELb0EdPKdPKS1_PKPdEviT_T9_T10_S7_lS9_S7_lS8_T11_S7_li ; -- Begin function _ZL29rocblas_internal_gemmt_kernelIiLi16ELi32ELi8ELc67ELc78ELc85ELb0ELb0EdPKdPKS1_PKPdEviT_T9_T10_S7_lS9_S7_lS8_T11_S7_li
	.p2align	8
	.type	_ZL29rocblas_internal_gemmt_kernelIiLi16ELi32ELi8ELc67ELc78ELc85ELb0ELb0EdPKdPKS1_PKPdEviT_T9_T10_S7_lS9_S7_lS8_T11_S7_li,@function
_ZL29rocblas_internal_gemmt_kernelIiLi16ELi32ELi8ELc67ELc78ELc85ELb0ELb0EdPKdPKS1_PKPdEviT_T9_T10_S7_lS9_S7_lS8_T11_S7_li: ; @_ZL29rocblas_internal_gemmt_kernelIiLi16ELi32ELi8ELc67ELc78ELc85ELb0ELb0EdPKdPKS1_PKPdEviT_T9_T10_S7_lS9_S7_lS8_T11_S7_li
; %bb.0:
	s_load_b128 s[12:15], s[0:1], 0x38
	s_wait_kmcnt 0x0
	s_load_b64 s[20:21], s[14:15], 0x0
	s_load_b128 s[4:7], s[0:1], 0x8
	s_wait_xcnt 0x0
	s_load_b64 s[14:15], s[0:1], 0x0
	s_wait_kmcnt 0x0
	s_load_b64 s[22:23], s[4:5], 0x0
	v_cmp_neq_f64_e64 s2, s[20:21], 1.0
	s_and_b32 vcc_lo, exec_lo, s2
	s_cbranch_vccnz .LBB330_2
; %bb.1:
	s_wait_kmcnt 0x0
	v_cmp_neq_f64_e64 s2, s[22:23], 0
	s_cmp_lg_u32 s15, 0
	s_cselect_b32 s3, -1, 0
	s_delay_alu instid0(SALU_CYCLE_1)
	s_and_b32 s2, s3, s2
.LBB330_2:
	s_delay_alu instid0(SALU_CYCLE_1)
	s_and_not1_b32 vcc_lo, exec_lo, s2
	s_cbranch_vccnz .LBB330_33
; %bb.3:
	s_load_b32 s19, s[0:1], 0x60
	s_bfe_u32 s2, ttmp6, 0x40014
	s_lshr_b32 s3, ttmp7, 16
	s_add_co_i32 s2, s2, 1
	s_wait_xcnt 0x0
	s_bfe_u32 s4, ttmp6, 0x40008
	s_mul_i32 s2, s3, s2
	s_getreg_b32 s28, hwreg(HW_REG_IB_STS2, 6, 4)
	s_add_co_i32 s4, s4, s2
	s_cmp_eq_u32 s28, 0
	s_mov_b32 s5, 0
	s_cselect_b32 s4, s3, s4
	s_wait_kmcnt 0x0
	s_cmp_ge_u32 s4, s19
	s_cbranch_scc1 .LBB330_33
; %bb.4:
	s_clause 0x3
	s_load_b32 s26, s[0:1], 0x18
	s_load_b32 s2, s[0:1], 0x30
	s_load_b96 s[16:18], s[0:1], 0x48
	s_load_b128 s[8:11], s[0:1], 0x20
	v_and_b32_e32 v6, 0x3ff, v0
	v_bfe_u32 v2, v0, 10, 10
	s_load_b64 s[24:25], s[0:1], 0x58
	s_wait_xcnt 0x0
	s_bfe_u32 s1, ttmp6, 0x4000c
	s_bfe_u32 s3, ttmp6, 0x40010
	s_and_b32 s29, ttmp7, 0xffff
	s_add_co_i32 s1, s1, 1
	s_add_co_i32 s3, s3, 1
	v_lshl_add_u32 v3, v2, 4, v6
	s_and_b32 s0, ttmp6, 15
	s_bfe_u32 s30, ttmp6, 0x40004
	s_mul_i32 s31, ttmp9, s1
	s_mul_i32 s33, s29, s3
	s_add_co_i32 s0, s0, s31
	s_add_co_i32 s30, s30, s33
	v_dual_lshrrev_b32 v4, 3, v3 :: v_dual_bitop2_b32 v5, 31, v3 bitop3:0x40
	s_wait_kmcnt 0x0
	s_ashr_i32 s27, s26, 31
	s_ashr_i32 s3, s2, 31
	;; [unrolled: 1-line block ×3, first 2 shown]
	s_cmp_eq_u32 s28, 0
	v_dual_lshlrev_b32 v33, 3, v6 :: v_dual_lshrrev_b32 v35, 5, v3
	s_cselect_b32 s0, ttmp9, s0
	s_cselect_b32 s28, s29, s30
	s_lshl_b32 s29, s0, 5
	s_lshl_b32 s0, s28, 5
	s_delay_alu instid0(SALU_CYCLE_1) | instskip(SKIP_2) | instid1(VALU_DEP_3)
	v_dual_add_nc_u32 v12, s0, v4 :: v_dual_bitop2_b32 v10, s29, v5 bitop3:0x54
	v_dual_add_nc_u32 v14, s0, v2 :: v_dual_bitop2_b32 v32, 7, v0 bitop3:0x40
	v_cmp_neq_f64_e64 s30, s[22:23], 0
	v_dual_ashrrev_i32 v11, 31, v10 :: v_dual_ashrrev_i32 v13, 31, v12
	s_delay_alu instid0(VALU_DEP_3) | instskip(NEXT) | instid1(VALU_DEP_4)
	v_dual_mov_b32 v1, 0 :: v_dual_lshlrev_b32 v20, 3, v32
	v_dual_add_nc_u32 v22, 16, v14 :: v_dual_lshlrev_b32 v0, 3, v5
	s_delay_alu instid0(VALU_DEP_3) | instskip(NEXT) | instid1(VALU_DEP_4)
	v_mul_u64_e32 v[16:17], s[26:27], v[10:11]
	v_mul_u64_e32 v[18:19], s[2:3], v[12:13]
	s_delay_alu instid0(VALU_DEP_4) | instskip(SKIP_3) | instid1(VALU_DEP_3)
	v_lshl_or_b32 v7, v4, 6, v20
	v_dual_mov_b32 v21, v1 :: v_dual_add_nc_u32 v6, s29, v6
	v_ashrrev_i32_e32 v23, 31, v22
	s_mov_b32 s0, s18
	v_add_nc_u32_e32 v37, 0x800, v7
	s_delay_alu instid0(VALU_DEP_3)
	v_dual_add_nc_u32 v8, 16, v6 :: v_dual_ashrrev_i32 v7, 31, v6
	v_ashrrev_i32_e32 v15, 31, v14
	v_cmp_neq_f64_e64 s28, s[20:21], 0
	v_lshl_add_u32 v34, v2, 6, 0x800
	v_lshl_or_b32 v36, v35, 8, v0
	v_ashrrev_i32_e32 v9, 31, v8
	v_mul_u64_e32 v[2:3], s[0:1], v[14:15]
	v_lshlrev_b32_e32 v0, 3, v35
	v_mul_u64_e32 v[4:5], s[0:1], v[22:23]
	s_cmp_gt_i32 s15, 0
	v_cmp_gt_i32_e32 vcc_lo, s14, v14
	s_cselect_b32 s18, -1, 0
	s_lshl_b64 s[26:27], s[8:9], 3
	s_lshl_b64 s[12:13], s[12:13], 3
	v_cmp_le_i32_e64 s2, v6, v14
	v_cmp_gt_i32_e64 s0, s14, v10
	v_cmp_le_i32_e64 s3, v8, v14
	v_cmp_gt_i32_e64 s1, s14, v12
	s_and_b32 s8, vcc_lo, s2
	v_cmp_le_i32_e64 s2, v6, v22
	s_and_b32 s9, vcc_lo, s3
	v_cmp_gt_i32_e32 vcc_lo, s14, v22
	v_lshl_add_u64 v[10:11], v[16:17], 3, s[26:27]
	v_lshl_add_u64 v[12:13], v[18:19], 3, s[12:13]
	v_cmp_le_i32_e64 s3, v8, v22
	s_and_b32 s12, s30, s18
	s_and_b32 s13, vcc_lo, s2
	v_add_nc_u64_e32 v[10:11], v[10:11], v[0:1]
	v_add_nc_u64_e32 v[12:13], v[12:13], v[20:21]
	s_and_b32 s14, vcc_lo, s3
	s_lshl_b64 s[2:3], s[24:25], 3
	s_branch .LBB330_6
.LBB330_5:                              ;   in Loop: Header=BB330_6 Depth=1
	s_wait_xcnt 0x0
	s_or_b32 exec_lo, exec_lo, s18
	s_add_co_i32 s4, s4, 0x10000
	s_delay_alu instid0(SALU_CYCLE_1)
	s_cmp_lt_u32 s4, s19
	s_cbranch_scc0 .LBB330_33
.LBB330_6:                              ; =>This Loop Header: Depth=1
                                        ;     Child Loop BB330_9 Depth 2
	v_mov_b32_e32 v0, s4
	v_mov_b64_e32 v[22:23], 0
	v_mov_b64_e32 v[18:19], 0
	;; [unrolled: 1-line block ×4, first 2 shown]
	global_load_b64 v[20:21], v0, s[16:17] scale_offset
	s_and_not1_b32 vcc_lo, exec_lo, s12
	s_cbranch_vccnz .LBB330_13
; %bb.7:                                ;   in Loop: Header=BB330_6 Depth=1
	s_lshl_b64 s[24:25], s[4:5], 3
	v_mov_b64_e32 v[14:15], 0
	s_add_nc_u64 s[26:27], s[6:7], s[24:25]
	s_add_nc_u64 s[24:25], s[10:11], s[24:25]
	s_clause 0x1
	global_load_b64 v[22:23], v1, s[26:27]
	global_load_b64 v[26:27], v1, s[24:25]
	v_mov_b64_e32 v[16:17], 0
	v_mov_b64_e32 v[18:19], 0
	s_mov_b32 s18, 0
	s_wait_loadcnt 0x1
	v_add_nc_u64_e32 v[24:25], v[22:23], v[10:11]
	s_wait_loadcnt 0x0
	v_add_nc_u64_e32 v[26:27], v[26:27], v[12:13]
	v_mov_b64_e32 v[22:23], 0
	s_branch .LBB330_9
.LBB330_8:                              ;   in Loop: Header=BB330_9 Depth=2
	s_wait_xcnt 0x0
	s_or_b32 exec_lo, exec_lo, s24
	s_wait_loadcnt_dscnt 0x0
	ds_store_b64 v37, v[30:31]
	s_wait_dscnt 0x0
	s_barrier_signal -1
	s_barrier_wait -1
	ds_load_b128 v[28:31], v34
	ds_load_2addr_b64 v[38:41], v33 offset1:16
	ds_load_b128 v[42:45], v34 offset:1024
	ds_load_b128 v[46:49], v34 offset:16
	;; [unrolled: 1-line block ×3, first 2 shown]
	v_add_nc_u64_e32 v[24:25], 64, v[24:25]
	v_add_nc_u64_e32 v[26:27], 64, v[26:27]
	s_add_co_i32 s18, s18, 8
	s_delay_alu instid0(SALU_CYCLE_1)
	s_cmp_lt_i32 s18, s15
	s_wait_dscnt 0x3
	v_fmac_f64_e32 v[22:23], v[38:39], v[28:29]
	v_fmac_f64_e32 v[18:19], v[40:41], v[28:29]
	s_wait_dscnt 0x2
	v_fmac_f64_e32 v[16:17], v[38:39], v[42:43]
	v_fmac_f64_e32 v[14:15], v[40:41], v[42:43]
	ds_load_2addr_b64 v[38:41], v33 offset0:32 offset1:48
	s_wait_dscnt 0x0
	v_fmac_f64_e32 v[22:23], v[38:39], v[30:31]
	v_fmac_f64_e32 v[18:19], v[40:41], v[30:31]
	v_fmac_f64_e32 v[16:17], v[38:39], v[44:45]
	v_fmac_f64_e32 v[14:15], v[40:41], v[44:45]
	ds_load_2addr_b64 v[28:31], v33 offset0:64 offset1:80
	s_wait_dscnt 0x0
	v_fmac_f64_e32 v[22:23], v[28:29], v[46:47]
	v_fmac_f64_e32 v[18:19], v[30:31], v[46:47]
	;; [unrolled: 6-line block ×3, first 2 shown]
	v_fmac_f64_e32 v[16:17], v[28:29], v[52:53]
	v_fmac_f64_e32 v[14:15], v[30:31], v[52:53]
	ds_load_b128 v[28:31], v34 offset:32
	ds_load_2addr_b64 v[38:41], v33 offset0:128 offset1:144
	ds_load_b128 v[42:45], v34 offset:1056
	ds_load_b128 v[46:49], v34 offset:48
	;; [unrolled: 1-line block ×3, first 2 shown]
	s_wait_dscnt 0x3
	v_fmac_f64_e32 v[22:23], v[38:39], v[28:29]
	v_fmac_f64_e32 v[18:19], v[40:41], v[28:29]
	s_wait_dscnt 0x2
	v_fmac_f64_e32 v[16:17], v[38:39], v[42:43]
	v_fmac_f64_e32 v[14:15], v[40:41], v[42:43]
	ds_load_2addr_b64 v[38:41], v33 offset0:160 offset1:176
	s_wait_dscnt 0x0
	v_fmac_f64_e32 v[22:23], v[38:39], v[30:31]
	v_fmac_f64_e32 v[18:19], v[40:41], v[30:31]
	;; [unrolled: 1-line block ×4, first 2 shown]
	ds_load_2addr_b64 v[28:31], v33 offset0:192 offset1:208
	s_wait_dscnt 0x0
	v_fmac_f64_e32 v[22:23], v[28:29], v[46:47]
	v_fmac_f64_e32 v[18:19], v[30:31], v[46:47]
	;; [unrolled: 1-line block ×4, first 2 shown]
	ds_load_2addr_b64 v[28:31], v33 offset0:224 offset1:240
	s_wait_dscnt 0x0
	s_barrier_signal -1
	s_barrier_wait -1
	v_fmac_f64_e32 v[22:23], v[28:29], v[48:49]
	v_fmac_f64_e32 v[18:19], v[30:31], v[48:49]
	;; [unrolled: 1-line block ×4, first 2 shown]
	s_cbranch_scc0 .LBB330_13
.LBB330_9:                              ;   Parent Loop BB330_6 Depth=1
                                        ; =>  This Inner Loop Header: Depth=2
	s_wait_xcnt 0x2
	v_add_nc_u32_e32 v0, s18, v35
	v_mov_b64_e32 v[28:29], 0
	s_delay_alu instid0(VALU_DEP_2) | instskip(SKIP_2) | instid1(SALU_CYCLE_1)
	v_cmp_gt_i32_e32 vcc_lo, s15, v0
	s_wait_xcnt 0x0
	s_and_b32 s25, s0, vcc_lo
	s_and_saveexec_b32 s24, s25
	s_cbranch_execz .LBB330_11
; %bb.10:                               ;   in Loop: Header=BB330_9 Depth=2
	flat_load_b64 v[28:29], v[24:25]
.LBB330_11:                             ;   in Loop: Header=BB330_9 Depth=2
	s_wait_xcnt 0x0
	s_or_b32 exec_lo, exec_lo, s24
	v_add_nc_u32_e32 v0, s18, v32
	v_mov_b64_e32 v[30:31], 0
	s_wait_loadcnt_dscnt 0x0
	ds_store_b64 v36, v[28:29]
	v_cmp_gt_i32_e32 vcc_lo, s15, v0
	s_and_b32 s25, vcc_lo, s1
	s_delay_alu instid0(SALU_CYCLE_1)
	s_and_saveexec_b32 s24, s25
	s_cbranch_execz .LBB330_8
; %bb.12:                               ;   in Loop: Header=BB330_9 Depth=2
	flat_load_b64 v[30:31], v[26:27]
	s_branch .LBB330_8
.LBB330_13:                             ;   in Loop: Header=BB330_6 Depth=1
	s_wait_loadcnt 0x0
	v_add_nc_u64_e32 v[20:21], s[2:3], v[20:21]
	s_delay_alu instid0(VALU_DEP_1)
	v_lshl_add_u64 v[24:25], v[2:3], 3, v[20:21]
	s_wait_xcnt 0x0
	s_and_saveexec_b32 s18, s8
	s_cbranch_execz .LBB330_17
; %bb.14:                               ;   in Loop: Header=BB330_6 Depth=1
	v_mul_f64_e32 v[22:23], s[22:23], v[22:23]
	v_lshl_add_u64 v[26:27], v[6:7], 3, v[24:25]
	s_and_b32 vcc_lo, exec_lo, s28
	s_cbranch_vccz .LBB330_28
; %bb.15:                               ;   in Loop: Header=BB330_6 Depth=1
	flat_load_b64 v[28:29], v[26:27]
	s_wait_loadcnt_dscnt 0x0
	v_fma_f64 v[28:29], s[20:21], v[28:29], v[22:23]
	flat_store_b64 v[26:27], v[28:29]
	s_cbranch_execnz .LBB330_17
.LBB330_16:                             ;   in Loop: Header=BB330_6 Depth=1
	flat_store_b64 v[26:27], v[22:23]
.LBB330_17:                             ;   in Loop: Header=BB330_6 Depth=1
	s_wait_xcnt 0x0
	s_or_b32 exec_lo, exec_lo, s18
	s_and_saveexec_b32 s18, s9
	s_cbranch_execz .LBB330_21
; %bb.18:                               ;   in Loop: Header=BB330_6 Depth=1
	v_mul_f64_e32 v[18:19], s[22:23], v[18:19]
	v_lshl_add_u64 v[22:23], v[8:9], 3, v[24:25]
	s_and_not1_b32 vcc_lo, exec_lo, s28
	s_cbranch_vccnz .LBB330_29
; %bb.19:                               ;   in Loop: Header=BB330_6 Depth=1
	flat_load_b64 v[24:25], v[22:23]
	s_wait_loadcnt_dscnt 0x0
	v_fma_f64 v[24:25], s[20:21], v[24:25], v[18:19]
	flat_store_b64 v[22:23], v[24:25]
	s_cbranch_execnz .LBB330_21
.LBB330_20:                             ;   in Loop: Header=BB330_6 Depth=1
	flat_store_b64 v[22:23], v[18:19]
.LBB330_21:                             ;   in Loop: Header=BB330_6 Depth=1
	s_wait_xcnt 0x0
	s_or_b32 exec_lo, exec_lo, s18
	v_lshl_add_u64 v[18:19], v[4:5], 3, v[20:21]
	s_and_saveexec_b32 s18, s13
	s_cbranch_execz .LBB330_25
; %bb.22:                               ;   in Loop: Header=BB330_6 Depth=1
	v_mul_f64_e32 v[16:17], s[22:23], v[16:17]
	s_delay_alu instid0(VALU_DEP_2)
	v_lshl_add_u64 v[20:21], v[6:7], 3, v[18:19]
	s_and_not1_b32 vcc_lo, exec_lo, s28
	s_cbranch_vccnz .LBB330_30
; %bb.23:                               ;   in Loop: Header=BB330_6 Depth=1
	flat_load_b64 v[22:23], v[20:21]
	s_wait_loadcnt_dscnt 0x0
	v_fma_f64 v[22:23], s[20:21], v[22:23], v[16:17]
	flat_store_b64 v[20:21], v[22:23]
	s_cbranch_execnz .LBB330_25
.LBB330_24:                             ;   in Loop: Header=BB330_6 Depth=1
	flat_store_b64 v[20:21], v[16:17]
.LBB330_25:                             ;   in Loop: Header=BB330_6 Depth=1
	s_wait_xcnt 0x0
	s_or_b32 exec_lo, exec_lo, s18
	s_and_saveexec_b32 s18, s14
	s_cbranch_execz .LBB330_5
; %bb.26:                               ;   in Loop: Header=BB330_6 Depth=1
	s_delay_alu instid0(VALU_DEP_4)
	v_mul_f64_e32 v[14:15], s[22:23], v[14:15]
	v_lshl_add_u64 v[16:17], v[8:9], 3, v[18:19]
	s_and_not1_b32 vcc_lo, exec_lo, s28
	s_cbranch_vccnz .LBB330_31
; %bb.27:                               ;   in Loop: Header=BB330_6 Depth=1
	flat_load_b64 v[18:19], v[16:17]
	s_wait_loadcnt_dscnt 0x0
	v_fma_f64 v[18:19], s[20:21], v[18:19], v[14:15]
	flat_store_b64 v[16:17], v[18:19]
	s_cbranch_execnz .LBB330_5
	s_branch .LBB330_32
.LBB330_28:                             ;   in Loop: Header=BB330_6 Depth=1
	s_branch .LBB330_16
.LBB330_29:                             ;   in Loop: Header=BB330_6 Depth=1
	s_branch .LBB330_20
.LBB330_30:                             ;   in Loop: Header=BB330_6 Depth=1
	s_branch .LBB330_24
.LBB330_31:                             ;   in Loop: Header=BB330_6 Depth=1
.LBB330_32:                             ;   in Loop: Header=BB330_6 Depth=1
	flat_store_b64 v[16:17], v[14:15]
	s_branch .LBB330_5
.LBB330_33:
	s_endpgm
	.section	.rodata,"a",@progbits
	.p2align	6, 0x0
	.amdhsa_kernel _ZL29rocblas_internal_gemmt_kernelIiLi16ELi32ELi8ELc67ELc78ELc85ELb0ELb0EdPKdPKS1_PKPdEviT_T9_T10_S7_lS9_S7_lS8_T11_S7_li
		.amdhsa_group_segment_fixed_size 4096
		.amdhsa_private_segment_fixed_size 0
		.amdhsa_kernarg_size 100
		.amdhsa_user_sgpr_count 2
		.amdhsa_user_sgpr_dispatch_ptr 0
		.amdhsa_user_sgpr_queue_ptr 0
		.amdhsa_user_sgpr_kernarg_segment_ptr 1
		.amdhsa_user_sgpr_dispatch_id 0
		.amdhsa_user_sgpr_kernarg_preload_length 0
		.amdhsa_user_sgpr_kernarg_preload_offset 0
		.amdhsa_user_sgpr_private_segment_size 0
		.amdhsa_wavefront_size32 1
		.amdhsa_uses_dynamic_stack 0
		.amdhsa_enable_private_segment 0
		.amdhsa_system_sgpr_workgroup_id_x 1
		.amdhsa_system_sgpr_workgroup_id_y 1
		.amdhsa_system_sgpr_workgroup_id_z 1
		.amdhsa_system_sgpr_workgroup_info 0
		.amdhsa_system_vgpr_workitem_id 1
		.amdhsa_next_free_vgpr 54
		.amdhsa_next_free_sgpr 34
		.amdhsa_named_barrier_count 0
		.amdhsa_reserve_vcc 1
		.amdhsa_float_round_mode_32 0
		.amdhsa_float_round_mode_16_64 0
		.amdhsa_float_denorm_mode_32 3
		.amdhsa_float_denorm_mode_16_64 3
		.amdhsa_fp16_overflow 0
		.amdhsa_memory_ordered 1
		.amdhsa_forward_progress 1
		.amdhsa_inst_pref_size 14
		.amdhsa_round_robin_scheduling 0
		.amdhsa_exception_fp_ieee_invalid_op 0
		.amdhsa_exception_fp_denorm_src 0
		.amdhsa_exception_fp_ieee_div_zero 0
		.amdhsa_exception_fp_ieee_overflow 0
		.amdhsa_exception_fp_ieee_underflow 0
		.amdhsa_exception_fp_ieee_inexact 0
		.amdhsa_exception_int_div_zero 0
	.end_amdhsa_kernel
	.section	.text._ZL29rocblas_internal_gemmt_kernelIiLi16ELi32ELi8ELc67ELc78ELc85ELb0ELb0EdPKdPKS1_PKPdEviT_T9_T10_S7_lS9_S7_lS8_T11_S7_li,"axG",@progbits,_ZL29rocblas_internal_gemmt_kernelIiLi16ELi32ELi8ELc67ELc78ELc85ELb0ELb0EdPKdPKS1_PKPdEviT_T9_T10_S7_lS9_S7_lS8_T11_S7_li,comdat
.Lfunc_end330:
	.size	_ZL29rocblas_internal_gemmt_kernelIiLi16ELi32ELi8ELc67ELc78ELc85ELb0ELb0EdPKdPKS1_PKPdEviT_T9_T10_S7_lS9_S7_lS8_T11_S7_li, .Lfunc_end330-_ZL29rocblas_internal_gemmt_kernelIiLi16ELi32ELi8ELc67ELc78ELc85ELb0ELb0EdPKdPKS1_PKPdEviT_T9_T10_S7_lS9_S7_lS8_T11_S7_li
                                        ; -- End function
	.set _ZL29rocblas_internal_gemmt_kernelIiLi16ELi32ELi8ELc67ELc78ELc85ELb0ELb0EdPKdPKS1_PKPdEviT_T9_T10_S7_lS9_S7_lS8_T11_S7_li.num_vgpr, 54
	.set _ZL29rocblas_internal_gemmt_kernelIiLi16ELi32ELi8ELc67ELc78ELc85ELb0ELb0EdPKdPKS1_PKPdEviT_T9_T10_S7_lS9_S7_lS8_T11_S7_li.num_agpr, 0
	.set _ZL29rocblas_internal_gemmt_kernelIiLi16ELi32ELi8ELc67ELc78ELc85ELb0ELb0EdPKdPKS1_PKPdEviT_T9_T10_S7_lS9_S7_lS8_T11_S7_li.numbered_sgpr, 34
	.set _ZL29rocblas_internal_gemmt_kernelIiLi16ELi32ELi8ELc67ELc78ELc85ELb0ELb0EdPKdPKS1_PKPdEviT_T9_T10_S7_lS9_S7_lS8_T11_S7_li.num_named_barrier, 0
	.set _ZL29rocblas_internal_gemmt_kernelIiLi16ELi32ELi8ELc67ELc78ELc85ELb0ELb0EdPKdPKS1_PKPdEviT_T9_T10_S7_lS9_S7_lS8_T11_S7_li.private_seg_size, 0
	.set _ZL29rocblas_internal_gemmt_kernelIiLi16ELi32ELi8ELc67ELc78ELc85ELb0ELb0EdPKdPKS1_PKPdEviT_T9_T10_S7_lS9_S7_lS8_T11_S7_li.uses_vcc, 1
	.set _ZL29rocblas_internal_gemmt_kernelIiLi16ELi32ELi8ELc67ELc78ELc85ELb0ELb0EdPKdPKS1_PKPdEviT_T9_T10_S7_lS9_S7_lS8_T11_S7_li.uses_flat_scratch, 0
	.set _ZL29rocblas_internal_gemmt_kernelIiLi16ELi32ELi8ELc67ELc78ELc85ELb0ELb0EdPKdPKS1_PKPdEviT_T9_T10_S7_lS9_S7_lS8_T11_S7_li.has_dyn_sized_stack, 0
	.set _ZL29rocblas_internal_gemmt_kernelIiLi16ELi32ELi8ELc67ELc78ELc85ELb0ELb0EdPKdPKS1_PKPdEviT_T9_T10_S7_lS9_S7_lS8_T11_S7_li.has_recursion, 0
	.set _ZL29rocblas_internal_gemmt_kernelIiLi16ELi32ELi8ELc67ELc78ELc85ELb0ELb0EdPKdPKS1_PKPdEviT_T9_T10_S7_lS9_S7_lS8_T11_S7_li.has_indirect_call, 0
	.section	.AMDGPU.csdata,"",@progbits
; Kernel info:
; codeLenInByte = 1708
; TotalNumSgprs: 36
; NumVgprs: 54
; ScratchSize: 0
; MemoryBound: 0
; FloatMode: 240
; IeeeMode: 1
; LDSByteSize: 4096 bytes/workgroup (compile time only)
; SGPRBlocks: 0
; VGPRBlocks: 3
; NumSGPRsForWavesPerEU: 36
; NumVGPRsForWavesPerEU: 54
; NamedBarCnt: 0
; Occupancy: 16
; WaveLimiterHint : 1
; COMPUTE_PGM_RSRC2:SCRATCH_EN: 0
; COMPUTE_PGM_RSRC2:USER_SGPR: 2
; COMPUTE_PGM_RSRC2:TRAP_HANDLER: 0
; COMPUTE_PGM_RSRC2:TGID_X_EN: 1
; COMPUTE_PGM_RSRC2:TGID_Y_EN: 1
; COMPUTE_PGM_RSRC2:TGID_Z_EN: 1
; COMPUTE_PGM_RSRC2:TIDIG_COMP_CNT: 1
	.section	.text._ZL29rocblas_internal_gemmt_kernelIiLi16ELi32ELi8ELc67ELc84ELc85ELb0ELb0EdPKdPKS1_PKPdEviT_T9_T10_S7_lS9_S7_lS8_T11_S7_li,"axG",@progbits,_ZL29rocblas_internal_gemmt_kernelIiLi16ELi32ELi8ELc67ELc84ELc85ELb0ELb0EdPKdPKS1_PKPdEviT_T9_T10_S7_lS9_S7_lS8_T11_S7_li,comdat
	.globl	_ZL29rocblas_internal_gemmt_kernelIiLi16ELi32ELi8ELc67ELc84ELc85ELb0ELb0EdPKdPKS1_PKPdEviT_T9_T10_S7_lS9_S7_lS8_T11_S7_li ; -- Begin function _ZL29rocblas_internal_gemmt_kernelIiLi16ELi32ELi8ELc67ELc84ELc85ELb0ELb0EdPKdPKS1_PKPdEviT_T9_T10_S7_lS9_S7_lS8_T11_S7_li
	.p2align	8
	.type	_ZL29rocblas_internal_gemmt_kernelIiLi16ELi32ELi8ELc67ELc84ELc85ELb0ELb0EdPKdPKS1_PKPdEviT_T9_T10_S7_lS9_S7_lS8_T11_S7_li,@function
_ZL29rocblas_internal_gemmt_kernelIiLi16ELi32ELi8ELc67ELc84ELc85ELb0ELb0EdPKdPKS1_PKPdEviT_T9_T10_S7_lS9_S7_lS8_T11_S7_li: ; @_ZL29rocblas_internal_gemmt_kernelIiLi16ELi32ELi8ELc67ELc84ELc85ELb0ELb0EdPKdPKS1_PKPdEviT_T9_T10_S7_lS9_S7_lS8_T11_S7_li
; %bb.0:
	s_load_b128 s[12:15], s[0:1], 0x38
	s_wait_kmcnt 0x0
	s_load_b64 s[20:21], s[14:15], 0x0
	s_load_b128 s[4:7], s[0:1], 0x8
	s_wait_xcnt 0x0
	s_load_b64 s[14:15], s[0:1], 0x0
	s_wait_kmcnt 0x0
	s_load_b64 s[22:23], s[4:5], 0x0
	v_cmp_neq_f64_e64 s2, s[20:21], 1.0
	s_and_b32 vcc_lo, exec_lo, s2
	s_cbranch_vccnz .LBB331_2
; %bb.1:
	s_wait_kmcnt 0x0
	v_cmp_neq_f64_e64 s2, s[22:23], 0
	s_cmp_lg_u32 s15, 0
	s_cselect_b32 s3, -1, 0
	s_delay_alu instid0(SALU_CYCLE_1)
	s_and_b32 s2, s3, s2
.LBB331_2:
	s_delay_alu instid0(SALU_CYCLE_1)
	s_and_not1_b32 vcc_lo, exec_lo, s2
	s_cbranch_vccnz .LBB331_33
; %bb.3:
	s_load_b32 s19, s[0:1], 0x60
	s_bfe_u32 s2, ttmp6, 0x40014
	s_lshr_b32 s3, ttmp7, 16
	s_add_co_i32 s2, s2, 1
	s_wait_xcnt 0x0
	s_bfe_u32 s4, ttmp6, 0x40008
	s_mul_i32 s2, s3, s2
	s_getreg_b32 s28, hwreg(HW_REG_IB_STS2, 6, 4)
	s_add_co_i32 s4, s4, s2
	s_cmp_eq_u32 s28, 0
	s_mov_b32 s5, 0
	s_cselect_b32 s4, s3, s4
	s_wait_kmcnt 0x0
	s_cmp_ge_u32 s4, s19
	s_cbranch_scc1 .LBB331_33
; %bb.4:
	s_clause 0x3
	s_load_b32 s2, s[0:1], 0x18
	s_load_b32 s24, s[0:1], 0x30
	s_load_b96 s[16:18], s[0:1], 0x48
	s_load_b128 s[8:11], s[0:1], 0x20
	v_and_b32_e32 v2, 0x3ff, v0
	v_bfe_u32 v11, v0, 10, 10
	s_load_b64 s[26:27], s[0:1], 0x58
	s_wait_xcnt 0x0
	s_bfe_u32 s1, ttmp6, 0x4000c
	s_bfe_u32 s3, ttmp6, 0x40010
	s_and_b32 s30, ttmp7, 0xffff
	s_add_co_i32 s1, s1, 1
	s_add_co_i32 s3, s3, 1
	v_lshl_add_u32 v1, v11, 4, v2
	s_and_b32 s0, ttmp6, 15
	s_bfe_u32 s31, ttmp6, 0x40004
	s_mul_i32 s1, ttmp9, s1
	s_mul_i32 s33, s30, s3
	s_add_co_i32 s0, s0, s1
	s_add_co_i32 s31, s31, s33
	v_dual_lshrrev_b32 v34, 5, v1 :: v_dual_bitop2_b32 v6, 31, v1 bitop3:0x40
	s_wait_kmcnt 0x0
	s_ashr_i32 s3, s2, 31
	s_ashr_i32 s25, s24, 31
	;; [unrolled: 1-line block ×3, first 2 shown]
	s_cmp_eq_u32 s28, 0
	v_dual_mov_b32 v3, 0 :: v_dual_bitop2_b32 v0, 7, v0 bitop3:0x40
	s_cselect_b32 s0, ttmp9, s0
	s_cselect_b32 s1, s30, s31
	s_lshl_b32 s30, s0, 5
	s_delay_alu instid0(SALU_CYCLE_1) | instskip(SKIP_1) | instid1(SALU_CYCLE_1)
	v_dual_lshrrev_b32 v7, 3, v1 :: v_dual_bitop2_b32 v4, s30, v6 bitop3:0x54
	s_lshl_b32 s0, s1, 5
	v_dual_mov_b32 v1, v3 :: v_dual_add_nc_u32 v12, s0, v11
	s_delay_alu instid0(VALU_DEP_2) | instskip(SKIP_1) | instid1(VALU_DEP_3)
	v_dual_add_nc_u32 v14, s0, v7 :: v_dual_ashrrev_i32 v5, 31, v4
	v_cmp_gt_i32_e64 s0, s14, v4
	v_mul_u64_e32 v[18:19], s[24:25], v[0:1]
	s_delay_alu instid0(VALU_DEP_4) | instskip(SKIP_3) | instid1(VALU_DEP_4)
	v_add_nc_u32_e32 v20, 16, v12
	v_lshlrev_b32_e32 v1, 3, v0
	v_mul_u64_e32 v[16:17], s[2:3], v[4:5]
	v_dual_lshlrev_b32 v5, 3, v6 :: v_dual_ashrrev_i32 v13, 31, v12
	v_dual_ashrrev_i32 v21, 31, v20 :: v_dual_lshlrev_b32 v36, 3, v2
	v_add_nc_u32_e32 v4, s30, v2
	v_lshl_or_b32 v15, v7, 6, v1
	s_mov_b32 s28, s18
	v_cmp_neq_f64_e64 s31, s[22:23], 0
	v_cmp_neq_f64_e64 s18, s[20:21], 0
	v_mul_u64_e32 v[8:9], s[28:29], v[20:21]
	v_add_nc_u32_e32 v35, 0x800, v15
	v_ashrrev_i32_e32 v15, 31, v14
	v_mul_u64_e32 v[6:7], s[28:29], v[12:13]
	v_add_nc_u32_e32 v10, 16, v4
	v_lshl_or_b32 v1, v34, 8, v5
	v_cmp_gt_i32_e32 vcc_lo, s14, v12
	v_cmp_le_i32_e64 s2, v4, v12
	v_ashrrev_i32_e32 v5, 31, v4
	v_cmp_le_i32_e64 s3, v10, v12
	s_cmp_gt_i32 s15, 0
	v_lshlrev_b32_e32 v2, 3, v34
	s_cselect_b32 s33, -1, 0
	s_lshl_b64 s[8:9], s[8:9], 3
	s_and_b32 s28, vcc_lo, s2
	s_and_b32 s29, vcc_lo, s3
	v_cmp_gt_i32_e32 vcc_lo, s14, v20
	v_cmp_le_i32_e64 s2, v4, v20
	v_cmp_gt_i32_e64 s1, s14, v14
	v_lshl_add_u32 v37, v11, 6, 0x800
	v_ashrrev_i32_e32 v11, 31, v10
	v_lshl_add_u64 v[12:13], v[16:17], 3, s[8:9]
	s_lshl_b64 s[8:9], s[12:13], 3
	s_and_b32 s12, vcc_lo, s2
	v_lshl_add_u64 v[16:17], v[18:19], 3, s[8:9]
	v_cmp_le_i32_e64 s2, v10, v20
	v_add_nc_u64_e32 v[12:13], v[12:13], v[2:3]
	s_lshl_b64 s[8:9], s[26:27], 3
	v_lshl_add_u64 v[14:15], v[14:15], 3, v[16:17]
	s_and_b32 s13, s31, s33
	s_and_b32 s14, vcc_lo, s2
	s_lshl_b64 s[2:3], s[24:25], 6
	s_branch .LBB331_6
.LBB331_5:                              ;   in Loop: Header=BB331_6 Depth=1
	s_wait_xcnt 0x0
	s_or_b32 exec_lo, exec_lo, s24
	s_add_co_i32 s4, s4, 0x10000
	s_delay_alu instid0(SALU_CYCLE_1)
	s_cmp_lt_u32 s4, s19
	s_cbranch_scc0 .LBB331_33
.LBB331_6:                              ; =>This Loop Header: Depth=1
                                        ;     Child Loop BB331_9 Depth 2
	v_mov_b32_e32 v2, s4
	v_mov_b64_e32 v[24:25], 0
	v_mov_b64_e32 v[20:21], 0
	;; [unrolled: 1-line block ×4, first 2 shown]
	global_load_b64 v[22:23], v2, s[16:17] scale_offset
	s_and_not1_b32 vcc_lo, exec_lo, s13
	s_cbranch_vccnz .LBB331_13
; %bb.7:                                ;   in Loop: Header=BB331_6 Depth=1
	s_lshl_b64 s[24:25], s[4:5], 3
	v_mov_b64_e32 v[16:17], 0
	s_add_nc_u64 s[26:27], s[6:7], s[24:25]
	s_add_nc_u64 s[24:25], s[10:11], s[24:25]
	s_clause 0x1
	global_load_b64 v[24:25], v3, s[26:27]
	global_load_b64 v[28:29], v3, s[24:25]
	v_mov_b64_e32 v[18:19], 0
	v_mov_b64_e32 v[20:21], 0
	s_wait_xcnt 0x0
	s_mov_b32 s24, 0
	s_wait_loadcnt 0x1
	v_add_nc_u64_e32 v[26:27], v[24:25], v[12:13]
	s_wait_loadcnt 0x0
	v_add_nc_u64_e32 v[28:29], v[28:29], v[14:15]
	v_mov_b64_e32 v[24:25], 0
	s_branch .LBB331_9
.LBB331_8:                              ;   in Loop: Header=BB331_9 Depth=2
	s_wait_xcnt 0x0
	s_or_b32 exec_lo, exec_lo, s25
	s_wait_loadcnt_dscnt 0x0
	ds_store_b64 v35, v[32:33]
	s_wait_dscnt 0x0
	s_barrier_signal -1
	s_barrier_wait -1
	ds_load_b128 v[30:33], v37
	ds_load_2addr_b64 v[38:41], v36 offset1:16
	ds_load_b128 v[42:45], v37 offset:1024
	ds_load_b128 v[46:49], v37 offset:16
	;; [unrolled: 1-line block ×3, first 2 shown]
	v_add_nc_u64_e32 v[26:27], 64, v[26:27]
	v_add_nc_u64_e32 v[28:29], s[2:3], v[28:29]
	s_add_co_i32 s24, s24, 8
	s_delay_alu instid0(SALU_CYCLE_1)
	s_cmp_lt_i32 s24, s15
	s_wait_dscnt 0x3
	v_fmac_f64_e32 v[24:25], v[38:39], v[30:31]
	v_fmac_f64_e32 v[20:21], v[40:41], v[30:31]
	s_wait_dscnt 0x2
	v_fmac_f64_e32 v[18:19], v[38:39], v[42:43]
	v_fmac_f64_e32 v[16:17], v[40:41], v[42:43]
	ds_load_2addr_b64 v[38:41], v36 offset0:32 offset1:48
	s_wait_dscnt 0x0
	v_fmac_f64_e32 v[24:25], v[38:39], v[32:33]
	v_fmac_f64_e32 v[20:21], v[40:41], v[32:33]
	v_fmac_f64_e32 v[18:19], v[38:39], v[44:45]
	v_fmac_f64_e32 v[16:17], v[40:41], v[44:45]
	ds_load_2addr_b64 v[30:33], v36 offset0:64 offset1:80
	s_wait_dscnt 0x0
	v_fmac_f64_e32 v[24:25], v[30:31], v[46:47]
	v_fmac_f64_e32 v[20:21], v[32:33], v[46:47]
	;; [unrolled: 6-line block ×3, first 2 shown]
	v_fmac_f64_e32 v[18:19], v[30:31], v[52:53]
	v_fmac_f64_e32 v[16:17], v[32:33], v[52:53]
	ds_load_b128 v[30:33], v37 offset:32
	ds_load_2addr_b64 v[38:41], v36 offset0:128 offset1:144
	ds_load_b128 v[42:45], v37 offset:1056
	ds_load_b128 v[46:49], v37 offset:48
	;; [unrolled: 1-line block ×3, first 2 shown]
	s_wait_dscnt 0x3
	v_fmac_f64_e32 v[24:25], v[38:39], v[30:31]
	v_fmac_f64_e32 v[20:21], v[40:41], v[30:31]
	s_wait_dscnt 0x2
	v_fmac_f64_e32 v[18:19], v[38:39], v[42:43]
	v_fmac_f64_e32 v[16:17], v[40:41], v[42:43]
	ds_load_2addr_b64 v[38:41], v36 offset0:160 offset1:176
	s_wait_dscnt 0x0
	v_fmac_f64_e32 v[24:25], v[38:39], v[32:33]
	v_fmac_f64_e32 v[20:21], v[40:41], v[32:33]
	;; [unrolled: 1-line block ×4, first 2 shown]
	ds_load_2addr_b64 v[30:33], v36 offset0:192 offset1:208
	s_wait_dscnt 0x0
	v_fmac_f64_e32 v[24:25], v[30:31], v[46:47]
	v_fmac_f64_e32 v[20:21], v[32:33], v[46:47]
	;; [unrolled: 1-line block ×4, first 2 shown]
	ds_load_2addr_b64 v[30:33], v36 offset0:224 offset1:240
	s_wait_dscnt 0x0
	s_barrier_signal -1
	s_barrier_wait -1
	v_fmac_f64_e32 v[24:25], v[30:31], v[48:49]
	v_fmac_f64_e32 v[20:21], v[32:33], v[48:49]
	;; [unrolled: 1-line block ×4, first 2 shown]
	s_cbranch_scc0 .LBB331_13
.LBB331_9:                              ;   Parent Loop BB331_6 Depth=1
                                        ; =>  This Inner Loop Header: Depth=2
	v_add_nc_u32_e32 v2, s24, v34
	v_mov_b64_e32 v[30:31], 0
	s_delay_alu instid0(VALU_DEP_2) | instskip(SKIP_1) | instid1(SALU_CYCLE_1)
	v_cmp_gt_i32_e32 vcc_lo, s15, v2
	s_and_b32 s26, s0, vcc_lo
	s_and_saveexec_b32 s25, s26
	s_cbranch_execz .LBB331_11
; %bb.10:                               ;   in Loop: Header=BB331_9 Depth=2
	flat_load_b64 v[30:31], v[26:27]
.LBB331_11:                             ;   in Loop: Header=BB331_9 Depth=2
	s_wait_xcnt 0x0
	s_or_b32 exec_lo, exec_lo, s25
	v_add_nc_u32_e32 v2, s24, v0
	v_mov_b64_e32 v[32:33], 0
	s_wait_loadcnt_dscnt 0x0
	ds_store_b64 v1, v[30:31]
	v_cmp_gt_i32_e32 vcc_lo, s15, v2
	s_and_b32 s26, vcc_lo, s1
	s_delay_alu instid0(SALU_CYCLE_1)
	s_and_saveexec_b32 s25, s26
	s_cbranch_execz .LBB331_8
; %bb.12:                               ;   in Loop: Header=BB331_9 Depth=2
	flat_load_b64 v[32:33], v[28:29]
	s_branch .LBB331_8
.LBB331_13:                             ;   in Loop: Header=BB331_6 Depth=1
	s_wait_loadcnt 0x0
	v_add_nc_u64_e32 v[22:23], s[8:9], v[22:23]
	s_delay_alu instid0(VALU_DEP_1)
	v_lshl_add_u64 v[26:27], v[6:7], 3, v[22:23]
	s_wait_xcnt 0x0
	s_and_saveexec_b32 s24, s28
	s_cbranch_execz .LBB331_17
; %bb.14:                               ;   in Loop: Header=BB331_6 Depth=1
	v_mul_f64_e32 v[24:25], s[22:23], v[24:25]
	v_lshl_add_u64 v[28:29], v[4:5], 3, v[26:27]
	s_and_b32 vcc_lo, exec_lo, s18
	s_cbranch_vccz .LBB331_28
; %bb.15:                               ;   in Loop: Header=BB331_6 Depth=1
	flat_load_b64 v[30:31], v[28:29]
	s_wait_loadcnt_dscnt 0x0
	v_fma_f64 v[30:31], s[20:21], v[30:31], v[24:25]
	flat_store_b64 v[28:29], v[30:31]
	s_cbranch_execnz .LBB331_17
.LBB331_16:                             ;   in Loop: Header=BB331_6 Depth=1
	flat_store_b64 v[28:29], v[24:25]
.LBB331_17:                             ;   in Loop: Header=BB331_6 Depth=1
	s_wait_xcnt 0x0
	s_or_b32 exec_lo, exec_lo, s24
	s_and_saveexec_b32 s24, s29
	s_cbranch_execz .LBB331_21
; %bb.18:                               ;   in Loop: Header=BB331_6 Depth=1
	v_mul_f64_e32 v[20:21], s[22:23], v[20:21]
	v_lshl_add_u64 v[24:25], v[10:11], 3, v[26:27]
	s_and_not1_b32 vcc_lo, exec_lo, s18
	s_cbranch_vccnz .LBB331_29
; %bb.19:                               ;   in Loop: Header=BB331_6 Depth=1
	flat_load_b64 v[26:27], v[24:25]
	s_wait_loadcnt_dscnt 0x0
	v_fma_f64 v[26:27], s[20:21], v[26:27], v[20:21]
	flat_store_b64 v[24:25], v[26:27]
	s_cbranch_execnz .LBB331_21
.LBB331_20:                             ;   in Loop: Header=BB331_6 Depth=1
	flat_store_b64 v[24:25], v[20:21]
.LBB331_21:                             ;   in Loop: Header=BB331_6 Depth=1
	s_wait_xcnt 0x0
	s_or_b32 exec_lo, exec_lo, s24
	v_lshl_add_u64 v[20:21], v[8:9], 3, v[22:23]
	s_and_saveexec_b32 s24, s12
	s_cbranch_execz .LBB331_25
; %bb.22:                               ;   in Loop: Header=BB331_6 Depth=1
	v_mul_f64_e32 v[18:19], s[22:23], v[18:19]
	s_delay_alu instid0(VALU_DEP_2)
	v_lshl_add_u64 v[22:23], v[4:5], 3, v[20:21]
	s_and_not1_b32 vcc_lo, exec_lo, s18
	s_cbranch_vccnz .LBB331_30
; %bb.23:                               ;   in Loop: Header=BB331_6 Depth=1
	flat_load_b64 v[24:25], v[22:23]
	s_wait_loadcnt_dscnt 0x0
	v_fma_f64 v[24:25], s[20:21], v[24:25], v[18:19]
	flat_store_b64 v[22:23], v[24:25]
	s_cbranch_execnz .LBB331_25
.LBB331_24:                             ;   in Loop: Header=BB331_6 Depth=1
	flat_store_b64 v[22:23], v[18:19]
.LBB331_25:                             ;   in Loop: Header=BB331_6 Depth=1
	s_wait_xcnt 0x0
	s_or_b32 exec_lo, exec_lo, s24
	s_and_saveexec_b32 s24, s14
	s_cbranch_execz .LBB331_5
; %bb.26:                               ;   in Loop: Header=BB331_6 Depth=1
	s_delay_alu instid0(VALU_DEP_4)
	v_mul_f64_e32 v[16:17], s[22:23], v[16:17]
	v_lshl_add_u64 v[18:19], v[10:11], 3, v[20:21]
	s_and_not1_b32 vcc_lo, exec_lo, s18
	s_cbranch_vccnz .LBB331_31
; %bb.27:                               ;   in Loop: Header=BB331_6 Depth=1
	flat_load_b64 v[20:21], v[18:19]
	s_wait_loadcnt_dscnt 0x0
	v_fma_f64 v[20:21], s[20:21], v[20:21], v[16:17]
	flat_store_b64 v[18:19], v[20:21]
	s_cbranch_execnz .LBB331_5
	s_branch .LBB331_32
.LBB331_28:                             ;   in Loop: Header=BB331_6 Depth=1
	s_branch .LBB331_16
.LBB331_29:                             ;   in Loop: Header=BB331_6 Depth=1
	s_branch .LBB331_20
.LBB331_30:                             ;   in Loop: Header=BB331_6 Depth=1
	s_branch .LBB331_24
.LBB331_31:                             ;   in Loop: Header=BB331_6 Depth=1
.LBB331_32:                             ;   in Loop: Header=BB331_6 Depth=1
	flat_store_b64 v[18:19], v[16:17]
	s_branch .LBB331_5
.LBB331_33:
	s_endpgm
	.section	.rodata,"a",@progbits
	.p2align	6, 0x0
	.amdhsa_kernel _ZL29rocblas_internal_gemmt_kernelIiLi16ELi32ELi8ELc67ELc84ELc85ELb0ELb0EdPKdPKS1_PKPdEviT_T9_T10_S7_lS9_S7_lS8_T11_S7_li
		.amdhsa_group_segment_fixed_size 4096
		.amdhsa_private_segment_fixed_size 0
		.amdhsa_kernarg_size 100
		.amdhsa_user_sgpr_count 2
		.amdhsa_user_sgpr_dispatch_ptr 0
		.amdhsa_user_sgpr_queue_ptr 0
		.amdhsa_user_sgpr_kernarg_segment_ptr 1
		.amdhsa_user_sgpr_dispatch_id 0
		.amdhsa_user_sgpr_kernarg_preload_length 0
		.amdhsa_user_sgpr_kernarg_preload_offset 0
		.amdhsa_user_sgpr_private_segment_size 0
		.amdhsa_wavefront_size32 1
		.amdhsa_uses_dynamic_stack 0
		.amdhsa_enable_private_segment 0
		.amdhsa_system_sgpr_workgroup_id_x 1
		.amdhsa_system_sgpr_workgroup_id_y 1
		.amdhsa_system_sgpr_workgroup_id_z 1
		.amdhsa_system_sgpr_workgroup_info 0
		.amdhsa_system_vgpr_workitem_id 1
		.amdhsa_next_free_vgpr 54
		.amdhsa_next_free_sgpr 34
		.amdhsa_named_barrier_count 0
		.amdhsa_reserve_vcc 1
		.amdhsa_float_round_mode_32 0
		.amdhsa_float_round_mode_16_64 0
		.amdhsa_float_denorm_mode_32 3
		.amdhsa_float_denorm_mode_16_64 3
		.amdhsa_fp16_overflow 0
		.amdhsa_memory_ordered 1
		.amdhsa_forward_progress 1
		.amdhsa_inst_pref_size 14
		.amdhsa_round_robin_scheduling 0
		.amdhsa_exception_fp_ieee_invalid_op 0
		.amdhsa_exception_fp_denorm_src 0
		.amdhsa_exception_fp_ieee_div_zero 0
		.amdhsa_exception_fp_ieee_overflow 0
		.amdhsa_exception_fp_ieee_underflow 0
		.amdhsa_exception_fp_ieee_inexact 0
		.amdhsa_exception_int_div_zero 0
	.end_amdhsa_kernel
	.section	.text._ZL29rocblas_internal_gemmt_kernelIiLi16ELi32ELi8ELc67ELc84ELc85ELb0ELb0EdPKdPKS1_PKPdEviT_T9_T10_S7_lS9_S7_lS8_T11_S7_li,"axG",@progbits,_ZL29rocblas_internal_gemmt_kernelIiLi16ELi32ELi8ELc67ELc84ELc85ELb0ELb0EdPKdPKS1_PKPdEviT_T9_T10_S7_lS9_S7_lS8_T11_S7_li,comdat
.Lfunc_end331:
	.size	_ZL29rocblas_internal_gemmt_kernelIiLi16ELi32ELi8ELc67ELc84ELc85ELb0ELb0EdPKdPKS1_PKPdEviT_T9_T10_S7_lS9_S7_lS8_T11_S7_li, .Lfunc_end331-_ZL29rocblas_internal_gemmt_kernelIiLi16ELi32ELi8ELc67ELc84ELc85ELb0ELb0EdPKdPKS1_PKPdEviT_T9_T10_S7_lS9_S7_lS8_T11_S7_li
                                        ; -- End function
	.set _ZL29rocblas_internal_gemmt_kernelIiLi16ELi32ELi8ELc67ELc84ELc85ELb0ELb0EdPKdPKS1_PKPdEviT_T9_T10_S7_lS9_S7_lS8_T11_S7_li.num_vgpr, 54
	.set _ZL29rocblas_internal_gemmt_kernelIiLi16ELi32ELi8ELc67ELc84ELc85ELb0ELb0EdPKdPKS1_PKPdEviT_T9_T10_S7_lS9_S7_lS8_T11_S7_li.num_agpr, 0
	.set _ZL29rocblas_internal_gemmt_kernelIiLi16ELi32ELi8ELc67ELc84ELc85ELb0ELb0EdPKdPKS1_PKPdEviT_T9_T10_S7_lS9_S7_lS8_T11_S7_li.numbered_sgpr, 34
	.set _ZL29rocblas_internal_gemmt_kernelIiLi16ELi32ELi8ELc67ELc84ELc85ELb0ELb0EdPKdPKS1_PKPdEviT_T9_T10_S7_lS9_S7_lS8_T11_S7_li.num_named_barrier, 0
	.set _ZL29rocblas_internal_gemmt_kernelIiLi16ELi32ELi8ELc67ELc84ELc85ELb0ELb0EdPKdPKS1_PKPdEviT_T9_T10_S7_lS9_S7_lS8_T11_S7_li.private_seg_size, 0
	.set _ZL29rocblas_internal_gemmt_kernelIiLi16ELi32ELi8ELc67ELc84ELc85ELb0ELb0EdPKdPKS1_PKPdEviT_T9_T10_S7_lS9_S7_lS8_T11_S7_li.uses_vcc, 1
	.set _ZL29rocblas_internal_gemmt_kernelIiLi16ELi32ELi8ELc67ELc84ELc85ELb0ELb0EdPKdPKS1_PKPdEviT_T9_T10_S7_lS9_S7_lS8_T11_S7_li.uses_flat_scratch, 0
	.set _ZL29rocblas_internal_gemmt_kernelIiLi16ELi32ELi8ELc67ELc84ELc85ELb0ELb0EdPKdPKS1_PKPdEviT_T9_T10_S7_lS9_S7_lS8_T11_S7_li.has_dyn_sized_stack, 0
	.set _ZL29rocblas_internal_gemmt_kernelIiLi16ELi32ELi8ELc67ELc84ELc85ELb0ELb0EdPKdPKS1_PKPdEviT_T9_T10_S7_lS9_S7_lS8_T11_S7_li.has_recursion, 0
	.set _ZL29rocblas_internal_gemmt_kernelIiLi16ELi32ELi8ELc67ELc84ELc85ELb0ELb0EdPKdPKS1_PKPdEviT_T9_T10_S7_lS9_S7_lS8_T11_S7_li.has_indirect_call, 0
	.section	.AMDGPU.csdata,"",@progbits
; Kernel info:
; codeLenInByte = 1700
; TotalNumSgprs: 36
; NumVgprs: 54
; ScratchSize: 0
; MemoryBound: 0
; FloatMode: 240
; IeeeMode: 1
; LDSByteSize: 4096 bytes/workgroup (compile time only)
; SGPRBlocks: 0
; VGPRBlocks: 3
; NumSGPRsForWavesPerEU: 36
; NumVGPRsForWavesPerEU: 54
; NamedBarCnt: 0
; Occupancy: 16
; WaveLimiterHint : 1
; COMPUTE_PGM_RSRC2:SCRATCH_EN: 0
; COMPUTE_PGM_RSRC2:USER_SGPR: 2
; COMPUTE_PGM_RSRC2:TRAP_HANDLER: 0
; COMPUTE_PGM_RSRC2:TGID_X_EN: 1
; COMPUTE_PGM_RSRC2:TGID_Y_EN: 1
; COMPUTE_PGM_RSRC2:TGID_Z_EN: 1
; COMPUTE_PGM_RSRC2:TIDIG_COMP_CNT: 1
	.section	.text._ZL29rocblas_internal_gemmt_kernelIiLi16ELi32ELi8ELc67ELc67ELc85ELb0ELb0EdPKdPKS1_PKPdEviT_T9_T10_S7_lS9_S7_lS8_T11_S7_li,"axG",@progbits,_ZL29rocblas_internal_gemmt_kernelIiLi16ELi32ELi8ELc67ELc67ELc85ELb0ELb0EdPKdPKS1_PKPdEviT_T9_T10_S7_lS9_S7_lS8_T11_S7_li,comdat
	.globl	_ZL29rocblas_internal_gemmt_kernelIiLi16ELi32ELi8ELc67ELc67ELc85ELb0ELb0EdPKdPKS1_PKPdEviT_T9_T10_S7_lS9_S7_lS8_T11_S7_li ; -- Begin function _ZL29rocblas_internal_gemmt_kernelIiLi16ELi32ELi8ELc67ELc67ELc85ELb0ELb0EdPKdPKS1_PKPdEviT_T9_T10_S7_lS9_S7_lS8_T11_S7_li
	.p2align	8
	.type	_ZL29rocblas_internal_gemmt_kernelIiLi16ELi32ELi8ELc67ELc67ELc85ELb0ELb0EdPKdPKS1_PKPdEviT_T9_T10_S7_lS9_S7_lS8_T11_S7_li,@function
_ZL29rocblas_internal_gemmt_kernelIiLi16ELi32ELi8ELc67ELc67ELc85ELb0ELb0EdPKdPKS1_PKPdEviT_T9_T10_S7_lS9_S7_lS8_T11_S7_li: ; @_ZL29rocblas_internal_gemmt_kernelIiLi16ELi32ELi8ELc67ELc67ELc85ELb0ELb0EdPKdPKS1_PKPdEviT_T9_T10_S7_lS9_S7_lS8_T11_S7_li
; %bb.0:
	s_load_b128 s[12:15], s[0:1], 0x38
	s_wait_kmcnt 0x0
	s_load_b64 s[20:21], s[14:15], 0x0
	s_load_b128 s[4:7], s[0:1], 0x8
	s_wait_xcnt 0x0
	s_load_b64 s[14:15], s[0:1], 0x0
	s_wait_kmcnt 0x0
	s_load_b64 s[22:23], s[4:5], 0x0
	v_cmp_neq_f64_e64 s2, s[20:21], 1.0
	s_and_b32 vcc_lo, exec_lo, s2
	s_cbranch_vccnz .LBB332_2
; %bb.1:
	s_wait_kmcnt 0x0
	v_cmp_neq_f64_e64 s2, s[22:23], 0
	s_cmp_lg_u32 s15, 0
	s_cselect_b32 s3, -1, 0
	s_delay_alu instid0(SALU_CYCLE_1)
	s_and_b32 s2, s3, s2
.LBB332_2:
	s_delay_alu instid0(SALU_CYCLE_1)
	s_and_not1_b32 vcc_lo, exec_lo, s2
	s_cbranch_vccnz .LBB332_33
; %bb.3:
	s_load_b32 s19, s[0:1], 0x60
	s_bfe_u32 s2, ttmp6, 0x40014
	s_lshr_b32 s3, ttmp7, 16
	s_add_co_i32 s2, s2, 1
	s_wait_xcnt 0x0
	s_bfe_u32 s4, ttmp6, 0x40008
	s_mul_i32 s2, s3, s2
	s_getreg_b32 s28, hwreg(HW_REG_IB_STS2, 6, 4)
	s_add_co_i32 s4, s4, s2
	s_cmp_eq_u32 s28, 0
	s_mov_b32 s5, 0
	s_cselect_b32 s4, s3, s4
	s_wait_kmcnt 0x0
	s_cmp_ge_u32 s4, s19
	s_cbranch_scc1 .LBB332_33
; %bb.4:
	s_clause 0x3
	s_load_b32 s2, s[0:1], 0x18
	s_load_b32 s24, s[0:1], 0x30
	s_load_b96 s[16:18], s[0:1], 0x48
	s_load_b128 s[8:11], s[0:1], 0x20
	v_and_b32_e32 v2, 0x3ff, v0
	v_bfe_u32 v11, v0, 10, 10
	s_load_b64 s[26:27], s[0:1], 0x58
	s_wait_xcnt 0x0
	s_bfe_u32 s1, ttmp6, 0x4000c
	s_bfe_u32 s3, ttmp6, 0x40010
	s_and_b32 s30, ttmp7, 0xffff
	s_add_co_i32 s1, s1, 1
	s_add_co_i32 s3, s3, 1
	v_lshl_add_u32 v1, v11, 4, v2
	s_and_b32 s0, ttmp6, 15
	s_bfe_u32 s31, ttmp6, 0x40004
	s_mul_i32 s1, ttmp9, s1
	s_mul_i32 s33, s30, s3
	s_add_co_i32 s0, s0, s1
	s_add_co_i32 s31, s31, s33
	v_dual_lshrrev_b32 v34, 5, v1 :: v_dual_bitop2_b32 v6, 31, v1 bitop3:0x40
	s_wait_kmcnt 0x0
	s_ashr_i32 s3, s2, 31
	s_ashr_i32 s25, s24, 31
	;; [unrolled: 1-line block ×3, first 2 shown]
	s_cmp_eq_u32 s28, 0
	v_dual_mov_b32 v3, 0 :: v_dual_bitop2_b32 v0, 7, v0 bitop3:0x40
	s_cselect_b32 s0, ttmp9, s0
	s_cselect_b32 s1, s30, s31
	s_lshl_b32 s30, s0, 5
	s_delay_alu instid0(SALU_CYCLE_1) | instskip(SKIP_1) | instid1(SALU_CYCLE_1)
	v_dual_lshrrev_b32 v7, 3, v1 :: v_dual_bitop2_b32 v4, s30, v6 bitop3:0x54
	s_lshl_b32 s0, s1, 5
	v_dual_mov_b32 v1, v3 :: v_dual_add_nc_u32 v12, s0, v11
	s_delay_alu instid0(VALU_DEP_2) | instskip(SKIP_1) | instid1(VALU_DEP_3)
	v_dual_add_nc_u32 v14, s0, v7 :: v_dual_ashrrev_i32 v5, 31, v4
	v_cmp_gt_i32_e64 s0, s14, v4
	v_mul_u64_e32 v[18:19], s[24:25], v[0:1]
	s_delay_alu instid0(VALU_DEP_4) | instskip(SKIP_3) | instid1(VALU_DEP_4)
	v_add_nc_u32_e32 v20, 16, v12
	v_lshlrev_b32_e32 v1, 3, v0
	v_mul_u64_e32 v[16:17], s[2:3], v[4:5]
	v_dual_lshlrev_b32 v5, 3, v6 :: v_dual_ashrrev_i32 v13, 31, v12
	v_dual_ashrrev_i32 v21, 31, v20 :: v_dual_lshlrev_b32 v36, 3, v2
	v_add_nc_u32_e32 v4, s30, v2
	v_lshl_or_b32 v15, v7, 6, v1
	s_mov_b32 s28, s18
	v_cmp_neq_f64_e64 s31, s[22:23], 0
	v_cmp_neq_f64_e64 s18, s[20:21], 0
	v_mul_u64_e32 v[8:9], s[28:29], v[20:21]
	v_add_nc_u32_e32 v35, 0x800, v15
	v_ashrrev_i32_e32 v15, 31, v14
	v_mul_u64_e32 v[6:7], s[28:29], v[12:13]
	v_add_nc_u32_e32 v10, 16, v4
	v_lshl_or_b32 v1, v34, 8, v5
	v_cmp_gt_i32_e32 vcc_lo, s14, v12
	v_cmp_le_i32_e64 s2, v4, v12
	v_ashrrev_i32_e32 v5, 31, v4
	v_cmp_le_i32_e64 s3, v10, v12
	s_cmp_gt_i32 s15, 0
	v_lshlrev_b32_e32 v2, 3, v34
	s_cselect_b32 s33, -1, 0
	s_lshl_b64 s[8:9], s[8:9], 3
	s_and_b32 s28, vcc_lo, s2
	s_and_b32 s29, vcc_lo, s3
	v_cmp_gt_i32_e32 vcc_lo, s14, v20
	v_cmp_le_i32_e64 s2, v4, v20
	v_cmp_gt_i32_e64 s1, s14, v14
	v_lshl_add_u32 v37, v11, 6, 0x800
	v_ashrrev_i32_e32 v11, 31, v10
	v_lshl_add_u64 v[12:13], v[16:17], 3, s[8:9]
	s_lshl_b64 s[8:9], s[12:13], 3
	s_and_b32 s12, vcc_lo, s2
	v_lshl_add_u64 v[16:17], v[18:19], 3, s[8:9]
	v_cmp_le_i32_e64 s2, v10, v20
	v_add_nc_u64_e32 v[12:13], v[12:13], v[2:3]
	s_lshl_b64 s[8:9], s[26:27], 3
	v_lshl_add_u64 v[14:15], v[14:15], 3, v[16:17]
	s_and_b32 s13, s31, s33
	s_and_b32 s14, vcc_lo, s2
	s_lshl_b64 s[2:3], s[24:25], 6
	s_branch .LBB332_6
.LBB332_5:                              ;   in Loop: Header=BB332_6 Depth=1
	s_wait_xcnt 0x0
	s_or_b32 exec_lo, exec_lo, s24
	s_add_co_i32 s4, s4, 0x10000
	s_delay_alu instid0(SALU_CYCLE_1)
	s_cmp_lt_u32 s4, s19
	s_cbranch_scc0 .LBB332_33
.LBB332_6:                              ; =>This Loop Header: Depth=1
                                        ;     Child Loop BB332_9 Depth 2
	v_mov_b32_e32 v2, s4
	v_mov_b64_e32 v[24:25], 0
	v_mov_b64_e32 v[20:21], 0
	;; [unrolled: 1-line block ×4, first 2 shown]
	global_load_b64 v[22:23], v2, s[16:17] scale_offset
	s_and_not1_b32 vcc_lo, exec_lo, s13
	s_cbranch_vccnz .LBB332_13
; %bb.7:                                ;   in Loop: Header=BB332_6 Depth=1
	s_lshl_b64 s[24:25], s[4:5], 3
	v_mov_b64_e32 v[16:17], 0
	s_add_nc_u64 s[26:27], s[6:7], s[24:25]
	s_add_nc_u64 s[24:25], s[10:11], s[24:25]
	s_clause 0x1
	global_load_b64 v[24:25], v3, s[26:27]
	global_load_b64 v[28:29], v3, s[24:25]
	v_mov_b64_e32 v[18:19], 0
	v_mov_b64_e32 v[20:21], 0
	s_wait_xcnt 0x0
	s_mov_b32 s24, 0
	s_wait_loadcnt 0x1
	v_add_nc_u64_e32 v[26:27], v[24:25], v[12:13]
	s_wait_loadcnt 0x0
	v_add_nc_u64_e32 v[28:29], v[28:29], v[14:15]
	v_mov_b64_e32 v[24:25], 0
	s_branch .LBB332_9
.LBB332_8:                              ;   in Loop: Header=BB332_9 Depth=2
	s_wait_xcnt 0x0
	s_or_b32 exec_lo, exec_lo, s25
	s_wait_loadcnt_dscnt 0x0
	ds_store_b64 v35, v[32:33]
	s_wait_dscnt 0x0
	s_barrier_signal -1
	s_barrier_wait -1
	ds_load_b128 v[30:33], v37
	ds_load_2addr_b64 v[38:41], v36 offset1:16
	ds_load_b128 v[42:45], v37 offset:1024
	ds_load_b128 v[46:49], v37 offset:16
	ds_load_b128 v[50:53], v37 offset:1040
	v_add_nc_u64_e32 v[26:27], 64, v[26:27]
	v_add_nc_u64_e32 v[28:29], s[2:3], v[28:29]
	s_add_co_i32 s24, s24, 8
	s_delay_alu instid0(SALU_CYCLE_1)
	s_cmp_lt_i32 s24, s15
	s_wait_dscnt 0x3
	v_fmac_f64_e32 v[24:25], v[38:39], v[30:31]
	v_fmac_f64_e32 v[20:21], v[40:41], v[30:31]
	s_wait_dscnt 0x2
	v_fmac_f64_e32 v[18:19], v[38:39], v[42:43]
	v_fmac_f64_e32 v[16:17], v[40:41], v[42:43]
	ds_load_2addr_b64 v[38:41], v36 offset0:32 offset1:48
	s_wait_dscnt 0x0
	v_fmac_f64_e32 v[24:25], v[38:39], v[32:33]
	v_fmac_f64_e32 v[20:21], v[40:41], v[32:33]
	v_fmac_f64_e32 v[18:19], v[38:39], v[44:45]
	v_fmac_f64_e32 v[16:17], v[40:41], v[44:45]
	ds_load_2addr_b64 v[30:33], v36 offset0:64 offset1:80
	s_wait_dscnt 0x0
	v_fmac_f64_e32 v[24:25], v[30:31], v[46:47]
	v_fmac_f64_e32 v[20:21], v[32:33], v[46:47]
	;; [unrolled: 6-line block ×3, first 2 shown]
	v_fmac_f64_e32 v[18:19], v[30:31], v[52:53]
	v_fmac_f64_e32 v[16:17], v[32:33], v[52:53]
	ds_load_b128 v[30:33], v37 offset:32
	ds_load_2addr_b64 v[38:41], v36 offset0:128 offset1:144
	ds_load_b128 v[42:45], v37 offset:1056
	ds_load_b128 v[46:49], v37 offset:48
	;; [unrolled: 1-line block ×3, first 2 shown]
	s_wait_dscnt 0x3
	v_fmac_f64_e32 v[24:25], v[38:39], v[30:31]
	v_fmac_f64_e32 v[20:21], v[40:41], v[30:31]
	s_wait_dscnt 0x2
	v_fmac_f64_e32 v[18:19], v[38:39], v[42:43]
	v_fmac_f64_e32 v[16:17], v[40:41], v[42:43]
	ds_load_2addr_b64 v[38:41], v36 offset0:160 offset1:176
	s_wait_dscnt 0x0
	v_fmac_f64_e32 v[24:25], v[38:39], v[32:33]
	v_fmac_f64_e32 v[20:21], v[40:41], v[32:33]
	;; [unrolled: 1-line block ×4, first 2 shown]
	ds_load_2addr_b64 v[30:33], v36 offset0:192 offset1:208
	s_wait_dscnt 0x0
	v_fmac_f64_e32 v[24:25], v[30:31], v[46:47]
	v_fmac_f64_e32 v[20:21], v[32:33], v[46:47]
	;; [unrolled: 1-line block ×4, first 2 shown]
	ds_load_2addr_b64 v[30:33], v36 offset0:224 offset1:240
	s_wait_dscnt 0x0
	s_barrier_signal -1
	s_barrier_wait -1
	v_fmac_f64_e32 v[24:25], v[30:31], v[48:49]
	v_fmac_f64_e32 v[20:21], v[32:33], v[48:49]
	v_fmac_f64_e32 v[18:19], v[30:31], v[52:53]
	v_fmac_f64_e32 v[16:17], v[32:33], v[52:53]
	s_cbranch_scc0 .LBB332_13
.LBB332_9:                              ;   Parent Loop BB332_6 Depth=1
                                        ; =>  This Inner Loop Header: Depth=2
	v_add_nc_u32_e32 v2, s24, v34
	v_mov_b64_e32 v[30:31], 0
	s_delay_alu instid0(VALU_DEP_2) | instskip(SKIP_1) | instid1(SALU_CYCLE_1)
	v_cmp_gt_i32_e32 vcc_lo, s15, v2
	s_and_b32 s26, s0, vcc_lo
	s_and_saveexec_b32 s25, s26
	s_cbranch_execz .LBB332_11
; %bb.10:                               ;   in Loop: Header=BB332_9 Depth=2
	flat_load_b64 v[30:31], v[26:27]
.LBB332_11:                             ;   in Loop: Header=BB332_9 Depth=2
	s_wait_xcnt 0x0
	s_or_b32 exec_lo, exec_lo, s25
	v_add_nc_u32_e32 v2, s24, v0
	v_mov_b64_e32 v[32:33], 0
	s_wait_loadcnt_dscnt 0x0
	ds_store_b64 v1, v[30:31]
	v_cmp_gt_i32_e32 vcc_lo, s15, v2
	s_and_b32 s26, vcc_lo, s1
	s_delay_alu instid0(SALU_CYCLE_1)
	s_and_saveexec_b32 s25, s26
	s_cbranch_execz .LBB332_8
; %bb.12:                               ;   in Loop: Header=BB332_9 Depth=2
	flat_load_b64 v[32:33], v[28:29]
	s_branch .LBB332_8
.LBB332_13:                             ;   in Loop: Header=BB332_6 Depth=1
	s_wait_loadcnt 0x0
	v_add_nc_u64_e32 v[22:23], s[8:9], v[22:23]
	s_delay_alu instid0(VALU_DEP_1)
	v_lshl_add_u64 v[26:27], v[6:7], 3, v[22:23]
	s_wait_xcnt 0x0
	s_and_saveexec_b32 s24, s28
	s_cbranch_execz .LBB332_17
; %bb.14:                               ;   in Loop: Header=BB332_6 Depth=1
	v_mul_f64_e32 v[24:25], s[22:23], v[24:25]
	v_lshl_add_u64 v[28:29], v[4:5], 3, v[26:27]
	s_and_b32 vcc_lo, exec_lo, s18
	s_cbranch_vccz .LBB332_28
; %bb.15:                               ;   in Loop: Header=BB332_6 Depth=1
	flat_load_b64 v[30:31], v[28:29]
	s_wait_loadcnt_dscnt 0x0
	v_fma_f64 v[30:31], s[20:21], v[30:31], v[24:25]
	flat_store_b64 v[28:29], v[30:31]
	s_cbranch_execnz .LBB332_17
.LBB332_16:                             ;   in Loop: Header=BB332_6 Depth=1
	flat_store_b64 v[28:29], v[24:25]
.LBB332_17:                             ;   in Loop: Header=BB332_6 Depth=1
	s_wait_xcnt 0x0
	s_or_b32 exec_lo, exec_lo, s24
	s_and_saveexec_b32 s24, s29
	s_cbranch_execz .LBB332_21
; %bb.18:                               ;   in Loop: Header=BB332_6 Depth=1
	v_mul_f64_e32 v[20:21], s[22:23], v[20:21]
	v_lshl_add_u64 v[24:25], v[10:11], 3, v[26:27]
	s_and_not1_b32 vcc_lo, exec_lo, s18
	s_cbranch_vccnz .LBB332_29
; %bb.19:                               ;   in Loop: Header=BB332_6 Depth=1
	flat_load_b64 v[26:27], v[24:25]
	s_wait_loadcnt_dscnt 0x0
	v_fma_f64 v[26:27], s[20:21], v[26:27], v[20:21]
	flat_store_b64 v[24:25], v[26:27]
	s_cbranch_execnz .LBB332_21
.LBB332_20:                             ;   in Loop: Header=BB332_6 Depth=1
	flat_store_b64 v[24:25], v[20:21]
.LBB332_21:                             ;   in Loop: Header=BB332_6 Depth=1
	s_wait_xcnt 0x0
	s_or_b32 exec_lo, exec_lo, s24
	v_lshl_add_u64 v[20:21], v[8:9], 3, v[22:23]
	s_and_saveexec_b32 s24, s12
	s_cbranch_execz .LBB332_25
; %bb.22:                               ;   in Loop: Header=BB332_6 Depth=1
	v_mul_f64_e32 v[18:19], s[22:23], v[18:19]
	s_delay_alu instid0(VALU_DEP_2)
	v_lshl_add_u64 v[22:23], v[4:5], 3, v[20:21]
	s_and_not1_b32 vcc_lo, exec_lo, s18
	s_cbranch_vccnz .LBB332_30
; %bb.23:                               ;   in Loop: Header=BB332_6 Depth=1
	flat_load_b64 v[24:25], v[22:23]
	s_wait_loadcnt_dscnt 0x0
	v_fma_f64 v[24:25], s[20:21], v[24:25], v[18:19]
	flat_store_b64 v[22:23], v[24:25]
	s_cbranch_execnz .LBB332_25
.LBB332_24:                             ;   in Loop: Header=BB332_6 Depth=1
	flat_store_b64 v[22:23], v[18:19]
.LBB332_25:                             ;   in Loop: Header=BB332_6 Depth=1
	s_wait_xcnt 0x0
	s_or_b32 exec_lo, exec_lo, s24
	s_and_saveexec_b32 s24, s14
	s_cbranch_execz .LBB332_5
; %bb.26:                               ;   in Loop: Header=BB332_6 Depth=1
	s_delay_alu instid0(VALU_DEP_4)
	v_mul_f64_e32 v[16:17], s[22:23], v[16:17]
	v_lshl_add_u64 v[18:19], v[10:11], 3, v[20:21]
	s_and_not1_b32 vcc_lo, exec_lo, s18
	s_cbranch_vccnz .LBB332_31
; %bb.27:                               ;   in Loop: Header=BB332_6 Depth=1
	flat_load_b64 v[20:21], v[18:19]
	s_wait_loadcnt_dscnt 0x0
	v_fma_f64 v[20:21], s[20:21], v[20:21], v[16:17]
	flat_store_b64 v[18:19], v[20:21]
	s_cbranch_execnz .LBB332_5
	s_branch .LBB332_32
.LBB332_28:                             ;   in Loop: Header=BB332_6 Depth=1
	s_branch .LBB332_16
.LBB332_29:                             ;   in Loop: Header=BB332_6 Depth=1
	s_branch .LBB332_20
.LBB332_30:                             ;   in Loop: Header=BB332_6 Depth=1
	s_branch .LBB332_24
.LBB332_31:                             ;   in Loop: Header=BB332_6 Depth=1
.LBB332_32:                             ;   in Loop: Header=BB332_6 Depth=1
	flat_store_b64 v[18:19], v[16:17]
	s_branch .LBB332_5
.LBB332_33:
	s_endpgm
	.section	.rodata,"a",@progbits
	.p2align	6, 0x0
	.amdhsa_kernel _ZL29rocblas_internal_gemmt_kernelIiLi16ELi32ELi8ELc67ELc67ELc85ELb0ELb0EdPKdPKS1_PKPdEviT_T9_T10_S7_lS9_S7_lS8_T11_S7_li
		.amdhsa_group_segment_fixed_size 4096
		.amdhsa_private_segment_fixed_size 0
		.amdhsa_kernarg_size 100
		.amdhsa_user_sgpr_count 2
		.amdhsa_user_sgpr_dispatch_ptr 0
		.amdhsa_user_sgpr_queue_ptr 0
		.amdhsa_user_sgpr_kernarg_segment_ptr 1
		.amdhsa_user_sgpr_dispatch_id 0
		.amdhsa_user_sgpr_kernarg_preload_length 0
		.amdhsa_user_sgpr_kernarg_preload_offset 0
		.amdhsa_user_sgpr_private_segment_size 0
		.amdhsa_wavefront_size32 1
		.amdhsa_uses_dynamic_stack 0
		.amdhsa_enable_private_segment 0
		.amdhsa_system_sgpr_workgroup_id_x 1
		.amdhsa_system_sgpr_workgroup_id_y 1
		.amdhsa_system_sgpr_workgroup_id_z 1
		.amdhsa_system_sgpr_workgroup_info 0
		.amdhsa_system_vgpr_workitem_id 1
		.amdhsa_next_free_vgpr 54
		.amdhsa_next_free_sgpr 34
		.amdhsa_named_barrier_count 0
		.amdhsa_reserve_vcc 1
		.amdhsa_float_round_mode_32 0
		.amdhsa_float_round_mode_16_64 0
		.amdhsa_float_denorm_mode_32 3
		.amdhsa_float_denorm_mode_16_64 3
		.amdhsa_fp16_overflow 0
		.amdhsa_memory_ordered 1
		.amdhsa_forward_progress 1
		.amdhsa_inst_pref_size 14
		.amdhsa_round_robin_scheduling 0
		.amdhsa_exception_fp_ieee_invalid_op 0
		.amdhsa_exception_fp_denorm_src 0
		.amdhsa_exception_fp_ieee_div_zero 0
		.amdhsa_exception_fp_ieee_overflow 0
		.amdhsa_exception_fp_ieee_underflow 0
		.amdhsa_exception_fp_ieee_inexact 0
		.amdhsa_exception_int_div_zero 0
	.end_amdhsa_kernel
	.section	.text._ZL29rocblas_internal_gemmt_kernelIiLi16ELi32ELi8ELc67ELc67ELc85ELb0ELb0EdPKdPKS1_PKPdEviT_T9_T10_S7_lS9_S7_lS8_T11_S7_li,"axG",@progbits,_ZL29rocblas_internal_gemmt_kernelIiLi16ELi32ELi8ELc67ELc67ELc85ELb0ELb0EdPKdPKS1_PKPdEviT_T9_T10_S7_lS9_S7_lS8_T11_S7_li,comdat
.Lfunc_end332:
	.size	_ZL29rocblas_internal_gemmt_kernelIiLi16ELi32ELi8ELc67ELc67ELc85ELb0ELb0EdPKdPKS1_PKPdEviT_T9_T10_S7_lS9_S7_lS8_T11_S7_li, .Lfunc_end332-_ZL29rocblas_internal_gemmt_kernelIiLi16ELi32ELi8ELc67ELc67ELc85ELb0ELb0EdPKdPKS1_PKPdEviT_T9_T10_S7_lS9_S7_lS8_T11_S7_li
                                        ; -- End function
	.set _ZL29rocblas_internal_gemmt_kernelIiLi16ELi32ELi8ELc67ELc67ELc85ELb0ELb0EdPKdPKS1_PKPdEviT_T9_T10_S7_lS9_S7_lS8_T11_S7_li.num_vgpr, 54
	.set _ZL29rocblas_internal_gemmt_kernelIiLi16ELi32ELi8ELc67ELc67ELc85ELb0ELb0EdPKdPKS1_PKPdEviT_T9_T10_S7_lS9_S7_lS8_T11_S7_li.num_agpr, 0
	.set _ZL29rocblas_internal_gemmt_kernelIiLi16ELi32ELi8ELc67ELc67ELc85ELb0ELb0EdPKdPKS1_PKPdEviT_T9_T10_S7_lS9_S7_lS8_T11_S7_li.numbered_sgpr, 34
	.set _ZL29rocblas_internal_gemmt_kernelIiLi16ELi32ELi8ELc67ELc67ELc85ELb0ELb0EdPKdPKS1_PKPdEviT_T9_T10_S7_lS9_S7_lS8_T11_S7_li.num_named_barrier, 0
	.set _ZL29rocblas_internal_gemmt_kernelIiLi16ELi32ELi8ELc67ELc67ELc85ELb0ELb0EdPKdPKS1_PKPdEviT_T9_T10_S7_lS9_S7_lS8_T11_S7_li.private_seg_size, 0
	.set _ZL29rocblas_internal_gemmt_kernelIiLi16ELi32ELi8ELc67ELc67ELc85ELb0ELb0EdPKdPKS1_PKPdEviT_T9_T10_S7_lS9_S7_lS8_T11_S7_li.uses_vcc, 1
	.set _ZL29rocblas_internal_gemmt_kernelIiLi16ELi32ELi8ELc67ELc67ELc85ELb0ELb0EdPKdPKS1_PKPdEviT_T9_T10_S7_lS9_S7_lS8_T11_S7_li.uses_flat_scratch, 0
	.set _ZL29rocblas_internal_gemmt_kernelIiLi16ELi32ELi8ELc67ELc67ELc85ELb0ELb0EdPKdPKS1_PKPdEviT_T9_T10_S7_lS9_S7_lS8_T11_S7_li.has_dyn_sized_stack, 0
	.set _ZL29rocblas_internal_gemmt_kernelIiLi16ELi32ELi8ELc67ELc67ELc85ELb0ELb0EdPKdPKS1_PKPdEviT_T9_T10_S7_lS9_S7_lS8_T11_S7_li.has_recursion, 0
	.set _ZL29rocblas_internal_gemmt_kernelIiLi16ELi32ELi8ELc67ELc67ELc85ELb0ELb0EdPKdPKS1_PKPdEviT_T9_T10_S7_lS9_S7_lS8_T11_S7_li.has_indirect_call, 0
	.section	.AMDGPU.csdata,"",@progbits
; Kernel info:
; codeLenInByte = 1700
; TotalNumSgprs: 36
; NumVgprs: 54
; ScratchSize: 0
; MemoryBound: 0
; FloatMode: 240
; IeeeMode: 1
; LDSByteSize: 4096 bytes/workgroup (compile time only)
; SGPRBlocks: 0
; VGPRBlocks: 3
; NumSGPRsForWavesPerEU: 36
; NumVGPRsForWavesPerEU: 54
; NamedBarCnt: 0
; Occupancy: 16
; WaveLimiterHint : 1
; COMPUTE_PGM_RSRC2:SCRATCH_EN: 0
; COMPUTE_PGM_RSRC2:USER_SGPR: 2
; COMPUTE_PGM_RSRC2:TRAP_HANDLER: 0
; COMPUTE_PGM_RSRC2:TGID_X_EN: 1
; COMPUTE_PGM_RSRC2:TGID_Y_EN: 1
; COMPUTE_PGM_RSRC2:TGID_Z_EN: 1
; COMPUTE_PGM_RSRC2:TIDIG_COMP_CNT: 1
	.section	.text._ZL29rocblas_internal_gemmt_kernelIiLi16ELi32ELi8ELc78ELc78ELc76ELb0ELb0EdPKdPKS1_PKPdEviT_T9_T10_S7_lS9_S7_lS8_T11_S7_li,"axG",@progbits,_ZL29rocblas_internal_gemmt_kernelIiLi16ELi32ELi8ELc78ELc78ELc76ELb0ELb0EdPKdPKS1_PKPdEviT_T9_T10_S7_lS9_S7_lS8_T11_S7_li,comdat
	.globl	_ZL29rocblas_internal_gemmt_kernelIiLi16ELi32ELi8ELc78ELc78ELc76ELb0ELb0EdPKdPKS1_PKPdEviT_T9_T10_S7_lS9_S7_lS8_T11_S7_li ; -- Begin function _ZL29rocblas_internal_gemmt_kernelIiLi16ELi32ELi8ELc78ELc78ELc76ELb0ELb0EdPKdPKS1_PKPdEviT_T9_T10_S7_lS9_S7_lS8_T11_S7_li
	.p2align	8
	.type	_ZL29rocblas_internal_gemmt_kernelIiLi16ELi32ELi8ELc78ELc78ELc76ELb0ELb0EdPKdPKS1_PKPdEviT_T9_T10_S7_lS9_S7_lS8_T11_S7_li,@function
_ZL29rocblas_internal_gemmt_kernelIiLi16ELi32ELi8ELc78ELc78ELc76ELb0ELb0EdPKdPKS1_PKPdEviT_T9_T10_S7_lS9_S7_lS8_T11_S7_li: ; @_ZL29rocblas_internal_gemmt_kernelIiLi16ELi32ELi8ELc78ELc78ELc76ELb0ELb0EdPKdPKS1_PKPdEviT_T9_T10_S7_lS9_S7_lS8_T11_S7_li
; %bb.0:
	s_load_b128 s[12:15], s[0:1], 0x38
	s_wait_kmcnt 0x0
	s_load_b64 s[20:21], s[14:15], 0x0
	s_load_b128 s[4:7], s[0:1], 0x8
	s_wait_xcnt 0x0
	s_load_b64 s[14:15], s[0:1], 0x0
	s_wait_kmcnt 0x0
	s_load_b64 s[22:23], s[4:5], 0x0
	v_cmp_neq_f64_e64 s2, s[20:21], 1.0
	s_and_b32 vcc_lo, exec_lo, s2
	s_cbranch_vccnz .LBB333_2
; %bb.1:
	s_wait_kmcnt 0x0
	v_cmp_neq_f64_e64 s2, s[22:23], 0
	s_cmp_lg_u32 s15, 0
	s_cselect_b32 s3, -1, 0
	s_delay_alu instid0(SALU_CYCLE_1)
	s_and_b32 s2, s3, s2
.LBB333_2:
	s_delay_alu instid0(SALU_CYCLE_1)
	s_and_not1_b32 vcc_lo, exec_lo, s2
	s_cbranch_vccnz .LBB333_33
; %bb.3:
	s_load_b32 s19, s[0:1], 0x60
	s_bfe_u32 s2, ttmp6, 0x40014
	s_lshr_b32 s3, ttmp7, 16
	s_add_co_i32 s2, s2, 1
	s_wait_xcnt 0x0
	s_bfe_u32 s5, ttmp6, 0x40008
	s_mul_i32 s2, s3, s2
	s_getreg_b32 s4, hwreg(HW_REG_IB_STS2, 6, 4)
	s_add_co_i32 s5, s5, s2
	s_cmp_eq_u32 s4, 0
	s_mov_b32 s25, 0
	s_cselect_b32 s24, s3, s5
	s_wait_kmcnt 0x0
	s_cmp_ge_u32 s24, s19
	s_cbranch_scc1 .LBB333_33
; %bb.4:
	s_clause 0x3
	s_load_b32 s26, s[0:1], 0x18
	s_load_b32 s2, s[0:1], 0x30
	s_load_b96 s[16:18], s[0:1], 0x48
	s_load_b128 s[8:11], s[0:1], 0x20
	v_and_b32_e32 v1, 0x3ff, v0
	v_bfe_u32 v9, v0, 10, 10
	s_load_b64 s[28:29], s[0:1], 0x58
	s_wait_xcnt 0x0
	s_bfe_u32 s1, ttmp6, 0x4000c
	s_bfe_u32 s3, ttmp6, 0x40010
	s_and_b32 s30, ttmp7, 0xffff
	s_add_co_i32 s1, s1, 1
	s_add_co_i32 s3, s3, 1
	v_lshl_add_u32 v3, v9, 4, v1
	s_and_b32 s0, ttmp6, 15
	s_bfe_u32 s31, ttmp6, 0x40004
	s_mul_i32 s1, ttmp9, s1
	s_mul_i32 s33, s30, s3
	s_add_co_i32 s0, s0, s1
	s_add_co_i32 s31, s31, s33
	v_dual_lshrrev_b32 v2, 5, v3 :: v_dual_lshrrev_b32 v4, 3, v3
	s_wait_kmcnt 0x0
	s_ashr_i32 s27, s26, 31
	s_ashr_i32 s3, s2, 31
	;; [unrolled: 1-line block ×3, first 2 shown]
	s_cmp_eq_u32 s4, 0
	v_and_b32_e32 v32, 7, v0
	s_cselect_b32 s1, s30, s31
	s_cselect_b32 s0, ttmp9, s0
	s_lshl_b32 s1, s1, 5
	s_delay_alu instid0(SALU_CYCLE_1)
	v_dual_add_nc_u32 v10, s1, v4 :: v_dual_bitop2_b32 v0, 31, v3 bitop3:0x40
	v_mov_b32_e32 v3, 0
	s_mov_b32 s4, s18
	s_lshl_b32 s18, s0, 5
	v_dual_add_nc_u32 v16, s1, v9 :: v_dual_lshlrev_b32 v22, 3, v32
	v_dual_ashrrev_i32 v11, 31, v10 :: v_dual_bitop2_b32 v12, s18, v0 bitop3:0x54
	v_mul_u64_e32 v[14:15], s[26:27], v[2:3]
	s_delay_alu instid0(VALU_DEP_3) | instskip(NEXT) | instid1(VALU_DEP_3)
	v_dual_add_nc_u32 v20, 16, v16 :: v_dual_ashrrev_i32 v17, 31, v16
	v_mul_u64_e32 v[18:19], s[2:3], v[10:11]
	v_cmp_neq_f64_e64 s31, s[22:23], 0
	v_dual_lshlrev_b32 v8, 3, v0 :: v_dual_add_nc_u32 v0, s18, v1
	s_delay_alu instid0(VALU_DEP_4) | instskip(SKIP_3) | instid1(VALU_DEP_4)
	v_dual_ashrrev_i32 v21, 31, v20 :: v_dual_lshlrev_b32 v35, 3, v1
	v_lshl_or_b32 v11, v4, 6, v22
	v_cmp_neq_f64_e64 s18, s[20:21], 0
	v_mul_u64_e32 v[4:5], s[4:5], v[16:17]
	v_mul_u64_e32 v[6:7], s[4:5], v[20:21]
	s_cmp_gt_i32 s15, 0
	v_lshl_or_b32 v33, v2, 8, v8
	v_dual_add_nc_u32 v8, 16, v0 :: v_dual_ashrrev_i32 v1, 31, v0
	v_cmp_le_i32_e32 vcc_lo, v16, v0
	v_cmp_gt_i32_e64 s2, s14, v0
	s_cselect_b32 s33, -1, 0
	s_lshl_b64 s[8:9], s[8:9], 3
	v_cmp_gt_i32_e64 s1, s14, v10
	v_dual_mov_b32 v23, v3 :: v_dual_add_nc_u32 v34, 0x800, v11
	v_cmp_gt_i32_e64 s0, s14, v12
	v_cmp_gt_i32_e64 s4, s14, v8
	s_and_b32 s14, vcc_lo, s2
	v_cmp_le_i32_e32 vcc_lo, v20, v0
	v_ashrrev_i32_e32 v13, 31, v12
	v_cmp_le_i32_e64 s3, v16, v8
	v_lshl_add_u32 v36, v9, 6, 0x800
	v_ashrrev_i32_e32 v9, 31, v8
	v_lshl_add_u64 v[10:11], v[14:15], 3, s[8:9]
	s_lshl_b64 s[8:9], s[12:13], 3
	s_and_b32 s30, s3, s4
	v_lshl_add_u64 v[14:15], v[18:19], 3, s[8:9]
	s_and_b32 s8, vcc_lo, s2
	v_cmp_le_i32_e32 vcc_lo, v20, v8
	v_lshl_add_u64 v[10:11], v[12:13], 3, v[10:11]
	s_and_b32 s9, s31, s33
	v_add_nc_u64_e32 v[12:13], v[14:15], v[22:23]
	s_lshl_b64 s[2:3], s[26:27], 6
	s_and_b32 s12, vcc_lo, s4
	s_lshl_b64 s[4:5], s[28:29], 3
	s_branch .LBB333_6
.LBB333_5:                              ;   in Loop: Header=BB333_6 Depth=1
	s_wait_xcnt 0x0
	s_or_b32 exec_lo, exec_lo, s13
	s_add_co_i32 s24, s24, 0x10000
	s_delay_alu instid0(SALU_CYCLE_1)
	s_cmp_lt_u32 s24, s19
	s_cbranch_scc0 .LBB333_33
.LBB333_6:                              ; =>This Loop Header: Depth=1
                                        ;     Child Loop BB333_9 Depth 2
	v_mov_b32_e32 v14, s24
	v_mov_b64_e32 v[22:23], 0
	v_mov_b64_e32 v[18:19], 0
	;; [unrolled: 1-line block ×3, first 2 shown]
	s_and_not1_b32 vcc_lo, exec_lo, s9
	global_load_b64 v[20:21], v14, s[16:17] scale_offset
	s_wait_xcnt 0x0
	v_mov_b64_e32 v[14:15], 0
	s_cbranch_vccnz .LBB333_13
; %bb.7:                                ;   in Loop: Header=BB333_6 Depth=1
	s_lshl_b64 s[26:27], s[24:25], 3
	v_mov_b64_e32 v[14:15], 0
	s_add_nc_u64 s[28:29], s[6:7], s[26:27]
	s_add_nc_u64 s[26:27], s[10:11], s[26:27]
	s_clause 0x1
	global_load_b64 v[22:23], v3, s[28:29]
	global_load_b64 v[26:27], v3, s[26:27]
	v_mov_b64_e32 v[16:17], 0
	v_mov_b64_e32 v[18:19], 0
	s_mov_b32 s13, 0
	s_wait_loadcnt 0x1
	v_add_nc_u64_e32 v[24:25], v[22:23], v[10:11]
	s_wait_loadcnt 0x0
	v_add_nc_u64_e32 v[26:27], v[26:27], v[12:13]
	v_mov_b64_e32 v[22:23], 0
	s_branch .LBB333_9
.LBB333_8:                              ;   in Loop: Header=BB333_9 Depth=2
	s_wait_xcnt 0x0
	s_or_b32 exec_lo, exec_lo, s26
	s_wait_loadcnt_dscnt 0x0
	ds_store_b64 v34, v[30:31]
	s_wait_dscnt 0x0
	s_barrier_signal -1
	s_barrier_wait -1
	ds_load_b128 v[28:31], v36
	ds_load_2addr_b64 v[38:41], v35 offset1:16
	ds_load_b128 v[42:45], v36 offset:1024
	ds_load_b128 v[46:49], v36 offset:16
	;; [unrolled: 1-line block ×3, first 2 shown]
	v_add_nc_u64_e32 v[24:25], s[2:3], v[24:25]
	v_add_nc_u64_e32 v[26:27], 64, v[26:27]
	s_add_co_i32 s13, s13, 8
	s_delay_alu instid0(SALU_CYCLE_1)
	s_cmp_lt_i32 s13, s15
	s_wait_dscnt 0x3
	v_fmac_f64_e32 v[22:23], v[38:39], v[28:29]
	v_fmac_f64_e32 v[18:19], v[40:41], v[28:29]
	s_wait_dscnt 0x2
	v_fmac_f64_e32 v[16:17], v[38:39], v[42:43]
	v_fmac_f64_e32 v[14:15], v[40:41], v[42:43]
	ds_load_2addr_b64 v[38:41], v35 offset0:32 offset1:48
	s_wait_dscnt 0x0
	v_fmac_f64_e32 v[22:23], v[38:39], v[30:31]
	v_fmac_f64_e32 v[18:19], v[40:41], v[30:31]
	v_fmac_f64_e32 v[16:17], v[38:39], v[44:45]
	v_fmac_f64_e32 v[14:15], v[40:41], v[44:45]
	ds_load_2addr_b64 v[28:31], v35 offset0:64 offset1:80
	s_wait_dscnt 0x0
	v_fmac_f64_e32 v[22:23], v[28:29], v[46:47]
	v_fmac_f64_e32 v[18:19], v[30:31], v[46:47]
	;; [unrolled: 6-line block ×3, first 2 shown]
	v_fmac_f64_e32 v[16:17], v[28:29], v[52:53]
	v_fmac_f64_e32 v[14:15], v[30:31], v[52:53]
	ds_load_b128 v[28:31], v36 offset:32
	ds_load_2addr_b64 v[38:41], v35 offset0:128 offset1:144
	ds_load_b128 v[42:45], v36 offset:1056
	ds_load_b128 v[46:49], v36 offset:48
	ds_load_b128 v[50:53], v36 offset:1072
	s_wait_dscnt 0x3
	v_fmac_f64_e32 v[22:23], v[38:39], v[28:29]
	v_fmac_f64_e32 v[18:19], v[40:41], v[28:29]
	s_wait_dscnt 0x2
	v_fmac_f64_e32 v[16:17], v[38:39], v[42:43]
	v_fmac_f64_e32 v[14:15], v[40:41], v[42:43]
	ds_load_2addr_b64 v[38:41], v35 offset0:160 offset1:176
	s_wait_dscnt 0x0
	v_fmac_f64_e32 v[22:23], v[38:39], v[30:31]
	v_fmac_f64_e32 v[18:19], v[40:41], v[30:31]
	;; [unrolled: 1-line block ×4, first 2 shown]
	ds_load_2addr_b64 v[28:31], v35 offset0:192 offset1:208
	s_wait_dscnt 0x0
	v_fmac_f64_e32 v[22:23], v[28:29], v[46:47]
	v_fmac_f64_e32 v[18:19], v[30:31], v[46:47]
	;; [unrolled: 1-line block ×4, first 2 shown]
	ds_load_2addr_b64 v[28:31], v35 offset0:224 offset1:240
	s_wait_dscnt 0x0
	s_barrier_signal -1
	s_barrier_wait -1
	v_fmac_f64_e32 v[22:23], v[28:29], v[48:49]
	v_fmac_f64_e32 v[18:19], v[30:31], v[48:49]
	;; [unrolled: 1-line block ×4, first 2 shown]
	s_cbranch_scc0 .LBB333_13
.LBB333_9:                              ;   Parent Loop BB333_6 Depth=1
                                        ; =>  This Inner Loop Header: Depth=2
	v_add_nc_u32_e32 v28, s13, v2
	s_delay_alu instid0(VALU_DEP_1) | instskip(SKIP_3) | instid1(SALU_CYCLE_1)
	v_cmp_gt_i32_e32 vcc_lo, s15, v28
	v_mov_b64_e32 v[28:29], 0
	s_wait_xcnt 0x0
	s_and_b32 s27, s0, vcc_lo
	s_and_saveexec_b32 s26, s27
	s_cbranch_execz .LBB333_11
; %bb.10:                               ;   in Loop: Header=BB333_9 Depth=2
	flat_load_b64 v[28:29], v[24:25]
.LBB333_11:                             ;   in Loop: Header=BB333_9 Depth=2
	s_wait_xcnt 0x0
	s_or_b32 exec_lo, exec_lo, s26
	v_add_nc_u32_e32 v30, s13, v32
	s_wait_loadcnt_dscnt 0x0
	ds_store_b64 v33, v[28:29]
	v_cmp_gt_i32_e32 vcc_lo, s15, v30
	v_mov_b64_e32 v[30:31], 0
	s_and_b32 s27, vcc_lo, s1
	s_delay_alu instid0(SALU_CYCLE_1)
	s_and_saveexec_b32 s26, s27
	s_cbranch_execz .LBB333_8
; %bb.12:                               ;   in Loop: Header=BB333_9 Depth=2
	flat_load_b64 v[30:31], v[26:27]
	s_branch .LBB333_8
.LBB333_13:                             ;   in Loop: Header=BB333_6 Depth=1
	s_wait_loadcnt 0x0
	v_add_nc_u64_e32 v[20:21], s[4:5], v[20:21]
	s_delay_alu instid0(VALU_DEP_1)
	v_lshl_add_u64 v[24:25], v[4:5], 3, v[20:21]
	s_and_saveexec_b32 s13, s14
	s_cbranch_execz .LBB333_17
; %bb.14:                               ;   in Loop: Header=BB333_6 Depth=1
	v_mul_f64_e32 v[22:23], s[22:23], v[22:23]
	s_delay_alu instid0(VALU_DEP_2)
	v_lshl_add_u64 v[26:27], v[0:1], 3, v[24:25]
	s_and_b32 vcc_lo, exec_lo, s18
	s_cbranch_vccz .LBB333_28
; %bb.15:                               ;   in Loop: Header=BB333_6 Depth=1
	flat_load_b64 v[28:29], v[26:27]
	s_wait_loadcnt_dscnt 0x0
	v_fma_f64 v[28:29], s[20:21], v[28:29], v[22:23]
	flat_store_b64 v[26:27], v[28:29]
	s_cbranch_execnz .LBB333_17
.LBB333_16:                             ;   in Loop: Header=BB333_6 Depth=1
	flat_store_b64 v[26:27], v[22:23]
.LBB333_17:                             ;   in Loop: Header=BB333_6 Depth=1
	s_wait_xcnt 0x0
	s_or_b32 exec_lo, exec_lo, s13
	s_and_saveexec_b32 s13, s30
	s_cbranch_execz .LBB333_21
; %bb.18:                               ;   in Loop: Header=BB333_6 Depth=1
	v_mul_f64_e32 v[18:19], s[22:23], v[18:19]
	v_lshl_add_u64 v[22:23], v[8:9], 3, v[24:25]
	s_and_not1_b32 vcc_lo, exec_lo, s18
	s_cbranch_vccnz .LBB333_29
; %bb.19:                               ;   in Loop: Header=BB333_6 Depth=1
	flat_load_b64 v[24:25], v[22:23]
	s_wait_loadcnt_dscnt 0x0
	v_fma_f64 v[24:25], s[20:21], v[24:25], v[18:19]
	flat_store_b64 v[22:23], v[24:25]
	s_cbranch_execnz .LBB333_21
.LBB333_20:                             ;   in Loop: Header=BB333_6 Depth=1
	flat_store_b64 v[22:23], v[18:19]
.LBB333_21:                             ;   in Loop: Header=BB333_6 Depth=1
	s_wait_xcnt 0x0
	s_or_b32 exec_lo, exec_lo, s13
	v_lshl_add_u64 v[18:19], v[6:7], 3, v[20:21]
	s_and_saveexec_b32 s13, s8
	s_cbranch_execz .LBB333_25
; %bb.22:                               ;   in Loop: Header=BB333_6 Depth=1
	v_mul_f64_e32 v[16:17], s[22:23], v[16:17]
	s_delay_alu instid0(VALU_DEP_2)
	v_lshl_add_u64 v[20:21], v[0:1], 3, v[18:19]
	s_and_not1_b32 vcc_lo, exec_lo, s18
	s_cbranch_vccnz .LBB333_30
; %bb.23:                               ;   in Loop: Header=BB333_6 Depth=1
	flat_load_b64 v[22:23], v[20:21]
	s_wait_loadcnt_dscnt 0x0
	v_fma_f64 v[22:23], s[20:21], v[22:23], v[16:17]
	flat_store_b64 v[20:21], v[22:23]
	s_cbranch_execnz .LBB333_25
.LBB333_24:                             ;   in Loop: Header=BB333_6 Depth=1
	flat_store_b64 v[20:21], v[16:17]
.LBB333_25:                             ;   in Loop: Header=BB333_6 Depth=1
	s_wait_xcnt 0x0
	s_or_b32 exec_lo, exec_lo, s13
	s_and_saveexec_b32 s13, s12
	s_cbranch_execz .LBB333_5
; %bb.26:                               ;   in Loop: Header=BB333_6 Depth=1
	s_delay_alu instid0(VALU_DEP_4)
	v_mul_f64_e32 v[14:15], s[22:23], v[14:15]
	v_lshl_add_u64 v[16:17], v[8:9], 3, v[18:19]
	s_and_not1_b32 vcc_lo, exec_lo, s18
	s_cbranch_vccnz .LBB333_31
; %bb.27:                               ;   in Loop: Header=BB333_6 Depth=1
	flat_load_b64 v[18:19], v[16:17]
	s_wait_loadcnt_dscnt 0x0
	v_fma_f64 v[18:19], s[20:21], v[18:19], v[14:15]
	flat_store_b64 v[16:17], v[18:19]
	s_cbranch_execnz .LBB333_5
	s_branch .LBB333_32
.LBB333_28:                             ;   in Loop: Header=BB333_6 Depth=1
	s_branch .LBB333_16
.LBB333_29:                             ;   in Loop: Header=BB333_6 Depth=1
	s_branch .LBB333_20
.LBB333_30:                             ;   in Loop: Header=BB333_6 Depth=1
	s_branch .LBB333_24
.LBB333_31:                             ;   in Loop: Header=BB333_6 Depth=1
.LBB333_32:                             ;   in Loop: Header=BB333_6 Depth=1
	flat_store_b64 v[16:17], v[14:15]
	s_branch .LBB333_5
.LBB333_33:
	s_endpgm
	.section	.rodata,"a",@progbits
	.p2align	6, 0x0
	.amdhsa_kernel _ZL29rocblas_internal_gemmt_kernelIiLi16ELi32ELi8ELc78ELc78ELc76ELb0ELb0EdPKdPKS1_PKPdEviT_T9_T10_S7_lS9_S7_lS8_T11_S7_li
		.amdhsa_group_segment_fixed_size 4096
		.amdhsa_private_segment_fixed_size 0
		.amdhsa_kernarg_size 100
		.amdhsa_user_sgpr_count 2
		.amdhsa_user_sgpr_dispatch_ptr 0
		.amdhsa_user_sgpr_queue_ptr 0
		.amdhsa_user_sgpr_kernarg_segment_ptr 1
		.amdhsa_user_sgpr_dispatch_id 0
		.amdhsa_user_sgpr_kernarg_preload_length 0
		.amdhsa_user_sgpr_kernarg_preload_offset 0
		.amdhsa_user_sgpr_private_segment_size 0
		.amdhsa_wavefront_size32 1
		.amdhsa_uses_dynamic_stack 0
		.amdhsa_enable_private_segment 0
		.amdhsa_system_sgpr_workgroup_id_x 1
		.amdhsa_system_sgpr_workgroup_id_y 1
		.amdhsa_system_sgpr_workgroup_id_z 1
		.amdhsa_system_sgpr_workgroup_info 0
		.amdhsa_system_vgpr_workitem_id 1
		.amdhsa_next_free_vgpr 54
		.amdhsa_next_free_sgpr 34
		.amdhsa_named_barrier_count 0
		.amdhsa_reserve_vcc 1
		.amdhsa_float_round_mode_32 0
		.amdhsa_float_round_mode_16_64 0
		.amdhsa_float_denorm_mode_32 3
		.amdhsa_float_denorm_mode_16_64 3
		.amdhsa_fp16_overflow 0
		.amdhsa_memory_ordered 1
		.amdhsa_forward_progress 1
		.amdhsa_inst_pref_size 14
		.amdhsa_round_robin_scheduling 0
		.amdhsa_exception_fp_ieee_invalid_op 0
		.amdhsa_exception_fp_denorm_src 0
		.amdhsa_exception_fp_ieee_div_zero 0
		.amdhsa_exception_fp_ieee_overflow 0
		.amdhsa_exception_fp_ieee_underflow 0
		.amdhsa_exception_fp_ieee_inexact 0
		.amdhsa_exception_int_div_zero 0
	.end_amdhsa_kernel
	.section	.text._ZL29rocblas_internal_gemmt_kernelIiLi16ELi32ELi8ELc78ELc78ELc76ELb0ELb0EdPKdPKS1_PKPdEviT_T9_T10_S7_lS9_S7_lS8_T11_S7_li,"axG",@progbits,_ZL29rocblas_internal_gemmt_kernelIiLi16ELi32ELi8ELc78ELc78ELc76ELb0ELb0EdPKdPKS1_PKPdEviT_T9_T10_S7_lS9_S7_lS8_T11_S7_li,comdat
.Lfunc_end333:
	.size	_ZL29rocblas_internal_gemmt_kernelIiLi16ELi32ELi8ELc78ELc78ELc76ELb0ELb0EdPKdPKS1_PKPdEviT_T9_T10_S7_lS9_S7_lS8_T11_S7_li, .Lfunc_end333-_ZL29rocblas_internal_gemmt_kernelIiLi16ELi32ELi8ELc78ELc78ELc76ELb0ELb0EdPKdPKS1_PKPdEviT_T9_T10_S7_lS9_S7_lS8_T11_S7_li
                                        ; -- End function
	.set _ZL29rocblas_internal_gemmt_kernelIiLi16ELi32ELi8ELc78ELc78ELc76ELb0ELb0EdPKdPKS1_PKPdEviT_T9_T10_S7_lS9_S7_lS8_T11_S7_li.num_vgpr, 54
	.set _ZL29rocblas_internal_gemmt_kernelIiLi16ELi32ELi8ELc78ELc78ELc76ELb0ELb0EdPKdPKS1_PKPdEviT_T9_T10_S7_lS9_S7_lS8_T11_S7_li.num_agpr, 0
	.set _ZL29rocblas_internal_gemmt_kernelIiLi16ELi32ELi8ELc78ELc78ELc76ELb0ELb0EdPKdPKS1_PKPdEviT_T9_T10_S7_lS9_S7_lS8_T11_S7_li.numbered_sgpr, 34
	.set _ZL29rocblas_internal_gemmt_kernelIiLi16ELi32ELi8ELc78ELc78ELc76ELb0ELb0EdPKdPKS1_PKPdEviT_T9_T10_S7_lS9_S7_lS8_T11_S7_li.num_named_barrier, 0
	.set _ZL29rocblas_internal_gemmt_kernelIiLi16ELi32ELi8ELc78ELc78ELc76ELb0ELb0EdPKdPKS1_PKPdEviT_T9_T10_S7_lS9_S7_lS8_T11_S7_li.private_seg_size, 0
	.set _ZL29rocblas_internal_gemmt_kernelIiLi16ELi32ELi8ELc78ELc78ELc76ELb0ELb0EdPKdPKS1_PKPdEviT_T9_T10_S7_lS9_S7_lS8_T11_S7_li.uses_vcc, 1
	.set _ZL29rocblas_internal_gemmt_kernelIiLi16ELi32ELi8ELc78ELc78ELc76ELb0ELb0EdPKdPKS1_PKPdEviT_T9_T10_S7_lS9_S7_lS8_T11_S7_li.uses_flat_scratch, 0
	.set _ZL29rocblas_internal_gemmt_kernelIiLi16ELi32ELi8ELc78ELc78ELc76ELb0ELb0EdPKdPKS1_PKPdEviT_T9_T10_S7_lS9_S7_lS8_T11_S7_li.has_dyn_sized_stack, 0
	.set _ZL29rocblas_internal_gemmt_kernelIiLi16ELi32ELi8ELc78ELc78ELc76ELb0ELb0EdPKdPKS1_PKPdEviT_T9_T10_S7_lS9_S7_lS8_T11_S7_li.has_recursion, 0
	.set _ZL29rocblas_internal_gemmt_kernelIiLi16ELi32ELi8ELc78ELc78ELc76ELb0ELb0EdPKdPKS1_PKPdEviT_T9_T10_S7_lS9_S7_lS8_T11_S7_li.has_indirect_call, 0
	.section	.AMDGPU.csdata,"",@progbits
; Kernel info:
; codeLenInByte = 1704
; TotalNumSgprs: 36
; NumVgprs: 54
; ScratchSize: 0
; MemoryBound: 0
; FloatMode: 240
; IeeeMode: 1
; LDSByteSize: 4096 bytes/workgroup (compile time only)
; SGPRBlocks: 0
; VGPRBlocks: 3
; NumSGPRsForWavesPerEU: 36
; NumVGPRsForWavesPerEU: 54
; NamedBarCnt: 0
; Occupancy: 16
; WaveLimiterHint : 1
; COMPUTE_PGM_RSRC2:SCRATCH_EN: 0
; COMPUTE_PGM_RSRC2:USER_SGPR: 2
; COMPUTE_PGM_RSRC2:TRAP_HANDLER: 0
; COMPUTE_PGM_RSRC2:TGID_X_EN: 1
; COMPUTE_PGM_RSRC2:TGID_Y_EN: 1
; COMPUTE_PGM_RSRC2:TGID_Z_EN: 1
; COMPUTE_PGM_RSRC2:TIDIG_COMP_CNT: 1
	.section	.text._ZL29rocblas_internal_gemmt_kernelIiLi16ELi32ELi8ELc78ELc84ELc76ELb0ELb0EdPKdPKS1_PKPdEviT_T9_T10_S7_lS9_S7_lS8_T11_S7_li,"axG",@progbits,_ZL29rocblas_internal_gemmt_kernelIiLi16ELi32ELi8ELc78ELc84ELc76ELb0ELb0EdPKdPKS1_PKPdEviT_T9_T10_S7_lS9_S7_lS8_T11_S7_li,comdat
	.globl	_ZL29rocblas_internal_gemmt_kernelIiLi16ELi32ELi8ELc78ELc84ELc76ELb0ELb0EdPKdPKS1_PKPdEviT_T9_T10_S7_lS9_S7_lS8_T11_S7_li ; -- Begin function _ZL29rocblas_internal_gemmt_kernelIiLi16ELi32ELi8ELc78ELc84ELc76ELb0ELb0EdPKdPKS1_PKPdEviT_T9_T10_S7_lS9_S7_lS8_T11_S7_li
	.p2align	8
	.type	_ZL29rocblas_internal_gemmt_kernelIiLi16ELi32ELi8ELc78ELc84ELc76ELb0ELb0EdPKdPKS1_PKPdEviT_T9_T10_S7_lS9_S7_lS8_T11_S7_li,@function
_ZL29rocblas_internal_gemmt_kernelIiLi16ELi32ELi8ELc78ELc84ELc76ELb0ELb0EdPKdPKS1_PKPdEviT_T9_T10_S7_lS9_S7_lS8_T11_S7_li: ; @_ZL29rocblas_internal_gemmt_kernelIiLi16ELi32ELi8ELc78ELc84ELc76ELb0ELb0EdPKdPKS1_PKPdEviT_T9_T10_S7_lS9_S7_lS8_T11_S7_li
; %bb.0:
	s_load_b128 s[12:15], s[0:1], 0x38
	s_wait_kmcnt 0x0
	s_load_b64 s[20:21], s[14:15], 0x0
	s_load_b128 s[4:7], s[0:1], 0x8
	s_wait_xcnt 0x0
	s_load_b64 s[14:15], s[0:1], 0x0
	s_wait_kmcnt 0x0
	s_load_b64 s[22:23], s[4:5], 0x0
	v_cmp_neq_f64_e64 s2, s[20:21], 1.0
	s_and_b32 vcc_lo, exec_lo, s2
	s_cbranch_vccnz .LBB334_2
; %bb.1:
	s_wait_kmcnt 0x0
	v_cmp_neq_f64_e64 s2, s[22:23], 0
	s_cmp_lg_u32 s15, 0
	s_cselect_b32 s3, -1, 0
	s_delay_alu instid0(SALU_CYCLE_1)
	s_and_b32 s2, s3, s2
.LBB334_2:
	s_delay_alu instid0(SALU_CYCLE_1)
	s_and_not1_b32 vcc_lo, exec_lo, s2
	s_cbranch_vccnz .LBB334_33
; %bb.3:
	s_load_b32 s19, s[0:1], 0x60
	s_bfe_u32 s2, ttmp6, 0x40014
	s_lshr_b32 s3, ttmp7, 16
	s_add_co_i32 s2, s2, 1
	s_wait_xcnt 0x0
	s_bfe_u32 s5, ttmp6, 0x40008
	s_mul_i32 s4, s3, s2
	s_getreg_b32 s2, hwreg(HW_REG_IB_STS2, 6, 4)
	s_add_co_i32 s5, s5, s4
	s_cmp_eq_u32 s2, 0
	s_mov_b32 s25, 0
	s_cselect_b32 s24, s3, s5
	s_wait_kmcnt 0x0
	s_cmp_ge_u32 s24, s19
	s_cbranch_scc1 .LBB334_33
; %bb.4:
	s_clause 0x4
	s_load_b32 s26, s[0:1], 0x18
	s_load_b32 s28, s[0:1], 0x30
	s_load_b96 s[16:18], s[0:1], 0x48
	s_load_b128 s[8:11], s[0:1], 0x20
	s_load_b64 s[30:31], s[0:1], 0x58
	s_wait_xcnt 0x0
	s_bfe_u32 s1, ttmp6, 0x4000c
	s_bfe_u32 s4, ttmp6, 0x40010
	v_and_b32_e32 v5, 0x3ff, v0
	v_bfe_u32 v11, v0, 10, 10
	s_and_b32 s3, ttmp7, 0xffff
	s_add_co_i32 s1, s1, 1
	s_add_co_i32 s33, s4, 1
	s_and_b32 s0, ttmp6, 15
	s_mul_i32 s1, ttmp9, s1
	v_lshl_add_u32 v1, v11, 4, v5
	s_add_co_i32 s0, s0, s1
	v_and_b32_e32 v0, 7, v0
	v_cmp_neq_f64_e64 s34, s[22:23], 0
	v_lshl_add_u32 v36, v11, 6, 0x800
	v_dual_lshrrev_b32 v4, 3, v1 :: v_dual_bitop2_b32 v6, 31, v1 bitop3:0x40
	s_wait_kmcnt 0x0
	s_ashr_i32 s27, s26, 31
	s_ashr_i32 s5, s18, 31
	s_mov_b32 s4, s18
	s_mul_i32 s18, s3, s33
	s_bfe_u32 s33, ttmp6, 0x40004
	s_ashr_i32 s29, s28, 31
	s_add_co_i32 s33, s33, s18
	s_cmp_eq_u32 s2, 0
	v_lshrrev_b32_e32 v2, 5, v1
	s_cselect_b32 s0, ttmp9, s0
	s_cselect_b32 s1, s3, s33
	s_lshl_b32 s2, s0, 5
	s_delay_alu instid0(SALU_CYCLE_1) | instskip(SKIP_1) | instid1(SALU_CYCLE_1)
	v_dual_mov_b32 v3, 0 :: v_dual_bitop2_b32 v12, s2, v6 bitop3:0x54
	s_lshl_b32 s0, s1, 5
	v_dual_lshlrev_b32 v6, 3, v6 :: v_dual_add_nc_u32 v16, s0, v11
	s_delay_alu instid0(VALU_DEP_2) | instskip(SKIP_2) | instid1(VALU_DEP_4)
	v_dual_mov_b32 v1, v3 :: v_dual_add_nc_u32 v14, s0, v4
	v_mul_u64_e32 v[18:19], s[26:27], v[2:3]
	v_cmp_neq_f64_e64 s18, s[20:21], 0
	v_dual_add_nc_u32 v22, 16, v16 :: v_dual_ashrrev_i32 v17, 31, v16
	s_delay_alu instid0(VALU_DEP_4) | instskip(SKIP_2) | instid1(VALU_DEP_4)
	v_mul_u64_e32 v[20:21], s[28:29], v[0:1]
	v_lshlrev_b32_e32 v7, 3, v0
	v_lshl_or_b32 v1, v2, 8, v6
	v_ashrrev_i32_e32 v23, 31, v22
	v_ashrrev_i32_e32 v15, 31, v14
	s_cmp_gt_i32 s15, 0
	v_lshl_or_b32 v13, v4, 6, v7
	v_mul_u64_e32 v[6:7], s[4:5], v[16:17]
	v_mul_u64_e32 v[8:9], s[4:5], v[22:23]
	v_add_nc_u32_e32 v4, s2, v5
	s_cselect_b32 s35, -1, 0
	s_lshl_b64 s[8:9], s[8:9], 3
	v_lshlrev_b32_e32 v35, 3, v5
	v_add_nc_u32_e32 v34, 0x800, v13
	v_add_nc_u32_e32 v10, 16, v4
	v_cmp_le_i32_e32 vcc_lo, v16, v4
	v_cmp_gt_i32_e64 s2, s14, v4
	v_ashrrev_i32_e32 v13, 31, v12
	v_cmp_gt_i32_e64 s0, s14, v12
	v_cmp_le_i32_e64 s3, v16, v10
	v_cmp_gt_i32_e64 s4, s14, v10
	v_cmp_gt_i32_e64 s1, s14, v14
	s_and_b32 s14, vcc_lo, s2
	v_cmp_le_i32_e32 vcc_lo, v22, v4
	v_dual_ashrrev_i32 v5, 31, v4 :: v_dual_ashrrev_i32 v11, 31, v10
	s_and_b32 s33, s3, s4
	v_cmp_le_i32_e64 s3, v22, v10
	v_lshl_add_u64 v[16:17], v[18:19], 3, s[8:9]
	s_lshl_b64 s[8:9], s[12:13], 3
	s_and_b32 s12, vcc_lo, s2
	s_and_b32 s34, s34, s35
	v_lshl_add_u64 v[18:19], v[20:21], 3, s[8:9]
	v_lshl_add_u64 v[12:13], v[12:13], 3, v[16:17]
	s_and_b32 s13, s3, s4
	s_lshl_b64 s[2:3], s[26:27], 6
	s_lshl_b64 s[4:5], s[28:29], 6
	v_lshl_add_u64 v[14:15], v[14:15], 3, v[18:19]
	s_lshl_b64 s[8:9], s[30:31], 3
	s_branch .LBB334_6
.LBB334_5:                              ;   in Loop: Header=BB334_6 Depth=1
	s_wait_xcnt 0x0
	s_or_b32 exec_lo, exec_lo, s26
	s_add_co_i32 s24, s24, 0x10000
	s_delay_alu instid0(SALU_CYCLE_1)
	s_cmp_lt_u32 s24, s19
	s_cbranch_scc0 .LBB334_33
.LBB334_6:                              ; =>This Loop Header: Depth=1
                                        ;     Child Loop BB334_9 Depth 2
	v_mov_b32_e32 v16, s24
	v_mov_b64_e32 v[24:25], 0
	v_mov_b64_e32 v[20:21], 0
	;; [unrolled: 1-line block ×3, first 2 shown]
	s_and_not1_b32 vcc_lo, exec_lo, s34
	global_load_b64 v[22:23], v16, s[16:17] scale_offset
	s_wait_xcnt 0x0
	v_mov_b64_e32 v[16:17], 0
	s_cbranch_vccnz .LBB334_13
; %bb.7:                                ;   in Loop: Header=BB334_6 Depth=1
	s_lshl_b64 s[26:27], s[24:25], 3
	v_mov_b64_e32 v[16:17], 0
	s_add_nc_u64 s[28:29], s[6:7], s[26:27]
	s_add_nc_u64 s[26:27], s[10:11], s[26:27]
	s_clause 0x1
	global_load_b64 v[24:25], v3, s[28:29]
	global_load_b64 v[28:29], v3, s[26:27]
	v_mov_b64_e32 v[18:19], 0
	v_mov_b64_e32 v[20:21], 0
	s_wait_xcnt 0x0
	s_mov_b32 s26, 0
	s_wait_loadcnt 0x1
	v_add_nc_u64_e32 v[26:27], v[24:25], v[12:13]
	s_wait_loadcnt 0x0
	v_add_nc_u64_e32 v[28:29], v[28:29], v[14:15]
	v_mov_b64_e32 v[24:25], 0
	s_branch .LBB334_9
.LBB334_8:                              ;   in Loop: Header=BB334_9 Depth=2
	s_wait_xcnt 0x0
	s_or_b32 exec_lo, exec_lo, s27
	s_wait_loadcnt_dscnt 0x0
	ds_store_b64 v34, v[32:33]
	s_wait_dscnt 0x0
	s_barrier_signal -1
	s_barrier_wait -1
	ds_load_b128 v[30:33], v36
	ds_load_2addr_b64 v[38:41], v35 offset1:16
	ds_load_b128 v[42:45], v36 offset:1024
	ds_load_b128 v[46:49], v36 offset:16
	;; [unrolled: 1-line block ×3, first 2 shown]
	v_add_nc_u64_e32 v[26:27], s[2:3], v[26:27]
	v_add_nc_u64_e32 v[28:29], s[4:5], v[28:29]
	s_add_co_i32 s26, s26, 8
	s_delay_alu instid0(SALU_CYCLE_1)
	s_cmp_lt_i32 s26, s15
	s_wait_dscnt 0x3
	v_fmac_f64_e32 v[24:25], v[38:39], v[30:31]
	v_fmac_f64_e32 v[20:21], v[40:41], v[30:31]
	s_wait_dscnt 0x2
	v_fmac_f64_e32 v[18:19], v[38:39], v[42:43]
	v_fmac_f64_e32 v[16:17], v[40:41], v[42:43]
	ds_load_2addr_b64 v[38:41], v35 offset0:32 offset1:48
	s_wait_dscnt 0x0
	v_fmac_f64_e32 v[24:25], v[38:39], v[32:33]
	v_fmac_f64_e32 v[20:21], v[40:41], v[32:33]
	v_fmac_f64_e32 v[18:19], v[38:39], v[44:45]
	v_fmac_f64_e32 v[16:17], v[40:41], v[44:45]
	ds_load_2addr_b64 v[30:33], v35 offset0:64 offset1:80
	s_wait_dscnt 0x0
	v_fmac_f64_e32 v[24:25], v[30:31], v[46:47]
	v_fmac_f64_e32 v[20:21], v[32:33], v[46:47]
	;; [unrolled: 6-line block ×3, first 2 shown]
	v_fmac_f64_e32 v[18:19], v[30:31], v[52:53]
	v_fmac_f64_e32 v[16:17], v[32:33], v[52:53]
	ds_load_b128 v[30:33], v36 offset:32
	ds_load_2addr_b64 v[38:41], v35 offset0:128 offset1:144
	ds_load_b128 v[42:45], v36 offset:1056
	ds_load_b128 v[46:49], v36 offset:48
	;; [unrolled: 1-line block ×3, first 2 shown]
	s_wait_dscnt 0x3
	v_fmac_f64_e32 v[24:25], v[38:39], v[30:31]
	v_fmac_f64_e32 v[20:21], v[40:41], v[30:31]
	s_wait_dscnt 0x2
	v_fmac_f64_e32 v[18:19], v[38:39], v[42:43]
	v_fmac_f64_e32 v[16:17], v[40:41], v[42:43]
	ds_load_2addr_b64 v[38:41], v35 offset0:160 offset1:176
	s_wait_dscnt 0x0
	v_fmac_f64_e32 v[24:25], v[38:39], v[32:33]
	v_fmac_f64_e32 v[20:21], v[40:41], v[32:33]
	;; [unrolled: 1-line block ×4, first 2 shown]
	ds_load_2addr_b64 v[30:33], v35 offset0:192 offset1:208
	s_wait_dscnt 0x0
	v_fmac_f64_e32 v[24:25], v[30:31], v[46:47]
	v_fmac_f64_e32 v[20:21], v[32:33], v[46:47]
	;; [unrolled: 1-line block ×4, first 2 shown]
	ds_load_2addr_b64 v[30:33], v35 offset0:224 offset1:240
	s_wait_dscnt 0x0
	s_barrier_signal -1
	s_barrier_wait -1
	v_fmac_f64_e32 v[24:25], v[30:31], v[48:49]
	v_fmac_f64_e32 v[20:21], v[32:33], v[48:49]
	;; [unrolled: 1-line block ×4, first 2 shown]
	s_cbranch_scc0 .LBB334_13
.LBB334_9:                              ;   Parent Loop BB334_6 Depth=1
                                        ; =>  This Inner Loop Header: Depth=2
	v_add_nc_u32_e32 v30, s26, v2
	s_delay_alu instid0(VALU_DEP_1) | instskip(SKIP_2) | instid1(SALU_CYCLE_1)
	v_cmp_gt_i32_e32 vcc_lo, s15, v30
	v_mov_b64_e32 v[30:31], 0
	s_and_b32 s28, s0, vcc_lo
	s_and_saveexec_b32 s27, s28
	s_cbranch_execz .LBB334_11
; %bb.10:                               ;   in Loop: Header=BB334_9 Depth=2
	flat_load_b64 v[30:31], v[26:27]
.LBB334_11:                             ;   in Loop: Header=BB334_9 Depth=2
	s_wait_xcnt 0x0
	s_or_b32 exec_lo, exec_lo, s27
	v_add_nc_u32_e32 v32, s26, v0
	s_wait_loadcnt_dscnt 0x0
	ds_store_b64 v1, v[30:31]
	v_cmp_gt_i32_e32 vcc_lo, s15, v32
	v_mov_b64_e32 v[32:33], 0
	s_and_b32 s28, vcc_lo, s1
	s_delay_alu instid0(SALU_CYCLE_1)
	s_and_saveexec_b32 s27, s28
	s_cbranch_execz .LBB334_8
; %bb.12:                               ;   in Loop: Header=BB334_9 Depth=2
	flat_load_b64 v[32:33], v[28:29]
	s_branch .LBB334_8
.LBB334_13:                             ;   in Loop: Header=BB334_6 Depth=1
	s_wait_loadcnt 0x0
	v_add_nc_u64_e32 v[22:23], s[8:9], v[22:23]
	s_delay_alu instid0(VALU_DEP_1)
	v_lshl_add_u64 v[26:27], v[6:7], 3, v[22:23]
	s_and_saveexec_b32 s26, s14
	s_cbranch_execz .LBB334_17
; %bb.14:                               ;   in Loop: Header=BB334_6 Depth=1
	v_mul_f64_e32 v[24:25], s[22:23], v[24:25]
	s_delay_alu instid0(VALU_DEP_2)
	v_lshl_add_u64 v[28:29], v[4:5], 3, v[26:27]
	s_and_b32 vcc_lo, exec_lo, s18
	s_cbranch_vccz .LBB334_28
; %bb.15:                               ;   in Loop: Header=BB334_6 Depth=1
	flat_load_b64 v[30:31], v[28:29]
	s_wait_loadcnt_dscnt 0x0
	v_fma_f64 v[30:31], s[20:21], v[30:31], v[24:25]
	flat_store_b64 v[28:29], v[30:31]
	s_cbranch_execnz .LBB334_17
.LBB334_16:                             ;   in Loop: Header=BB334_6 Depth=1
	flat_store_b64 v[28:29], v[24:25]
.LBB334_17:                             ;   in Loop: Header=BB334_6 Depth=1
	s_wait_xcnt 0x0
	s_or_b32 exec_lo, exec_lo, s26
	s_and_saveexec_b32 s26, s33
	s_cbranch_execz .LBB334_21
; %bb.18:                               ;   in Loop: Header=BB334_6 Depth=1
	v_mul_f64_e32 v[20:21], s[22:23], v[20:21]
	v_lshl_add_u64 v[24:25], v[10:11], 3, v[26:27]
	s_and_not1_b32 vcc_lo, exec_lo, s18
	s_cbranch_vccnz .LBB334_29
; %bb.19:                               ;   in Loop: Header=BB334_6 Depth=1
	flat_load_b64 v[26:27], v[24:25]
	s_wait_loadcnt_dscnt 0x0
	v_fma_f64 v[26:27], s[20:21], v[26:27], v[20:21]
	flat_store_b64 v[24:25], v[26:27]
	s_cbranch_execnz .LBB334_21
.LBB334_20:                             ;   in Loop: Header=BB334_6 Depth=1
	flat_store_b64 v[24:25], v[20:21]
.LBB334_21:                             ;   in Loop: Header=BB334_6 Depth=1
	s_wait_xcnt 0x0
	s_or_b32 exec_lo, exec_lo, s26
	v_lshl_add_u64 v[20:21], v[8:9], 3, v[22:23]
	s_and_saveexec_b32 s26, s12
	s_cbranch_execz .LBB334_25
; %bb.22:                               ;   in Loop: Header=BB334_6 Depth=1
	v_mul_f64_e32 v[18:19], s[22:23], v[18:19]
	s_delay_alu instid0(VALU_DEP_2)
	v_lshl_add_u64 v[22:23], v[4:5], 3, v[20:21]
	s_and_not1_b32 vcc_lo, exec_lo, s18
	s_cbranch_vccnz .LBB334_30
; %bb.23:                               ;   in Loop: Header=BB334_6 Depth=1
	flat_load_b64 v[24:25], v[22:23]
	s_wait_loadcnt_dscnt 0x0
	v_fma_f64 v[24:25], s[20:21], v[24:25], v[18:19]
	flat_store_b64 v[22:23], v[24:25]
	s_cbranch_execnz .LBB334_25
.LBB334_24:                             ;   in Loop: Header=BB334_6 Depth=1
	flat_store_b64 v[22:23], v[18:19]
.LBB334_25:                             ;   in Loop: Header=BB334_6 Depth=1
	s_wait_xcnt 0x0
	s_or_b32 exec_lo, exec_lo, s26
	s_and_saveexec_b32 s26, s13
	s_cbranch_execz .LBB334_5
; %bb.26:                               ;   in Loop: Header=BB334_6 Depth=1
	s_delay_alu instid0(VALU_DEP_4)
	v_mul_f64_e32 v[16:17], s[22:23], v[16:17]
	v_lshl_add_u64 v[18:19], v[10:11], 3, v[20:21]
	s_and_not1_b32 vcc_lo, exec_lo, s18
	s_cbranch_vccnz .LBB334_31
; %bb.27:                               ;   in Loop: Header=BB334_6 Depth=1
	flat_load_b64 v[20:21], v[18:19]
	s_wait_loadcnt_dscnt 0x0
	v_fma_f64 v[20:21], s[20:21], v[20:21], v[16:17]
	flat_store_b64 v[18:19], v[20:21]
	s_cbranch_execnz .LBB334_5
	s_branch .LBB334_32
.LBB334_28:                             ;   in Loop: Header=BB334_6 Depth=1
	s_branch .LBB334_16
.LBB334_29:                             ;   in Loop: Header=BB334_6 Depth=1
	s_branch .LBB334_20
.LBB334_30:                             ;   in Loop: Header=BB334_6 Depth=1
	s_branch .LBB334_24
.LBB334_31:                             ;   in Loop: Header=BB334_6 Depth=1
.LBB334_32:                             ;   in Loop: Header=BB334_6 Depth=1
	flat_store_b64 v[18:19], v[16:17]
	s_branch .LBB334_5
.LBB334_33:
	s_endpgm
	.section	.rodata,"a",@progbits
	.p2align	6, 0x0
	.amdhsa_kernel _ZL29rocblas_internal_gemmt_kernelIiLi16ELi32ELi8ELc78ELc84ELc76ELb0ELb0EdPKdPKS1_PKPdEviT_T9_T10_S7_lS9_S7_lS8_T11_S7_li
		.amdhsa_group_segment_fixed_size 4096
		.amdhsa_private_segment_fixed_size 0
		.amdhsa_kernarg_size 100
		.amdhsa_user_sgpr_count 2
		.amdhsa_user_sgpr_dispatch_ptr 0
		.amdhsa_user_sgpr_queue_ptr 0
		.amdhsa_user_sgpr_kernarg_segment_ptr 1
		.amdhsa_user_sgpr_dispatch_id 0
		.amdhsa_user_sgpr_kernarg_preload_length 0
		.amdhsa_user_sgpr_kernarg_preload_offset 0
		.amdhsa_user_sgpr_private_segment_size 0
		.amdhsa_wavefront_size32 1
		.amdhsa_uses_dynamic_stack 0
		.amdhsa_enable_private_segment 0
		.amdhsa_system_sgpr_workgroup_id_x 1
		.amdhsa_system_sgpr_workgroup_id_y 1
		.amdhsa_system_sgpr_workgroup_id_z 1
		.amdhsa_system_sgpr_workgroup_info 0
		.amdhsa_system_vgpr_workitem_id 1
		.amdhsa_next_free_vgpr 54
		.amdhsa_next_free_sgpr 36
		.amdhsa_named_barrier_count 0
		.amdhsa_reserve_vcc 1
		.amdhsa_float_round_mode_32 0
		.amdhsa_float_round_mode_16_64 0
		.amdhsa_float_denorm_mode_32 3
		.amdhsa_float_denorm_mode_16_64 3
		.amdhsa_fp16_overflow 0
		.amdhsa_memory_ordered 1
		.amdhsa_forward_progress 1
		.amdhsa_inst_pref_size 14
		.amdhsa_round_robin_scheduling 0
		.amdhsa_exception_fp_ieee_invalid_op 0
		.amdhsa_exception_fp_denorm_src 0
		.amdhsa_exception_fp_ieee_div_zero 0
		.amdhsa_exception_fp_ieee_overflow 0
		.amdhsa_exception_fp_ieee_underflow 0
		.amdhsa_exception_fp_ieee_inexact 0
		.amdhsa_exception_int_div_zero 0
	.end_amdhsa_kernel
	.section	.text._ZL29rocblas_internal_gemmt_kernelIiLi16ELi32ELi8ELc78ELc84ELc76ELb0ELb0EdPKdPKS1_PKPdEviT_T9_T10_S7_lS9_S7_lS8_T11_S7_li,"axG",@progbits,_ZL29rocblas_internal_gemmt_kernelIiLi16ELi32ELi8ELc78ELc84ELc76ELb0ELb0EdPKdPKS1_PKPdEviT_T9_T10_S7_lS9_S7_lS8_T11_S7_li,comdat
.Lfunc_end334:
	.size	_ZL29rocblas_internal_gemmt_kernelIiLi16ELi32ELi8ELc78ELc84ELc76ELb0ELb0EdPKdPKS1_PKPdEviT_T9_T10_S7_lS9_S7_lS8_T11_S7_li, .Lfunc_end334-_ZL29rocblas_internal_gemmt_kernelIiLi16ELi32ELi8ELc78ELc84ELc76ELb0ELb0EdPKdPKS1_PKPdEviT_T9_T10_S7_lS9_S7_lS8_T11_S7_li
                                        ; -- End function
	.set _ZL29rocblas_internal_gemmt_kernelIiLi16ELi32ELi8ELc78ELc84ELc76ELb0ELb0EdPKdPKS1_PKPdEviT_T9_T10_S7_lS9_S7_lS8_T11_S7_li.num_vgpr, 54
	.set _ZL29rocblas_internal_gemmt_kernelIiLi16ELi32ELi8ELc78ELc84ELc76ELb0ELb0EdPKdPKS1_PKPdEviT_T9_T10_S7_lS9_S7_lS8_T11_S7_li.num_agpr, 0
	.set _ZL29rocblas_internal_gemmt_kernelIiLi16ELi32ELi8ELc78ELc84ELc76ELb0ELb0EdPKdPKS1_PKPdEviT_T9_T10_S7_lS9_S7_lS8_T11_S7_li.numbered_sgpr, 36
	.set _ZL29rocblas_internal_gemmt_kernelIiLi16ELi32ELi8ELc78ELc84ELc76ELb0ELb0EdPKdPKS1_PKPdEviT_T9_T10_S7_lS9_S7_lS8_T11_S7_li.num_named_barrier, 0
	.set _ZL29rocblas_internal_gemmt_kernelIiLi16ELi32ELi8ELc78ELc84ELc76ELb0ELb0EdPKdPKS1_PKPdEviT_T9_T10_S7_lS9_S7_lS8_T11_S7_li.private_seg_size, 0
	.set _ZL29rocblas_internal_gemmt_kernelIiLi16ELi32ELi8ELc78ELc84ELc76ELb0ELb0EdPKdPKS1_PKPdEviT_T9_T10_S7_lS9_S7_lS8_T11_S7_li.uses_vcc, 1
	.set _ZL29rocblas_internal_gemmt_kernelIiLi16ELi32ELi8ELc78ELc84ELc76ELb0ELb0EdPKdPKS1_PKPdEviT_T9_T10_S7_lS9_S7_lS8_T11_S7_li.uses_flat_scratch, 0
	.set _ZL29rocblas_internal_gemmt_kernelIiLi16ELi32ELi8ELc78ELc84ELc76ELb0ELb0EdPKdPKS1_PKPdEviT_T9_T10_S7_lS9_S7_lS8_T11_S7_li.has_dyn_sized_stack, 0
	.set _ZL29rocblas_internal_gemmt_kernelIiLi16ELi32ELi8ELc78ELc84ELc76ELb0ELb0EdPKdPKS1_PKPdEviT_T9_T10_S7_lS9_S7_lS8_T11_S7_li.has_recursion, 0
	.set _ZL29rocblas_internal_gemmt_kernelIiLi16ELi32ELi8ELc78ELc84ELc76ELb0ELb0EdPKdPKS1_PKPdEviT_T9_T10_S7_lS9_S7_lS8_T11_S7_li.has_indirect_call, 0
	.section	.AMDGPU.csdata,"",@progbits
; Kernel info:
; codeLenInByte = 1704
; TotalNumSgprs: 38
; NumVgprs: 54
; ScratchSize: 0
; MemoryBound: 0
; FloatMode: 240
; IeeeMode: 1
; LDSByteSize: 4096 bytes/workgroup (compile time only)
; SGPRBlocks: 0
; VGPRBlocks: 3
; NumSGPRsForWavesPerEU: 38
; NumVGPRsForWavesPerEU: 54
; NamedBarCnt: 0
; Occupancy: 16
; WaveLimiterHint : 1
; COMPUTE_PGM_RSRC2:SCRATCH_EN: 0
; COMPUTE_PGM_RSRC2:USER_SGPR: 2
; COMPUTE_PGM_RSRC2:TRAP_HANDLER: 0
; COMPUTE_PGM_RSRC2:TGID_X_EN: 1
; COMPUTE_PGM_RSRC2:TGID_Y_EN: 1
; COMPUTE_PGM_RSRC2:TGID_Z_EN: 1
; COMPUTE_PGM_RSRC2:TIDIG_COMP_CNT: 1
	.section	.text._ZL29rocblas_internal_gemmt_kernelIiLi16ELi32ELi8ELc78ELc67ELc76ELb0ELb0EdPKdPKS1_PKPdEviT_T9_T10_S7_lS9_S7_lS8_T11_S7_li,"axG",@progbits,_ZL29rocblas_internal_gemmt_kernelIiLi16ELi32ELi8ELc78ELc67ELc76ELb0ELb0EdPKdPKS1_PKPdEviT_T9_T10_S7_lS9_S7_lS8_T11_S7_li,comdat
	.globl	_ZL29rocblas_internal_gemmt_kernelIiLi16ELi32ELi8ELc78ELc67ELc76ELb0ELb0EdPKdPKS1_PKPdEviT_T9_T10_S7_lS9_S7_lS8_T11_S7_li ; -- Begin function _ZL29rocblas_internal_gemmt_kernelIiLi16ELi32ELi8ELc78ELc67ELc76ELb0ELb0EdPKdPKS1_PKPdEviT_T9_T10_S7_lS9_S7_lS8_T11_S7_li
	.p2align	8
	.type	_ZL29rocblas_internal_gemmt_kernelIiLi16ELi32ELi8ELc78ELc67ELc76ELb0ELb0EdPKdPKS1_PKPdEviT_T9_T10_S7_lS9_S7_lS8_T11_S7_li,@function
_ZL29rocblas_internal_gemmt_kernelIiLi16ELi32ELi8ELc78ELc67ELc76ELb0ELb0EdPKdPKS1_PKPdEviT_T9_T10_S7_lS9_S7_lS8_T11_S7_li: ; @_ZL29rocblas_internal_gemmt_kernelIiLi16ELi32ELi8ELc78ELc67ELc76ELb0ELb0EdPKdPKS1_PKPdEviT_T9_T10_S7_lS9_S7_lS8_T11_S7_li
; %bb.0:
	s_load_b128 s[12:15], s[0:1], 0x38
	s_wait_kmcnt 0x0
	s_load_b64 s[20:21], s[14:15], 0x0
	s_load_b128 s[4:7], s[0:1], 0x8
	s_wait_xcnt 0x0
	s_load_b64 s[14:15], s[0:1], 0x0
	s_wait_kmcnt 0x0
	s_load_b64 s[22:23], s[4:5], 0x0
	v_cmp_neq_f64_e64 s2, s[20:21], 1.0
	s_and_b32 vcc_lo, exec_lo, s2
	s_cbranch_vccnz .LBB335_2
; %bb.1:
	s_wait_kmcnt 0x0
	v_cmp_neq_f64_e64 s2, s[22:23], 0
	s_cmp_lg_u32 s15, 0
	s_cselect_b32 s3, -1, 0
	s_delay_alu instid0(SALU_CYCLE_1)
	s_and_b32 s2, s3, s2
.LBB335_2:
	s_delay_alu instid0(SALU_CYCLE_1)
	s_and_not1_b32 vcc_lo, exec_lo, s2
	s_cbranch_vccnz .LBB335_33
; %bb.3:
	s_load_b32 s19, s[0:1], 0x60
	s_bfe_u32 s2, ttmp6, 0x40014
	s_lshr_b32 s3, ttmp7, 16
	s_add_co_i32 s2, s2, 1
	s_wait_xcnt 0x0
	s_bfe_u32 s5, ttmp6, 0x40008
	s_mul_i32 s4, s3, s2
	s_getreg_b32 s2, hwreg(HW_REG_IB_STS2, 6, 4)
	s_add_co_i32 s5, s5, s4
	s_cmp_eq_u32 s2, 0
	s_mov_b32 s25, 0
	s_cselect_b32 s24, s3, s5
	s_wait_kmcnt 0x0
	s_cmp_ge_u32 s24, s19
	s_cbranch_scc1 .LBB335_33
; %bb.4:
	s_clause 0x4
	s_load_b32 s26, s[0:1], 0x18
	s_load_b32 s28, s[0:1], 0x30
	s_load_b96 s[16:18], s[0:1], 0x48
	s_load_b128 s[8:11], s[0:1], 0x20
	s_load_b64 s[30:31], s[0:1], 0x58
	s_wait_xcnt 0x0
	s_bfe_u32 s1, ttmp6, 0x4000c
	s_bfe_u32 s4, ttmp6, 0x40010
	v_and_b32_e32 v5, 0x3ff, v0
	v_bfe_u32 v11, v0, 10, 10
	s_and_b32 s3, ttmp7, 0xffff
	s_add_co_i32 s1, s1, 1
	s_add_co_i32 s33, s4, 1
	s_and_b32 s0, ttmp6, 15
	s_mul_i32 s1, ttmp9, s1
	v_lshl_add_u32 v1, v11, 4, v5
	s_add_co_i32 s0, s0, s1
	v_and_b32_e32 v0, 7, v0
	v_cmp_neq_f64_e64 s34, s[22:23], 0
	v_lshl_add_u32 v36, v11, 6, 0x800
	v_dual_lshrrev_b32 v4, 3, v1 :: v_dual_bitop2_b32 v6, 31, v1 bitop3:0x40
	s_wait_kmcnt 0x0
	s_ashr_i32 s27, s26, 31
	s_ashr_i32 s5, s18, 31
	s_mov_b32 s4, s18
	s_mul_i32 s18, s3, s33
	s_bfe_u32 s33, ttmp6, 0x40004
	s_ashr_i32 s29, s28, 31
	s_add_co_i32 s33, s33, s18
	s_cmp_eq_u32 s2, 0
	v_lshrrev_b32_e32 v2, 5, v1
	s_cselect_b32 s0, ttmp9, s0
	s_cselect_b32 s1, s3, s33
	s_lshl_b32 s2, s0, 5
	s_delay_alu instid0(SALU_CYCLE_1) | instskip(SKIP_1) | instid1(SALU_CYCLE_1)
	v_dual_mov_b32 v3, 0 :: v_dual_bitop2_b32 v12, s2, v6 bitop3:0x54
	s_lshl_b32 s0, s1, 5
	v_dual_lshlrev_b32 v6, 3, v6 :: v_dual_add_nc_u32 v16, s0, v11
	s_delay_alu instid0(VALU_DEP_2) | instskip(SKIP_2) | instid1(VALU_DEP_4)
	v_dual_mov_b32 v1, v3 :: v_dual_add_nc_u32 v14, s0, v4
	v_mul_u64_e32 v[18:19], s[26:27], v[2:3]
	v_cmp_neq_f64_e64 s18, s[20:21], 0
	v_dual_add_nc_u32 v22, 16, v16 :: v_dual_ashrrev_i32 v17, 31, v16
	s_delay_alu instid0(VALU_DEP_4) | instskip(SKIP_2) | instid1(VALU_DEP_4)
	v_mul_u64_e32 v[20:21], s[28:29], v[0:1]
	v_lshlrev_b32_e32 v7, 3, v0
	v_lshl_or_b32 v1, v2, 8, v6
	v_ashrrev_i32_e32 v23, 31, v22
	v_ashrrev_i32_e32 v15, 31, v14
	s_cmp_gt_i32 s15, 0
	v_lshl_or_b32 v13, v4, 6, v7
	v_mul_u64_e32 v[6:7], s[4:5], v[16:17]
	v_mul_u64_e32 v[8:9], s[4:5], v[22:23]
	v_add_nc_u32_e32 v4, s2, v5
	s_cselect_b32 s35, -1, 0
	s_lshl_b64 s[8:9], s[8:9], 3
	v_lshlrev_b32_e32 v35, 3, v5
	v_add_nc_u32_e32 v34, 0x800, v13
	v_add_nc_u32_e32 v10, 16, v4
	v_cmp_le_i32_e32 vcc_lo, v16, v4
	v_cmp_gt_i32_e64 s2, s14, v4
	v_ashrrev_i32_e32 v13, 31, v12
	v_cmp_gt_i32_e64 s0, s14, v12
	v_cmp_le_i32_e64 s3, v16, v10
	v_cmp_gt_i32_e64 s4, s14, v10
	v_cmp_gt_i32_e64 s1, s14, v14
	s_and_b32 s14, vcc_lo, s2
	v_cmp_le_i32_e32 vcc_lo, v22, v4
	v_dual_ashrrev_i32 v5, 31, v4 :: v_dual_ashrrev_i32 v11, 31, v10
	s_and_b32 s33, s3, s4
	v_cmp_le_i32_e64 s3, v22, v10
	v_lshl_add_u64 v[16:17], v[18:19], 3, s[8:9]
	s_lshl_b64 s[8:9], s[12:13], 3
	s_and_b32 s12, vcc_lo, s2
	s_and_b32 s34, s34, s35
	v_lshl_add_u64 v[18:19], v[20:21], 3, s[8:9]
	v_lshl_add_u64 v[12:13], v[12:13], 3, v[16:17]
	s_and_b32 s13, s3, s4
	s_lshl_b64 s[2:3], s[26:27], 6
	s_lshl_b64 s[4:5], s[28:29], 6
	v_lshl_add_u64 v[14:15], v[14:15], 3, v[18:19]
	s_lshl_b64 s[8:9], s[30:31], 3
	s_branch .LBB335_6
.LBB335_5:                              ;   in Loop: Header=BB335_6 Depth=1
	s_wait_xcnt 0x0
	s_or_b32 exec_lo, exec_lo, s26
	s_add_co_i32 s24, s24, 0x10000
	s_delay_alu instid0(SALU_CYCLE_1)
	s_cmp_lt_u32 s24, s19
	s_cbranch_scc0 .LBB335_33
.LBB335_6:                              ; =>This Loop Header: Depth=1
                                        ;     Child Loop BB335_9 Depth 2
	v_mov_b32_e32 v16, s24
	v_mov_b64_e32 v[24:25], 0
	v_mov_b64_e32 v[20:21], 0
	;; [unrolled: 1-line block ×3, first 2 shown]
	s_and_not1_b32 vcc_lo, exec_lo, s34
	global_load_b64 v[22:23], v16, s[16:17] scale_offset
	s_wait_xcnt 0x0
	v_mov_b64_e32 v[16:17], 0
	s_cbranch_vccnz .LBB335_13
; %bb.7:                                ;   in Loop: Header=BB335_6 Depth=1
	s_lshl_b64 s[26:27], s[24:25], 3
	v_mov_b64_e32 v[16:17], 0
	s_add_nc_u64 s[28:29], s[6:7], s[26:27]
	s_add_nc_u64 s[26:27], s[10:11], s[26:27]
	s_clause 0x1
	global_load_b64 v[24:25], v3, s[28:29]
	global_load_b64 v[28:29], v3, s[26:27]
	v_mov_b64_e32 v[18:19], 0
	v_mov_b64_e32 v[20:21], 0
	s_wait_xcnt 0x0
	s_mov_b32 s26, 0
	s_wait_loadcnt 0x1
	v_add_nc_u64_e32 v[26:27], v[24:25], v[12:13]
	s_wait_loadcnt 0x0
	v_add_nc_u64_e32 v[28:29], v[28:29], v[14:15]
	v_mov_b64_e32 v[24:25], 0
	s_branch .LBB335_9
.LBB335_8:                              ;   in Loop: Header=BB335_9 Depth=2
	s_wait_xcnt 0x0
	s_or_b32 exec_lo, exec_lo, s27
	s_wait_loadcnt_dscnt 0x0
	ds_store_b64 v34, v[32:33]
	s_wait_dscnt 0x0
	s_barrier_signal -1
	s_barrier_wait -1
	ds_load_b128 v[30:33], v36
	ds_load_2addr_b64 v[38:41], v35 offset1:16
	ds_load_b128 v[42:45], v36 offset:1024
	ds_load_b128 v[46:49], v36 offset:16
	;; [unrolled: 1-line block ×3, first 2 shown]
	v_add_nc_u64_e32 v[26:27], s[2:3], v[26:27]
	v_add_nc_u64_e32 v[28:29], s[4:5], v[28:29]
	s_add_co_i32 s26, s26, 8
	s_delay_alu instid0(SALU_CYCLE_1)
	s_cmp_lt_i32 s26, s15
	s_wait_dscnt 0x3
	v_fmac_f64_e32 v[24:25], v[38:39], v[30:31]
	v_fmac_f64_e32 v[20:21], v[40:41], v[30:31]
	s_wait_dscnt 0x2
	v_fmac_f64_e32 v[18:19], v[38:39], v[42:43]
	v_fmac_f64_e32 v[16:17], v[40:41], v[42:43]
	ds_load_2addr_b64 v[38:41], v35 offset0:32 offset1:48
	s_wait_dscnt 0x0
	v_fmac_f64_e32 v[24:25], v[38:39], v[32:33]
	v_fmac_f64_e32 v[20:21], v[40:41], v[32:33]
	v_fmac_f64_e32 v[18:19], v[38:39], v[44:45]
	v_fmac_f64_e32 v[16:17], v[40:41], v[44:45]
	ds_load_2addr_b64 v[30:33], v35 offset0:64 offset1:80
	s_wait_dscnt 0x0
	v_fmac_f64_e32 v[24:25], v[30:31], v[46:47]
	v_fmac_f64_e32 v[20:21], v[32:33], v[46:47]
	;; [unrolled: 6-line block ×3, first 2 shown]
	v_fmac_f64_e32 v[18:19], v[30:31], v[52:53]
	v_fmac_f64_e32 v[16:17], v[32:33], v[52:53]
	ds_load_b128 v[30:33], v36 offset:32
	ds_load_2addr_b64 v[38:41], v35 offset0:128 offset1:144
	ds_load_b128 v[42:45], v36 offset:1056
	ds_load_b128 v[46:49], v36 offset:48
	;; [unrolled: 1-line block ×3, first 2 shown]
	s_wait_dscnt 0x3
	v_fmac_f64_e32 v[24:25], v[38:39], v[30:31]
	v_fmac_f64_e32 v[20:21], v[40:41], v[30:31]
	s_wait_dscnt 0x2
	v_fmac_f64_e32 v[18:19], v[38:39], v[42:43]
	v_fmac_f64_e32 v[16:17], v[40:41], v[42:43]
	ds_load_2addr_b64 v[38:41], v35 offset0:160 offset1:176
	s_wait_dscnt 0x0
	v_fmac_f64_e32 v[24:25], v[38:39], v[32:33]
	v_fmac_f64_e32 v[20:21], v[40:41], v[32:33]
	;; [unrolled: 1-line block ×4, first 2 shown]
	ds_load_2addr_b64 v[30:33], v35 offset0:192 offset1:208
	s_wait_dscnt 0x0
	v_fmac_f64_e32 v[24:25], v[30:31], v[46:47]
	v_fmac_f64_e32 v[20:21], v[32:33], v[46:47]
	;; [unrolled: 1-line block ×4, first 2 shown]
	ds_load_2addr_b64 v[30:33], v35 offset0:224 offset1:240
	s_wait_dscnt 0x0
	s_barrier_signal -1
	s_barrier_wait -1
	v_fmac_f64_e32 v[24:25], v[30:31], v[48:49]
	v_fmac_f64_e32 v[20:21], v[32:33], v[48:49]
	;; [unrolled: 1-line block ×4, first 2 shown]
	s_cbranch_scc0 .LBB335_13
.LBB335_9:                              ;   Parent Loop BB335_6 Depth=1
                                        ; =>  This Inner Loop Header: Depth=2
	v_add_nc_u32_e32 v30, s26, v2
	s_delay_alu instid0(VALU_DEP_1) | instskip(SKIP_2) | instid1(SALU_CYCLE_1)
	v_cmp_gt_i32_e32 vcc_lo, s15, v30
	v_mov_b64_e32 v[30:31], 0
	s_and_b32 s28, s0, vcc_lo
	s_and_saveexec_b32 s27, s28
	s_cbranch_execz .LBB335_11
; %bb.10:                               ;   in Loop: Header=BB335_9 Depth=2
	flat_load_b64 v[30:31], v[26:27]
.LBB335_11:                             ;   in Loop: Header=BB335_9 Depth=2
	s_wait_xcnt 0x0
	s_or_b32 exec_lo, exec_lo, s27
	v_add_nc_u32_e32 v32, s26, v0
	s_wait_loadcnt_dscnt 0x0
	ds_store_b64 v1, v[30:31]
	v_cmp_gt_i32_e32 vcc_lo, s15, v32
	v_mov_b64_e32 v[32:33], 0
	s_and_b32 s28, vcc_lo, s1
	s_delay_alu instid0(SALU_CYCLE_1)
	s_and_saveexec_b32 s27, s28
	s_cbranch_execz .LBB335_8
; %bb.12:                               ;   in Loop: Header=BB335_9 Depth=2
	flat_load_b64 v[32:33], v[28:29]
	s_branch .LBB335_8
.LBB335_13:                             ;   in Loop: Header=BB335_6 Depth=1
	s_wait_loadcnt 0x0
	v_add_nc_u64_e32 v[22:23], s[8:9], v[22:23]
	s_delay_alu instid0(VALU_DEP_1)
	v_lshl_add_u64 v[26:27], v[6:7], 3, v[22:23]
	s_and_saveexec_b32 s26, s14
	s_cbranch_execz .LBB335_17
; %bb.14:                               ;   in Loop: Header=BB335_6 Depth=1
	v_mul_f64_e32 v[24:25], s[22:23], v[24:25]
	s_delay_alu instid0(VALU_DEP_2)
	v_lshl_add_u64 v[28:29], v[4:5], 3, v[26:27]
	s_and_b32 vcc_lo, exec_lo, s18
	s_cbranch_vccz .LBB335_28
; %bb.15:                               ;   in Loop: Header=BB335_6 Depth=1
	flat_load_b64 v[30:31], v[28:29]
	s_wait_loadcnt_dscnt 0x0
	v_fma_f64 v[30:31], s[20:21], v[30:31], v[24:25]
	flat_store_b64 v[28:29], v[30:31]
	s_cbranch_execnz .LBB335_17
.LBB335_16:                             ;   in Loop: Header=BB335_6 Depth=1
	flat_store_b64 v[28:29], v[24:25]
.LBB335_17:                             ;   in Loop: Header=BB335_6 Depth=1
	s_wait_xcnt 0x0
	s_or_b32 exec_lo, exec_lo, s26
	s_and_saveexec_b32 s26, s33
	s_cbranch_execz .LBB335_21
; %bb.18:                               ;   in Loop: Header=BB335_6 Depth=1
	v_mul_f64_e32 v[20:21], s[22:23], v[20:21]
	v_lshl_add_u64 v[24:25], v[10:11], 3, v[26:27]
	s_and_not1_b32 vcc_lo, exec_lo, s18
	s_cbranch_vccnz .LBB335_29
; %bb.19:                               ;   in Loop: Header=BB335_6 Depth=1
	flat_load_b64 v[26:27], v[24:25]
	s_wait_loadcnt_dscnt 0x0
	v_fma_f64 v[26:27], s[20:21], v[26:27], v[20:21]
	flat_store_b64 v[24:25], v[26:27]
	s_cbranch_execnz .LBB335_21
.LBB335_20:                             ;   in Loop: Header=BB335_6 Depth=1
	flat_store_b64 v[24:25], v[20:21]
.LBB335_21:                             ;   in Loop: Header=BB335_6 Depth=1
	s_wait_xcnt 0x0
	s_or_b32 exec_lo, exec_lo, s26
	v_lshl_add_u64 v[20:21], v[8:9], 3, v[22:23]
	s_and_saveexec_b32 s26, s12
	s_cbranch_execz .LBB335_25
; %bb.22:                               ;   in Loop: Header=BB335_6 Depth=1
	v_mul_f64_e32 v[18:19], s[22:23], v[18:19]
	s_delay_alu instid0(VALU_DEP_2)
	v_lshl_add_u64 v[22:23], v[4:5], 3, v[20:21]
	s_and_not1_b32 vcc_lo, exec_lo, s18
	s_cbranch_vccnz .LBB335_30
; %bb.23:                               ;   in Loop: Header=BB335_6 Depth=1
	flat_load_b64 v[24:25], v[22:23]
	s_wait_loadcnt_dscnt 0x0
	v_fma_f64 v[24:25], s[20:21], v[24:25], v[18:19]
	flat_store_b64 v[22:23], v[24:25]
	s_cbranch_execnz .LBB335_25
.LBB335_24:                             ;   in Loop: Header=BB335_6 Depth=1
	flat_store_b64 v[22:23], v[18:19]
.LBB335_25:                             ;   in Loop: Header=BB335_6 Depth=1
	s_wait_xcnt 0x0
	s_or_b32 exec_lo, exec_lo, s26
	s_and_saveexec_b32 s26, s13
	s_cbranch_execz .LBB335_5
; %bb.26:                               ;   in Loop: Header=BB335_6 Depth=1
	s_delay_alu instid0(VALU_DEP_4)
	v_mul_f64_e32 v[16:17], s[22:23], v[16:17]
	v_lshl_add_u64 v[18:19], v[10:11], 3, v[20:21]
	s_and_not1_b32 vcc_lo, exec_lo, s18
	s_cbranch_vccnz .LBB335_31
; %bb.27:                               ;   in Loop: Header=BB335_6 Depth=1
	flat_load_b64 v[20:21], v[18:19]
	s_wait_loadcnt_dscnt 0x0
	v_fma_f64 v[20:21], s[20:21], v[20:21], v[16:17]
	flat_store_b64 v[18:19], v[20:21]
	s_cbranch_execnz .LBB335_5
	s_branch .LBB335_32
.LBB335_28:                             ;   in Loop: Header=BB335_6 Depth=1
	s_branch .LBB335_16
.LBB335_29:                             ;   in Loop: Header=BB335_6 Depth=1
	s_branch .LBB335_20
.LBB335_30:                             ;   in Loop: Header=BB335_6 Depth=1
	s_branch .LBB335_24
.LBB335_31:                             ;   in Loop: Header=BB335_6 Depth=1
.LBB335_32:                             ;   in Loop: Header=BB335_6 Depth=1
	flat_store_b64 v[18:19], v[16:17]
	s_branch .LBB335_5
.LBB335_33:
	s_endpgm
	.section	.rodata,"a",@progbits
	.p2align	6, 0x0
	.amdhsa_kernel _ZL29rocblas_internal_gemmt_kernelIiLi16ELi32ELi8ELc78ELc67ELc76ELb0ELb0EdPKdPKS1_PKPdEviT_T9_T10_S7_lS9_S7_lS8_T11_S7_li
		.amdhsa_group_segment_fixed_size 4096
		.amdhsa_private_segment_fixed_size 0
		.amdhsa_kernarg_size 100
		.amdhsa_user_sgpr_count 2
		.amdhsa_user_sgpr_dispatch_ptr 0
		.amdhsa_user_sgpr_queue_ptr 0
		.amdhsa_user_sgpr_kernarg_segment_ptr 1
		.amdhsa_user_sgpr_dispatch_id 0
		.amdhsa_user_sgpr_kernarg_preload_length 0
		.amdhsa_user_sgpr_kernarg_preload_offset 0
		.amdhsa_user_sgpr_private_segment_size 0
		.amdhsa_wavefront_size32 1
		.amdhsa_uses_dynamic_stack 0
		.amdhsa_enable_private_segment 0
		.amdhsa_system_sgpr_workgroup_id_x 1
		.amdhsa_system_sgpr_workgroup_id_y 1
		.amdhsa_system_sgpr_workgroup_id_z 1
		.amdhsa_system_sgpr_workgroup_info 0
		.amdhsa_system_vgpr_workitem_id 1
		.amdhsa_next_free_vgpr 54
		.amdhsa_next_free_sgpr 36
		.amdhsa_named_barrier_count 0
		.amdhsa_reserve_vcc 1
		.amdhsa_float_round_mode_32 0
		.amdhsa_float_round_mode_16_64 0
		.amdhsa_float_denorm_mode_32 3
		.amdhsa_float_denorm_mode_16_64 3
		.amdhsa_fp16_overflow 0
		.amdhsa_memory_ordered 1
		.amdhsa_forward_progress 1
		.amdhsa_inst_pref_size 14
		.amdhsa_round_robin_scheduling 0
		.amdhsa_exception_fp_ieee_invalid_op 0
		.amdhsa_exception_fp_denorm_src 0
		.amdhsa_exception_fp_ieee_div_zero 0
		.amdhsa_exception_fp_ieee_overflow 0
		.amdhsa_exception_fp_ieee_underflow 0
		.amdhsa_exception_fp_ieee_inexact 0
		.amdhsa_exception_int_div_zero 0
	.end_amdhsa_kernel
	.section	.text._ZL29rocblas_internal_gemmt_kernelIiLi16ELi32ELi8ELc78ELc67ELc76ELb0ELb0EdPKdPKS1_PKPdEviT_T9_T10_S7_lS9_S7_lS8_T11_S7_li,"axG",@progbits,_ZL29rocblas_internal_gemmt_kernelIiLi16ELi32ELi8ELc78ELc67ELc76ELb0ELb0EdPKdPKS1_PKPdEviT_T9_T10_S7_lS9_S7_lS8_T11_S7_li,comdat
.Lfunc_end335:
	.size	_ZL29rocblas_internal_gemmt_kernelIiLi16ELi32ELi8ELc78ELc67ELc76ELb0ELb0EdPKdPKS1_PKPdEviT_T9_T10_S7_lS9_S7_lS8_T11_S7_li, .Lfunc_end335-_ZL29rocblas_internal_gemmt_kernelIiLi16ELi32ELi8ELc78ELc67ELc76ELb0ELb0EdPKdPKS1_PKPdEviT_T9_T10_S7_lS9_S7_lS8_T11_S7_li
                                        ; -- End function
	.set _ZL29rocblas_internal_gemmt_kernelIiLi16ELi32ELi8ELc78ELc67ELc76ELb0ELb0EdPKdPKS1_PKPdEviT_T9_T10_S7_lS9_S7_lS8_T11_S7_li.num_vgpr, 54
	.set _ZL29rocblas_internal_gemmt_kernelIiLi16ELi32ELi8ELc78ELc67ELc76ELb0ELb0EdPKdPKS1_PKPdEviT_T9_T10_S7_lS9_S7_lS8_T11_S7_li.num_agpr, 0
	.set _ZL29rocblas_internal_gemmt_kernelIiLi16ELi32ELi8ELc78ELc67ELc76ELb0ELb0EdPKdPKS1_PKPdEviT_T9_T10_S7_lS9_S7_lS8_T11_S7_li.numbered_sgpr, 36
	.set _ZL29rocblas_internal_gemmt_kernelIiLi16ELi32ELi8ELc78ELc67ELc76ELb0ELb0EdPKdPKS1_PKPdEviT_T9_T10_S7_lS9_S7_lS8_T11_S7_li.num_named_barrier, 0
	.set _ZL29rocblas_internal_gemmt_kernelIiLi16ELi32ELi8ELc78ELc67ELc76ELb0ELb0EdPKdPKS1_PKPdEviT_T9_T10_S7_lS9_S7_lS8_T11_S7_li.private_seg_size, 0
	.set _ZL29rocblas_internal_gemmt_kernelIiLi16ELi32ELi8ELc78ELc67ELc76ELb0ELb0EdPKdPKS1_PKPdEviT_T9_T10_S7_lS9_S7_lS8_T11_S7_li.uses_vcc, 1
	.set _ZL29rocblas_internal_gemmt_kernelIiLi16ELi32ELi8ELc78ELc67ELc76ELb0ELb0EdPKdPKS1_PKPdEviT_T9_T10_S7_lS9_S7_lS8_T11_S7_li.uses_flat_scratch, 0
	.set _ZL29rocblas_internal_gemmt_kernelIiLi16ELi32ELi8ELc78ELc67ELc76ELb0ELb0EdPKdPKS1_PKPdEviT_T9_T10_S7_lS9_S7_lS8_T11_S7_li.has_dyn_sized_stack, 0
	.set _ZL29rocblas_internal_gemmt_kernelIiLi16ELi32ELi8ELc78ELc67ELc76ELb0ELb0EdPKdPKS1_PKPdEviT_T9_T10_S7_lS9_S7_lS8_T11_S7_li.has_recursion, 0
	.set _ZL29rocblas_internal_gemmt_kernelIiLi16ELi32ELi8ELc78ELc67ELc76ELb0ELb0EdPKdPKS1_PKPdEviT_T9_T10_S7_lS9_S7_lS8_T11_S7_li.has_indirect_call, 0
	.section	.AMDGPU.csdata,"",@progbits
; Kernel info:
; codeLenInByte = 1704
; TotalNumSgprs: 38
; NumVgprs: 54
; ScratchSize: 0
; MemoryBound: 0
; FloatMode: 240
; IeeeMode: 1
; LDSByteSize: 4096 bytes/workgroup (compile time only)
; SGPRBlocks: 0
; VGPRBlocks: 3
; NumSGPRsForWavesPerEU: 38
; NumVGPRsForWavesPerEU: 54
; NamedBarCnt: 0
; Occupancy: 16
; WaveLimiterHint : 1
; COMPUTE_PGM_RSRC2:SCRATCH_EN: 0
; COMPUTE_PGM_RSRC2:USER_SGPR: 2
; COMPUTE_PGM_RSRC2:TRAP_HANDLER: 0
; COMPUTE_PGM_RSRC2:TGID_X_EN: 1
; COMPUTE_PGM_RSRC2:TGID_Y_EN: 1
; COMPUTE_PGM_RSRC2:TGID_Z_EN: 1
; COMPUTE_PGM_RSRC2:TIDIG_COMP_CNT: 1
	.section	.text._ZL29rocblas_internal_gemmt_kernelIiLi16ELi32ELi8ELc84ELc78ELc76ELb0ELb0EdPKdPKS1_PKPdEviT_T9_T10_S7_lS9_S7_lS8_T11_S7_li,"axG",@progbits,_ZL29rocblas_internal_gemmt_kernelIiLi16ELi32ELi8ELc84ELc78ELc76ELb0ELb0EdPKdPKS1_PKPdEviT_T9_T10_S7_lS9_S7_lS8_T11_S7_li,comdat
	.globl	_ZL29rocblas_internal_gemmt_kernelIiLi16ELi32ELi8ELc84ELc78ELc76ELb0ELb0EdPKdPKS1_PKPdEviT_T9_T10_S7_lS9_S7_lS8_T11_S7_li ; -- Begin function _ZL29rocblas_internal_gemmt_kernelIiLi16ELi32ELi8ELc84ELc78ELc76ELb0ELb0EdPKdPKS1_PKPdEviT_T9_T10_S7_lS9_S7_lS8_T11_S7_li
	.p2align	8
	.type	_ZL29rocblas_internal_gemmt_kernelIiLi16ELi32ELi8ELc84ELc78ELc76ELb0ELb0EdPKdPKS1_PKPdEviT_T9_T10_S7_lS9_S7_lS8_T11_S7_li,@function
_ZL29rocblas_internal_gemmt_kernelIiLi16ELi32ELi8ELc84ELc78ELc76ELb0ELb0EdPKdPKS1_PKPdEviT_T9_T10_S7_lS9_S7_lS8_T11_S7_li: ; @_ZL29rocblas_internal_gemmt_kernelIiLi16ELi32ELi8ELc84ELc78ELc76ELb0ELb0EdPKdPKS1_PKPdEviT_T9_T10_S7_lS9_S7_lS8_T11_S7_li
; %bb.0:
	s_load_b128 s[12:15], s[0:1], 0x38
	s_wait_kmcnt 0x0
	s_load_b64 s[20:21], s[14:15], 0x0
	s_load_b128 s[4:7], s[0:1], 0x8
	s_wait_xcnt 0x0
	s_load_b64 s[14:15], s[0:1], 0x0
	s_wait_kmcnt 0x0
	s_load_b64 s[22:23], s[4:5], 0x0
	v_cmp_neq_f64_e64 s2, s[20:21], 1.0
	s_and_b32 vcc_lo, exec_lo, s2
	s_cbranch_vccnz .LBB336_2
; %bb.1:
	s_wait_kmcnt 0x0
	v_cmp_neq_f64_e64 s2, s[22:23], 0
	s_cmp_lg_u32 s15, 0
	s_cselect_b32 s3, -1, 0
	s_delay_alu instid0(SALU_CYCLE_1)
	s_and_b32 s2, s3, s2
.LBB336_2:
	s_delay_alu instid0(SALU_CYCLE_1)
	s_and_not1_b32 vcc_lo, exec_lo, s2
	s_cbranch_vccnz .LBB336_33
; %bb.3:
	s_load_b32 s19, s[0:1], 0x60
	s_bfe_u32 s2, ttmp6, 0x40014
	s_lshr_b32 s3, ttmp7, 16
	s_add_co_i32 s2, s2, 1
	s_wait_xcnt 0x0
	s_bfe_u32 s4, ttmp6, 0x40008
	s_mul_i32 s2, s3, s2
	s_getreg_b32 s28, hwreg(HW_REG_IB_STS2, 6, 4)
	s_add_co_i32 s4, s4, s2
	s_cmp_eq_u32 s28, 0
	s_mov_b32 s25, 0
	s_cselect_b32 s24, s3, s4
	s_wait_kmcnt 0x0
	s_cmp_ge_u32 s24, s19
	s_cbranch_scc1 .LBB336_33
; %bb.4:
	s_clause 0x3
	s_load_b32 s4, s[0:1], 0x18
	s_load_b32 s2, s[0:1], 0x30
	s_load_b96 s[16:18], s[0:1], 0x48
	s_load_b128 s[8:11], s[0:1], 0x20
	v_and_b32_e32 v2, 0x3ff, v0
	v_bfe_u32 v3, v0, 10, 10
	s_load_b64 s[26:27], s[0:1], 0x58
	s_wait_xcnt 0x0
	s_bfe_u32 s1, ttmp6, 0x4000c
	s_bfe_u32 s3, ttmp6, 0x40010
	s_and_b32 s29, ttmp7, 0xffff
	s_add_co_i32 s1, s1, 1
	s_add_co_i32 s3, s3, 1
	v_lshl_add_u32 v4, v3, 4, v2
	s_and_b32 s0, ttmp6, 15
	s_bfe_u32 s30, ttmp6, 0x40004
	s_mul_i32 s31, ttmp9, s1
	s_mul_i32 s33, s29, s3
	s_add_co_i32 s0, s0, s31
	s_add_co_i32 s30, s30, s33
	v_dual_lshrrev_b32 v5, 3, v4 :: v_dual_bitop2_b32 v6, 31, v4 bitop3:0x40
	s_wait_kmcnt 0x0
	s_ashr_i32 s5, s4, 31
	s_ashr_i32 s3, s2, 31
	;; [unrolled: 1-line block ×3, first 2 shown]
	s_cmp_eq_u32 s28, 0
	v_dual_lshlrev_b32 v33, 3, v2 :: v_dual_lshrrev_b32 v35, 5, v4
	s_cselect_b32 s0, ttmp9, s0
	s_cselect_b32 s28, s29, s30
	s_lshl_b32 s29, s0, 5
	s_lshl_b32 s0, s28, 5
	s_delay_alu instid0(SALU_CYCLE_1) | instskip(SKIP_2) | instid1(VALU_DEP_3)
	v_dual_add_nc_u32 v12, s0, v5 :: v_dual_bitop2_b32 v10, s29, v6 bitop3:0x54
	v_dual_add_nc_u32 v14, s0, v3 :: v_dual_bitop2_b32 v32, 7, v0 bitop3:0x40
	v_cmp_neq_f64_e64 s33, s[22:23], 0
	v_dual_ashrrev_i32 v11, 31, v10 :: v_dual_ashrrev_i32 v13, 31, v12
	s_delay_alu instid0(VALU_DEP_3) | instskip(NEXT) | instid1(VALU_DEP_4)
	v_dual_mov_b32 v1, 0 :: v_dual_lshlrev_b32 v20, 3, v32
	v_dual_add_nc_u32 v22, 16, v14 :: v_dual_ashrrev_i32 v15, 31, v14
	s_delay_alu instid0(VALU_DEP_3) | instskip(NEXT) | instid1(VALU_DEP_4)
	v_mul_u64_e32 v[16:17], s[4:5], v[10:11]
	v_mul_u64_e32 v[18:19], s[2:3], v[12:13]
	s_delay_alu instid0(VALU_DEP_4) | instskip(NEXT) | instid1(VALU_DEP_4)
	v_dual_mov_b32 v21, v1 :: v_dual_lshlrev_b32 v0, 3, v6
	v_ashrrev_i32_e32 v23, 31, v22
	s_mov_b32 s0, s18
	v_cmp_neq_f64_e64 s28, s[20:21], 0
	v_lshl_add_u32 v34, v3, 6, 0x800
	v_lshl_or_b32 v3, v5, 6, v20
	v_mul_u64_e32 v[4:5], s[0:1], v[14:15]
	v_lshl_or_b32 v36, v35, 8, v0
	v_lshlrev_b32_e32 v0, 3, v35
	v_mul_u64_e32 v[6:7], s[0:1], v[22:23]
	v_add_nc_u32_e32 v2, s29, v2
	s_cmp_gt_i32 s15, 0
	v_add_nc_u32_e32 v37, 0x800, v3
	s_cselect_b32 s18, -1, 0
	s_lshl_b64 s[30:31], s[8:9], 3
	v_add_nc_u32_e32 v8, 16, v2
	s_lshl_b64 s[12:13], s[12:13], 3
	v_cmp_gt_i32_e64 s0, s14, v10
	v_cmp_gt_i32_e64 s1, s14, v12
	s_delay_alu instid0(VALU_DEP_3)
	v_ashrrev_i32_e32 v9, 31, v8
	v_cmp_le_i32_e32 vcc_lo, v14, v2
	v_cmp_gt_i32_e64 s2, s14, v2
	v_ashrrev_i32_e32 v3, 31, v2
	v_cmp_le_i32_e64 s3, v14, v8
	v_cmp_gt_i32_e64 s4, s14, v8
	s_and_b32 s9, s33, s18
	s_and_b32 s5, vcc_lo, s2
	v_cmp_le_i32_e32 vcc_lo, v22, v2
	v_lshl_add_u64 v[10:11], v[16:17], 3, s[30:31]
	v_lshl_add_u64 v[12:13], v[18:19], 3, s[12:13]
	s_and_b32 s8, s3, s4
	v_cmp_le_i32_e64 s3, v22, v8
	s_and_b32 s12, vcc_lo, s2
	v_add_nc_u64_e32 v[10:11], v[10:11], v[0:1]
	v_add_nc_u64_e32 v[12:13], v[12:13], v[20:21]
	s_and_b32 s4, s3, s4
	s_lshl_b64 s[2:3], s[26:27], 3
	s_branch .LBB336_6
.LBB336_5:                              ;   in Loop: Header=BB336_6 Depth=1
	s_wait_xcnt 0x0
	s_or_b32 exec_lo, exec_lo, s13
	s_add_co_i32 s24, s24, 0x10000
	s_delay_alu instid0(SALU_CYCLE_1)
	s_cmp_lt_u32 s24, s19
	s_cbranch_scc0 .LBB336_33
.LBB336_6:                              ; =>This Loop Header: Depth=1
                                        ;     Child Loop BB336_9 Depth 2
	v_mov_b32_e32 v0, s24
	v_mov_b64_e32 v[22:23], 0
	v_mov_b64_e32 v[18:19], 0
	;; [unrolled: 1-line block ×4, first 2 shown]
	global_load_b64 v[20:21], v0, s[16:17] scale_offset
	s_and_not1_b32 vcc_lo, exec_lo, s9
	s_cbranch_vccnz .LBB336_13
; %bb.7:                                ;   in Loop: Header=BB336_6 Depth=1
	s_lshl_b64 s[26:27], s[24:25], 3
	v_mov_b64_e32 v[14:15], 0
	s_add_nc_u64 s[30:31], s[6:7], s[26:27]
	s_add_nc_u64 s[26:27], s[10:11], s[26:27]
	s_clause 0x1
	global_load_b64 v[22:23], v1, s[30:31]
	global_load_b64 v[26:27], v1, s[26:27]
	v_mov_b64_e32 v[16:17], 0
	v_mov_b64_e32 v[18:19], 0
	s_mov_b32 s13, 0
	s_wait_loadcnt 0x1
	v_add_nc_u64_e32 v[24:25], v[22:23], v[10:11]
	s_wait_loadcnt 0x0
	v_add_nc_u64_e32 v[26:27], v[26:27], v[12:13]
	v_mov_b64_e32 v[22:23], 0
	s_branch .LBB336_9
.LBB336_8:                              ;   in Loop: Header=BB336_9 Depth=2
	s_wait_xcnt 0x0
	s_or_b32 exec_lo, exec_lo, s14
	s_wait_loadcnt_dscnt 0x0
	ds_store_b64 v37, v[30:31]
	s_wait_dscnt 0x0
	s_barrier_signal -1
	s_barrier_wait -1
	ds_load_b128 v[28:31], v34
	ds_load_2addr_b64 v[38:41], v33 offset1:16
	ds_load_b128 v[42:45], v34 offset:1024
	ds_load_b128 v[46:49], v34 offset:16
	;; [unrolled: 1-line block ×3, first 2 shown]
	v_add_nc_u64_e32 v[24:25], 64, v[24:25]
	v_add_nc_u64_e32 v[26:27], 64, v[26:27]
	s_add_co_i32 s13, s13, 8
	s_delay_alu instid0(SALU_CYCLE_1)
	s_cmp_lt_i32 s13, s15
	s_wait_dscnt 0x3
	v_fmac_f64_e32 v[22:23], v[38:39], v[28:29]
	v_fmac_f64_e32 v[18:19], v[40:41], v[28:29]
	s_wait_dscnt 0x2
	v_fmac_f64_e32 v[16:17], v[38:39], v[42:43]
	v_fmac_f64_e32 v[14:15], v[40:41], v[42:43]
	ds_load_2addr_b64 v[38:41], v33 offset0:32 offset1:48
	s_wait_dscnt 0x0
	v_fmac_f64_e32 v[22:23], v[38:39], v[30:31]
	v_fmac_f64_e32 v[18:19], v[40:41], v[30:31]
	v_fmac_f64_e32 v[16:17], v[38:39], v[44:45]
	v_fmac_f64_e32 v[14:15], v[40:41], v[44:45]
	ds_load_2addr_b64 v[28:31], v33 offset0:64 offset1:80
	s_wait_dscnt 0x0
	v_fmac_f64_e32 v[22:23], v[28:29], v[46:47]
	v_fmac_f64_e32 v[18:19], v[30:31], v[46:47]
	;; [unrolled: 6-line block ×3, first 2 shown]
	v_fmac_f64_e32 v[16:17], v[28:29], v[52:53]
	v_fmac_f64_e32 v[14:15], v[30:31], v[52:53]
	ds_load_b128 v[28:31], v34 offset:32
	ds_load_2addr_b64 v[38:41], v33 offset0:128 offset1:144
	ds_load_b128 v[42:45], v34 offset:1056
	ds_load_b128 v[46:49], v34 offset:48
	;; [unrolled: 1-line block ×3, first 2 shown]
	s_wait_dscnt 0x3
	v_fmac_f64_e32 v[22:23], v[38:39], v[28:29]
	v_fmac_f64_e32 v[18:19], v[40:41], v[28:29]
	s_wait_dscnt 0x2
	v_fmac_f64_e32 v[16:17], v[38:39], v[42:43]
	v_fmac_f64_e32 v[14:15], v[40:41], v[42:43]
	ds_load_2addr_b64 v[38:41], v33 offset0:160 offset1:176
	s_wait_dscnt 0x0
	v_fmac_f64_e32 v[22:23], v[38:39], v[30:31]
	v_fmac_f64_e32 v[18:19], v[40:41], v[30:31]
	;; [unrolled: 1-line block ×4, first 2 shown]
	ds_load_2addr_b64 v[28:31], v33 offset0:192 offset1:208
	s_wait_dscnt 0x0
	v_fmac_f64_e32 v[22:23], v[28:29], v[46:47]
	v_fmac_f64_e32 v[18:19], v[30:31], v[46:47]
	v_fmac_f64_e32 v[16:17], v[28:29], v[50:51]
	v_fmac_f64_e32 v[14:15], v[30:31], v[50:51]
	ds_load_2addr_b64 v[28:31], v33 offset0:224 offset1:240
	s_wait_dscnt 0x0
	s_barrier_signal -1
	s_barrier_wait -1
	v_fmac_f64_e32 v[22:23], v[28:29], v[48:49]
	v_fmac_f64_e32 v[18:19], v[30:31], v[48:49]
	;; [unrolled: 1-line block ×4, first 2 shown]
	s_cbranch_scc0 .LBB336_13
.LBB336_9:                              ;   Parent Loop BB336_6 Depth=1
                                        ; =>  This Inner Loop Header: Depth=2
	s_wait_xcnt 0x2
	v_add_nc_u32_e32 v0, s13, v35
	v_mov_b64_e32 v[28:29], 0
	s_delay_alu instid0(VALU_DEP_2)
	v_cmp_gt_i32_e32 vcc_lo, s15, v0
	s_and_b32 s18, s0, vcc_lo
	s_wait_xcnt 0x0
	s_and_saveexec_b32 s14, s18
	s_cbranch_execz .LBB336_11
; %bb.10:                               ;   in Loop: Header=BB336_9 Depth=2
	flat_load_b64 v[28:29], v[24:25]
.LBB336_11:                             ;   in Loop: Header=BB336_9 Depth=2
	s_wait_xcnt 0x0
	s_or_b32 exec_lo, exec_lo, s14
	v_add_nc_u32_e32 v0, s13, v32
	v_mov_b64_e32 v[30:31], 0
	s_wait_loadcnt_dscnt 0x0
	ds_store_b64 v36, v[28:29]
	v_cmp_gt_i32_e32 vcc_lo, s15, v0
	s_and_b32 s18, vcc_lo, s1
	s_delay_alu instid0(SALU_CYCLE_1)
	s_and_saveexec_b32 s14, s18
	s_cbranch_execz .LBB336_8
; %bb.12:                               ;   in Loop: Header=BB336_9 Depth=2
	flat_load_b64 v[30:31], v[26:27]
	s_branch .LBB336_8
.LBB336_13:                             ;   in Loop: Header=BB336_6 Depth=1
	s_wait_loadcnt 0x0
	v_add_nc_u64_e32 v[20:21], s[2:3], v[20:21]
	s_delay_alu instid0(VALU_DEP_1)
	v_lshl_add_u64 v[24:25], v[4:5], 3, v[20:21]
	s_wait_xcnt 0x0
	s_and_saveexec_b32 s13, s5
	s_cbranch_execz .LBB336_17
; %bb.14:                               ;   in Loop: Header=BB336_6 Depth=1
	v_mul_f64_e32 v[22:23], s[22:23], v[22:23]
	v_lshl_add_u64 v[26:27], v[2:3], 3, v[24:25]
	s_and_b32 vcc_lo, exec_lo, s28
	s_cbranch_vccz .LBB336_28
; %bb.15:                               ;   in Loop: Header=BB336_6 Depth=1
	flat_load_b64 v[28:29], v[26:27]
	s_wait_loadcnt_dscnt 0x0
	v_fma_f64 v[28:29], s[20:21], v[28:29], v[22:23]
	flat_store_b64 v[26:27], v[28:29]
	s_cbranch_execnz .LBB336_17
.LBB336_16:                             ;   in Loop: Header=BB336_6 Depth=1
	flat_store_b64 v[26:27], v[22:23]
.LBB336_17:                             ;   in Loop: Header=BB336_6 Depth=1
	s_wait_xcnt 0x0
	s_or_b32 exec_lo, exec_lo, s13
	s_and_saveexec_b32 s13, s8
	s_cbranch_execz .LBB336_21
; %bb.18:                               ;   in Loop: Header=BB336_6 Depth=1
	v_mul_f64_e32 v[18:19], s[22:23], v[18:19]
	v_lshl_add_u64 v[22:23], v[8:9], 3, v[24:25]
	s_and_not1_b32 vcc_lo, exec_lo, s28
	s_cbranch_vccnz .LBB336_29
; %bb.19:                               ;   in Loop: Header=BB336_6 Depth=1
	flat_load_b64 v[24:25], v[22:23]
	s_wait_loadcnt_dscnt 0x0
	v_fma_f64 v[24:25], s[20:21], v[24:25], v[18:19]
	flat_store_b64 v[22:23], v[24:25]
	s_cbranch_execnz .LBB336_21
.LBB336_20:                             ;   in Loop: Header=BB336_6 Depth=1
	flat_store_b64 v[22:23], v[18:19]
.LBB336_21:                             ;   in Loop: Header=BB336_6 Depth=1
	s_wait_xcnt 0x0
	s_or_b32 exec_lo, exec_lo, s13
	v_lshl_add_u64 v[18:19], v[6:7], 3, v[20:21]
	s_and_saveexec_b32 s13, s12
	s_cbranch_execz .LBB336_25
; %bb.22:                               ;   in Loop: Header=BB336_6 Depth=1
	v_mul_f64_e32 v[16:17], s[22:23], v[16:17]
	s_delay_alu instid0(VALU_DEP_2)
	v_lshl_add_u64 v[20:21], v[2:3], 3, v[18:19]
	s_and_not1_b32 vcc_lo, exec_lo, s28
	s_cbranch_vccnz .LBB336_30
; %bb.23:                               ;   in Loop: Header=BB336_6 Depth=1
	flat_load_b64 v[22:23], v[20:21]
	s_wait_loadcnt_dscnt 0x0
	v_fma_f64 v[22:23], s[20:21], v[22:23], v[16:17]
	flat_store_b64 v[20:21], v[22:23]
	s_cbranch_execnz .LBB336_25
.LBB336_24:                             ;   in Loop: Header=BB336_6 Depth=1
	flat_store_b64 v[20:21], v[16:17]
.LBB336_25:                             ;   in Loop: Header=BB336_6 Depth=1
	s_wait_xcnt 0x0
	s_or_b32 exec_lo, exec_lo, s13
	s_and_saveexec_b32 s13, s4
	s_cbranch_execz .LBB336_5
; %bb.26:                               ;   in Loop: Header=BB336_6 Depth=1
	s_delay_alu instid0(VALU_DEP_4)
	v_mul_f64_e32 v[14:15], s[22:23], v[14:15]
	v_lshl_add_u64 v[16:17], v[8:9], 3, v[18:19]
	s_and_not1_b32 vcc_lo, exec_lo, s28
	s_cbranch_vccnz .LBB336_31
; %bb.27:                               ;   in Loop: Header=BB336_6 Depth=1
	flat_load_b64 v[18:19], v[16:17]
	s_wait_loadcnt_dscnt 0x0
	v_fma_f64 v[18:19], s[20:21], v[18:19], v[14:15]
	flat_store_b64 v[16:17], v[18:19]
	s_cbranch_execnz .LBB336_5
	s_branch .LBB336_32
.LBB336_28:                             ;   in Loop: Header=BB336_6 Depth=1
	s_branch .LBB336_16
.LBB336_29:                             ;   in Loop: Header=BB336_6 Depth=1
	s_branch .LBB336_20
.LBB336_30:                             ;   in Loop: Header=BB336_6 Depth=1
	s_branch .LBB336_24
.LBB336_31:                             ;   in Loop: Header=BB336_6 Depth=1
.LBB336_32:                             ;   in Loop: Header=BB336_6 Depth=1
	flat_store_b64 v[16:17], v[14:15]
	s_branch .LBB336_5
.LBB336_33:
	s_endpgm
	.section	.rodata,"a",@progbits
	.p2align	6, 0x0
	.amdhsa_kernel _ZL29rocblas_internal_gemmt_kernelIiLi16ELi32ELi8ELc84ELc78ELc76ELb0ELb0EdPKdPKS1_PKPdEviT_T9_T10_S7_lS9_S7_lS8_T11_S7_li
		.amdhsa_group_segment_fixed_size 4096
		.amdhsa_private_segment_fixed_size 0
		.amdhsa_kernarg_size 100
		.amdhsa_user_sgpr_count 2
		.amdhsa_user_sgpr_dispatch_ptr 0
		.amdhsa_user_sgpr_queue_ptr 0
		.amdhsa_user_sgpr_kernarg_segment_ptr 1
		.amdhsa_user_sgpr_dispatch_id 0
		.amdhsa_user_sgpr_kernarg_preload_length 0
		.amdhsa_user_sgpr_kernarg_preload_offset 0
		.amdhsa_user_sgpr_private_segment_size 0
		.amdhsa_wavefront_size32 1
		.amdhsa_uses_dynamic_stack 0
		.amdhsa_enable_private_segment 0
		.amdhsa_system_sgpr_workgroup_id_x 1
		.amdhsa_system_sgpr_workgroup_id_y 1
		.amdhsa_system_sgpr_workgroup_id_z 1
		.amdhsa_system_sgpr_workgroup_info 0
		.amdhsa_system_vgpr_workitem_id 1
		.amdhsa_next_free_vgpr 54
		.amdhsa_next_free_sgpr 34
		.amdhsa_named_barrier_count 0
		.amdhsa_reserve_vcc 1
		.amdhsa_float_round_mode_32 0
		.amdhsa_float_round_mode_16_64 0
		.amdhsa_float_denorm_mode_32 3
		.amdhsa_float_denorm_mode_16_64 3
		.amdhsa_fp16_overflow 0
		.amdhsa_memory_ordered 1
		.amdhsa_forward_progress 1
		.amdhsa_inst_pref_size 14
		.amdhsa_round_robin_scheduling 0
		.amdhsa_exception_fp_ieee_invalid_op 0
		.amdhsa_exception_fp_denorm_src 0
		.amdhsa_exception_fp_ieee_div_zero 0
		.amdhsa_exception_fp_ieee_overflow 0
		.amdhsa_exception_fp_ieee_underflow 0
		.amdhsa_exception_fp_ieee_inexact 0
		.amdhsa_exception_int_div_zero 0
	.end_amdhsa_kernel
	.section	.text._ZL29rocblas_internal_gemmt_kernelIiLi16ELi32ELi8ELc84ELc78ELc76ELb0ELb0EdPKdPKS1_PKPdEviT_T9_T10_S7_lS9_S7_lS8_T11_S7_li,"axG",@progbits,_ZL29rocblas_internal_gemmt_kernelIiLi16ELi32ELi8ELc84ELc78ELc76ELb0ELb0EdPKdPKS1_PKPdEviT_T9_T10_S7_lS9_S7_lS8_T11_S7_li,comdat
.Lfunc_end336:
	.size	_ZL29rocblas_internal_gemmt_kernelIiLi16ELi32ELi8ELc84ELc78ELc76ELb0ELb0EdPKdPKS1_PKPdEviT_T9_T10_S7_lS9_S7_lS8_T11_S7_li, .Lfunc_end336-_ZL29rocblas_internal_gemmt_kernelIiLi16ELi32ELi8ELc84ELc78ELc76ELb0ELb0EdPKdPKS1_PKPdEviT_T9_T10_S7_lS9_S7_lS8_T11_S7_li
                                        ; -- End function
	.set _ZL29rocblas_internal_gemmt_kernelIiLi16ELi32ELi8ELc84ELc78ELc76ELb0ELb0EdPKdPKS1_PKPdEviT_T9_T10_S7_lS9_S7_lS8_T11_S7_li.num_vgpr, 54
	.set _ZL29rocblas_internal_gemmt_kernelIiLi16ELi32ELi8ELc84ELc78ELc76ELb0ELb0EdPKdPKS1_PKPdEviT_T9_T10_S7_lS9_S7_lS8_T11_S7_li.num_agpr, 0
	.set _ZL29rocblas_internal_gemmt_kernelIiLi16ELi32ELi8ELc84ELc78ELc76ELb0ELb0EdPKdPKS1_PKPdEviT_T9_T10_S7_lS9_S7_lS8_T11_S7_li.numbered_sgpr, 34
	.set _ZL29rocblas_internal_gemmt_kernelIiLi16ELi32ELi8ELc84ELc78ELc76ELb0ELb0EdPKdPKS1_PKPdEviT_T9_T10_S7_lS9_S7_lS8_T11_S7_li.num_named_barrier, 0
	.set _ZL29rocblas_internal_gemmt_kernelIiLi16ELi32ELi8ELc84ELc78ELc76ELb0ELb0EdPKdPKS1_PKPdEviT_T9_T10_S7_lS9_S7_lS8_T11_S7_li.private_seg_size, 0
	.set _ZL29rocblas_internal_gemmt_kernelIiLi16ELi32ELi8ELc84ELc78ELc76ELb0ELb0EdPKdPKS1_PKPdEviT_T9_T10_S7_lS9_S7_lS8_T11_S7_li.uses_vcc, 1
	.set _ZL29rocblas_internal_gemmt_kernelIiLi16ELi32ELi8ELc84ELc78ELc76ELb0ELb0EdPKdPKS1_PKPdEviT_T9_T10_S7_lS9_S7_lS8_T11_S7_li.uses_flat_scratch, 0
	.set _ZL29rocblas_internal_gemmt_kernelIiLi16ELi32ELi8ELc84ELc78ELc76ELb0ELb0EdPKdPKS1_PKPdEviT_T9_T10_S7_lS9_S7_lS8_T11_S7_li.has_dyn_sized_stack, 0
	.set _ZL29rocblas_internal_gemmt_kernelIiLi16ELi32ELi8ELc84ELc78ELc76ELb0ELb0EdPKdPKS1_PKPdEviT_T9_T10_S7_lS9_S7_lS8_T11_S7_li.has_recursion, 0
	.set _ZL29rocblas_internal_gemmt_kernelIiLi16ELi32ELi8ELc84ELc78ELc76ELb0ELb0EdPKdPKS1_PKPdEviT_T9_T10_S7_lS9_S7_lS8_T11_S7_li.has_indirect_call, 0
	.section	.AMDGPU.csdata,"",@progbits
; Kernel info:
; codeLenInByte = 1704
; TotalNumSgprs: 36
; NumVgprs: 54
; ScratchSize: 0
; MemoryBound: 0
; FloatMode: 240
; IeeeMode: 1
; LDSByteSize: 4096 bytes/workgroup (compile time only)
; SGPRBlocks: 0
; VGPRBlocks: 3
; NumSGPRsForWavesPerEU: 36
; NumVGPRsForWavesPerEU: 54
; NamedBarCnt: 0
; Occupancy: 16
; WaveLimiterHint : 1
; COMPUTE_PGM_RSRC2:SCRATCH_EN: 0
; COMPUTE_PGM_RSRC2:USER_SGPR: 2
; COMPUTE_PGM_RSRC2:TRAP_HANDLER: 0
; COMPUTE_PGM_RSRC2:TGID_X_EN: 1
; COMPUTE_PGM_RSRC2:TGID_Y_EN: 1
; COMPUTE_PGM_RSRC2:TGID_Z_EN: 1
; COMPUTE_PGM_RSRC2:TIDIG_COMP_CNT: 1
	.section	.text._ZL29rocblas_internal_gemmt_kernelIiLi16ELi32ELi8ELc84ELc84ELc76ELb0ELb0EdPKdPKS1_PKPdEviT_T9_T10_S7_lS9_S7_lS8_T11_S7_li,"axG",@progbits,_ZL29rocblas_internal_gemmt_kernelIiLi16ELi32ELi8ELc84ELc84ELc76ELb0ELb0EdPKdPKS1_PKPdEviT_T9_T10_S7_lS9_S7_lS8_T11_S7_li,comdat
	.globl	_ZL29rocblas_internal_gemmt_kernelIiLi16ELi32ELi8ELc84ELc84ELc76ELb0ELb0EdPKdPKS1_PKPdEviT_T9_T10_S7_lS9_S7_lS8_T11_S7_li ; -- Begin function _ZL29rocblas_internal_gemmt_kernelIiLi16ELi32ELi8ELc84ELc84ELc76ELb0ELb0EdPKdPKS1_PKPdEviT_T9_T10_S7_lS9_S7_lS8_T11_S7_li
	.p2align	8
	.type	_ZL29rocblas_internal_gemmt_kernelIiLi16ELi32ELi8ELc84ELc84ELc76ELb0ELb0EdPKdPKS1_PKPdEviT_T9_T10_S7_lS9_S7_lS8_T11_S7_li,@function
_ZL29rocblas_internal_gemmt_kernelIiLi16ELi32ELi8ELc84ELc84ELc76ELb0ELb0EdPKdPKS1_PKPdEviT_T9_T10_S7_lS9_S7_lS8_T11_S7_li: ; @_ZL29rocblas_internal_gemmt_kernelIiLi16ELi32ELi8ELc84ELc84ELc76ELb0ELb0EdPKdPKS1_PKPdEviT_T9_T10_S7_lS9_S7_lS8_T11_S7_li
; %bb.0:
	s_load_b128 s[12:15], s[0:1], 0x38
	s_wait_kmcnt 0x0
	s_load_b64 s[20:21], s[14:15], 0x0
	s_load_b128 s[4:7], s[0:1], 0x8
	s_wait_xcnt 0x0
	s_load_b64 s[14:15], s[0:1], 0x0
	s_wait_kmcnt 0x0
	s_load_b64 s[22:23], s[4:5], 0x0
	v_cmp_neq_f64_e64 s2, s[20:21], 1.0
	s_and_b32 vcc_lo, exec_lo, s2
	s_cbranch_vccnz .LBB337_2
; %bb.1:
	s_wait_kmcnt 0x0
	v_cmp_neq_f64_e64 s2, s[22:23], 0
	s_cmp_lg_u32 s15, 0
	s_cselect_b32 s3, -1, 0
	s_delay_alu instid0(SALU_CYCLE_1)
	s_and_b32 s2, s3, s2
.LBB337_2:
	s_delay_alu instid0(SALU_CYCLE_1)
	s_and_not1_b32 vcc_lo, exec_lo, s2
	s_cbranch_vccnz .LBB337_33
; %bb.3:
	s_load_b32 s19, s[0:1], 0x60
	s_bfe_u32 s2, ttmp6, 0x40014
	s_lshr_b32 s3, ttmp7, 16
	s_add_co_i32 s2, s2, 1
	s_wait_xcnt 0x0
	s_bfe_u32 s5, ttmp6, 0x40008
	s_mul_i32 s2, s3, s2
	s_getreg_b32 s4, hwreg(HW_REG_IB_STS2, 6, 4)
	s_add_co_i32 s5, s5, s2
	s_cmp_eq_u32 s4, 0
	s_mov_b32 s25, 0
	s_cselect_b32 s24, s3, s5
	s_wait_kmcnt 0x0
	s_cmp_ge_u32 s24, s19
	s_cbranch_scc1 .LBB337_33
; %bb.4:
	s_clause 0x3
	s_load_b32 s2, s[0:1], 0x18
	s_load_b32 s26, s[0:1], 0x30
	s_load_b96 s[16:18], s[0:1], 0x48
	s_load_b128 s[8:11], s[0:1], 0x20
	v_and_b32_e32 v2, 0x3ff, v0
	v_bfe_u32 v11, v0, 10, 10
	s_load_b64 s[28:29], s[0:1], 0x58
	s_wait_xcnt 0x0
	s_bfe_u32 s1, ttmp6, 0x4000c
	s_bfe_u32 s3, ttmp6, 0x40010
	s_and_b32 s30, ttmp7, 0xffff
	s_add_co_i32 s1, s1, 1
	s_add_co_i32 s3, s3, 1
	v_lshl_add_u32 v1, v11, 4, v2
	s_and_b32 s0, ttmp6, 15
	s_bfe_u32 s31, ttmp6, 0x40004
	s_mul_i32 s1, ttmp9, s1
	s_mul_i32 s33, s30, s3
	s_add_co_i32 s0, s0, s1
	s_add_co_i32 s31, s31, s33
	v_dual_lshrrev_b32 v34, 5, v1 :: v_dual_bitop2_b32 v6, 31, v1 bitop3:0x40
	s_wait_kmcnt 0x0
	s_ashr_i32 s3, s2, 31
	s_ashr_i32 s27, s26, 31
	s_ashr_i32 s5, s18, 31
	s_cmp_eq_u32 s4, 0
	v_dual_mov_b32 v3, 0 :: v_dual_bitop2_b32 v0, 7, v0 bitop3:0x40
	s_cselect_b32 s0, ttmp9, s0
	s_cselect_b32 s1, s30, s31
	s_lshl_b32 s30, s0, 5
	s_delay_alu instid0(SALU_CYCLE_1) | instskip(SKIP_1) | instid1(SALU_CYCLE_1)
	v_dual_lshrrev_b32 v7, 3, v1 :: v_dual_bitop2_b32 v4, s30, v6 bitop3:0x54
	s_lshl_b32 s0, s1, 5
	v_dual_mov_b32 v1, v3 :: v_dual_add_nc_u32 v12, s0, v11
	s_delay_alu instid0(VALU_DEP_2) | instskip(SKIP_1) | instid1(VALU_DEP_3)
	v_dual_add_nc_u32 v14, s0, v7 :: v_dual_ashrrev_i32 v5, 31, v4
	v_cmp_gt_i32_e64 s0, s14, v4
	v_mul_u64_e32 v[18:19], s[26:27], v[0:1]
	s_delay_alu instid0(VALU_DEP_4) | instskip(SKIP_3) | instid1(VALU_DEP_4)
	v_add_nc_u32_e32 v20, 16, v12
	v_lshlrev_b32_e32 v1, 3, v0
	v_mul_u64_e32 v[16:17], s[2:3], v[4:5]
	v_dual_lshlrev_b32 v5, 3, v6 :: v_dual_ashrrev_i32 v13, 31, v12
	v_dual_ashrrev_i32 v21, 31, v20 :: v_dual_lshlrev_b32 v36, 3, v2
	v_add_nc_u32_e32 v4, s30, v2
	v_lshl_or_b32 v15, v7, 6, v1
	s_mov_b32 s4, s18
	v_cmp_neq_f64_e64 s31, s[22:23], 0
	v_cmp_neq_f64_e64 s18, s[20:21], 0
	v_mul_u64_e32 v[8:9], s[4:5], v[20:21]
	v_add_nc_u32_e32 v35, 0x800, v15
	v_ashrrev_i32_e32 v15, 31, v14
	v_mul_u64_e32 v[6:7], s[4:5], v[12:13]
	v_add_nc_u32_e32 v10, 16, v4
	v_cmp_le_i32_e32 vcc_lo, v12, v4
	v_cmp_gt_i32_e64 s2, s14, v4
	s_cmp_gt_i32 s15, 0
	v_lshl_or_b32 v1, v34, 8, v5
	s_cselect_b32 s33, -1, 0
	s_lshl_b64 s[8:9], s[8:9], 3
	v_cmp_gt_i32_e64 s1, s14, v14
	v_ashrrev_i32_e32 v5, 31, v4
	v_cmp_le_i32_e64 s3, v12, v10
	v_cmp_gt_i32_e64 s4, s14, v10
	s_and_b32 s14, vcc_lo, s2
	v_cmp_le_i32_e32 vcc_lo, v20, v4
	v_lshlrev_b32_e32 v2, 3, v34
	v_lshl_add_u32 v37, v11, 6, 0x800
	v_ashrrev_i32_e32 v11, 31, v10
	s_and_b32 s30, s3, s4
	v_lshl_add_u64 v[12:13], v[16:17], 3, s[8:9]
	s_lshl_b64 s[8:9], s[12:13], 3
	s_delay_alu instid0(SALU_CYCLE_1)
	v_lshl_add_u64 v[16:17], v[18:19], 3, s[8:9]
	s_and_b32 s8, vcc_lo, s2
	v_cmp_le_i32_e32 vcc_lo, v20, v10
	v_add_nc_u64_e32 v[12:13], v[12:13], v[2:3]
	s_lshl_b64 s[2:3], s[26:27], 6
	v_lshl_add_u64 v[14:15], v[14:15], 3, v[16:17]
	s_and_b32 s9, s31, s33
	s_and_b32 s12, vcc_lo, s4
	s_lshl_b64 s[4:5], s[28:29], 3
	s_branch .LBB337_6
.LBB337_5:                              ;   in Loop: Header=BB337_6 Depth=1
	s_wait_xcnt 0x0
	s_or_b32 exec_lo, exec_lo, s13
	s_add_co_i32 s24, s24, 0x10000
	s_delay_alu instid0(SALU_CYCLE_1)
	s_cmp_lt_u32 s24, s19
	s_cbranch_scc0 .LBB337_33
.LBB337_6:                              ; =>This Loop Header: Depth=1
                                        ;     Child Loop BB337_9 Depth 2
	v_mov_b32_e32 v2, s24
	v_mov_b64_e32 v[24:25], 0
	v_mov_b64_e32 v[20:21], 0
	;; [unrolled: 1-line block ×4, first 2 shown]
	global_load_b64 v[22:23], v2, s[16:17] scale_offset
	s_and_not1_b32 vcc_lo, exec_lo, s9
	s_cbranch_vccnz .LBB337_13
; %bb.7:                                ;   in Loop: Header=BB337_6 Depth=1
	s_lshl_b64 s[26:27], s[24:25], 3
	v_mov_b64_e32 v[16:17], 0
	s_add_nc_u64 s[28:29], s[6:7], s[26:27]
	s_add_nc_u64 s[26:27], s[10:11], s[26:27]
	s_clause 0x1
	global_load_b64 v[24:25], v3, s[28:29]
	global_load_b64 v[28:29], v3, s[26:27]
	v_mov_b64_e32 v[18:19], 0
	v_mov_b64_e32 v[20:21], 0
	s_mov_b32 s13, 0
	s_wait_loadcnt 0x1
	v_add_nc_u64_e32 v[26:27], v[24:25], v[12:13]
	s_wait_loadcnt 0x0
	v_add_nc_u64_e32 v[28:29], v[28:29], v[14:15]
	v_mov_b64_e32 v[24:25], 0
	s_branch .LBB337_9
.LBB337_8:                              ;   in Loop: Header=BB337_9 Depth=2
	s_wait_xcnt 0x0
	s_or_b32 exec_lo, exec_lo, s26
	s_wait_loadcnt_dscnt 0x0
	ds_store_b64 v35, v[32:33]
	s_wait_dscnt 0x0
	s_barrier_signal -1
	s_barrier_wait -1
	ds_load_b128 v[30:33], v37
	ds_load_2addr_b64 v[38:41], v36 offset1:16
	ds_load_b128 v[42:45], v37 offset:1024
	ds_load_b128 v[46:49], v37 offset:16
	;; [unrolled: 1-line block ×3, first 2 shown]
	v_add_nc_u64_e32 v[26:27], 64, v[26:27]
	v_add_nc_u64_e32 v[28:29], s[2:3], v[28:29]
	s_add_co_i32 s13, s13, 8
	s_delay_alu instid0(SALU_CYCLE_1)
	s_cmp_lt_i32 s13, s15
	s_wait_dscnt 0x3
	v_fmac_f64_e32 v[24:25], v[38:39], v[30:31]
	v_fmac_f64_e32 v[20:21], v[40:41], v[30:31]
	s_wait_dscnt 0x2
	v_fmac_f64_e32 v[18:19], v[38:39], v[42:43]
	v_fmac_f64_e32 v[16:17], v[40:41], v[42:43]
	ds_load_2addr_b64 v[38:41], v36 offset0:32 offset1:48
	s_wait_dscnt 0x0
	v_fmac_f64_e32 v[24:25], v[38:39], v[32:33]
	v_fmac_f64_e32 v[20:21], v[40:41], v[32:33]
	v_fmac_f64_e32 v[18:19], v[38:39], v[44:45]
	v_fmac_f64_e32 v[16:17], v[40:41], v[44:45]
	ds_load_2addr_b64 v[30:33], v36 offset0:64 offset1:80
	s_wait_dscnt 0x0
	v_fmac_f64_e32 v[24:25], v[30:31], v[46:47]
	v_fmac_f64_e32 v[20:21], v[32:33], v[46:47]
	;; [unrolled: 6-line block ×3, first 2 shown]
	v_fmac_f64_e32 v[18:19], v[30:31], v[52:53]
	v_fmac_f64_e32 v[16:17], v[32:33], v[52:53]
	ds_load_b128 v[30:33], v37 offset:32
	ds_load_2addr_b64 v[38:41], v36 offset0:128 offset1:144
	ds_load_b128 v[42:45], v37 offset:1056
	ds_load_b128 v[46:49], v37 offset:48
	ds_load_b128 v[50:53], v37 offset:1072
	s_wait_dscnt 0x3
	v_fmac_f64_e32 v[24:25], v[38:39], v[30:31]
	v_fmac_f64_e32 v[20:21], v[40:41], v[30:31]
	s_wait_dscnt 0x2
	v_fmac_f64_e32 v[18:19], v[38:39], v[42:43]
	v_fmac_f64_e32 v[16:17], v[40:41], v[42:43]
	ds_load_2addr_b64 v[38:41], v36 offset0:160 offset1:176
	s_wait_dscnt 0x0
	v_fmac_f64_e32 v[24:25], v[38:39], v[32:33]
	v_fmac_f64_e32 v[20:21], v[40:41], v[32:33]
	v_fmac_f64_e32 v[18:19], v[38:39], v[44:45]
	v_fmac_f64_e32 v[16:17], v[40:41], v[44:45]
	ds_load_2addr_b64 v[30:33], v36 offset0:192 offset1:208
	s_wait_dscnt 0x0
	v_fmac_f64_e32 v[24:25], v[30:31], v[46:47]
	v_fmac_f64_e32 v[20:21], v[32:33], v[46:47]
	;; [unrolled: 1-line block ×4, first 2 shown]
	ds_load_2addr_b64 v[30:33], v36 offset0:224 offset1:240
	s_wait_dscnt 0x0
	s_barrier_signal -1
	s_barrier_wait -1
	v_fmac_f64_e32 v[24:25], v[30:31], v[48:49]
	v_fmac_f64_e32 v[20:21], v[32:33], v[48:49]
	;; [unrolled: 1-line block ×4, first 2 shown]
	s_cbranch_scc0 .LBB337_13
.LBB337_9:                              ;   Parent Loop BB337_6 Depth=1
                                        ; =>  This Inner Loop Header: Depth=2
	s_wait_xcnt 0x2
	v_add_nc_u32_e32 v2, s13, v34
	v_mov_b64_e32 v[30:31], 0
	s_delay_alu instid0(VALU_DEP_2) | instskip(SKIP_2) | instid1(SALU_CYCLE_1)
	v_cmp_gt_i32_e32 vcc_lo, s15, v2
	s_wait_xcnt 0x0
	s_and_b32 s27, s0, vcc_lo
	s_and_saveexec_b32 s26, s27
	s_cbranch_execz .LBB337_11
; %bb.10:                               ;   in Loop: Header=BB337_9 Depth=2
	flat_load_b64 v[30:31], v[26:27]
.LBB337_11:                             ;   in Loop: Header=BB337_9 Depth=2
	s_wait_xcnt 0x0
	s_or_b32 exec_lo, exec_lo, s26
	v_add_nc_u32_e32 v2, s13, v0
	v_mov_b64_e32 v[32:33], 0
	s_wait_loadcnt_dscnt 0x0
	ds_store_b64 v1, v[30:31]
	v_cmp_gt_i32_e32 vcc_lo, s15, v2
	s_and_b32 s27, vcc_lo, s1
	s_delay_alu instid0(SALU_CYCLE_1)
	s_and_saveexec_b32 s26, s27
	s_cbranch_execz .LBB337_8
; %bb.12:                               ;   in Loop: Header=BB337_9 Depth=2
	flat_load_b64 v[32:33], v[28:29]
	s_branch .LBB337_8
.LBB337_13:                             ;   in Loop: Header=BB337_6 Depth=1
	s_wait_loadcnt 0x0
	v_add_nc_u64_e32 v[22:23], s[4:5], v[22:23]
	s_delay_alu instid0(VALU_DEP_1)
	v_lshl_add_u64 v[26:27], v[6:7], 3, v[22:23]
	s_wait_xcnt 0x0
	s_and_saveexec_b32 s13, s14
	s_cbranch_execz .LBB337_17
; %bb.14:                               ;   in Loop: Header=BB337_6 Depth=1
	v_mul_f64_e32 v[24:25], s[22:23], v[24:25]
	v_lshl_add_u64 v[28:29], v[4:5], 3, v[26:27]
	s_and_b32 vcc_lo, exec_lo, s18
	s_cbranch_vccz .LBB337_28
; %bb.15:                               ;   in Loop: Header=BB337_6 Depth=1
	flat_load_b64 v[30:31], v[28:29]
	s_wait_loadcnt_dscnt 0x0
	v_fma_f64 v[30:31], s[20:21], v[30:31], v[24:25]
	flat_store_b64 v[28:29], v[30:31]
	s_cbranch_execnz .LBB337_17
.LBB337_16:                             ;   in Loop: Header=BB337_6 Depth=1
	flat_store_b64 v[28:29], v[24:25]
.LBB337_17:                             ;   in Loop: Header=BB337_6 Depth=1
	s_wait_xcnt 0x0
	s_or_b32 exec_lo, exec_lo, s13
	s_and_saveexec_b32 s13, s30
	s_cbranch_execz .LBB337_21
; %bb.18:                               ;   in Loop: Header=BB337_6 Depth=1
	v_mul_f64_e32 v[20:21], s[22:23], v[20:21]
	v_lshl_add_u64 v[24:25], v[10:11], 3, v[26:27]
	s_and_not1_b32 vcc_lo, exec_lo, s18
	s_cbranch_vccnz .LBB337_29
; %bb.19:                               ;   in Loop: Header=BB337_6 Depth=1
	flat_load_b64 v[26:27], v[24:25]
	s_wait_loadcnt_dscnt 0x0
	v_fma_f64 v[26:27], s[20:21], v[26:27], v[20:21]
	flat_store_b64 v[24:25], v[26:27]
	s_cbranch_execnz .LBB337_21
.LBB337_20:                             ;   in Loop: Header=BB337_6 Depth=1
	flat_store_b64 v[24:25], v[20:21]
.LBB337_21:                             ;   in Loop: Header=BB337_6 Depth=1
	s_wait_xcnt 0x0
	s_or_b32 exec_lo, exec_lo, s13
	v_lshl_add_u64 v[20:21], v[8:9], 3, v[22:23]
	s_and_saveexec_b32 s13, s8
	s_cbranch_execz .LBB337_25
; %bb.22:                               ;   in Loop: Header=BB337_6 Depth=1
	v_mul_f64_e32 v[18:19], s[22:23], v[18:19]
	s_delay_alu instid0(VALU_DEP_2)
	v_lshl_add_u64 v[22:23], v[4:5], 3, v[20:21]
	s_and_not1_b32 vcc_lo, exec_lo, s18
	s_cbranch_vccnz .LBB337_30
; %bb.23:                               ;   in Loop: Header=BB337_6 Depth=1
	flat_load_b64 v[24:25], v[22:23]
	s_wait_loadcnt_dscnt 0x0
	v_fma_f64 v[24:25], s[20:21], v[24:25], v[18:19]
	flat_store_b64 v[22:23], v[24:25]
	s_cbranch_execnz .LBB337_25
.LBB337_24:                             ;   in Loop: Header=BB337_6 Depth=1
	flat_store_b64 v[22:23], v[18:19]
.LBB337_25:                             ;   in Loop: Header=BB337_6 Depth=1
	s_wait_xcnt 0x0
	s_or_b32 exec_lo, exec_lo, s13
	s_and_saveexec_b32 s13, s12
	s_cbranch_execz .LBB337_5
; %bb.26:                               ;   in Loop: Header=BB337_6 Depth=1
	s_delay_alu instid0(VALU_DEP_4)
	v_mul_f64_e32 v[16:17], s[22:23], v[16:17]
	v_lshl_add_u64 v[18:19], v[10:11], 3, v[20:21]
	s_and_not1_b32 vcc_lo, exec_lo, s18
	s_cbranch_vccnz .LBB337_31
; %bb.27:                               ;   in Loop: Header=BB337_6 Depth=1
	flat_load_b64 v[20:21], v[18:19]
	s_wait_loadcnt_dscnt 0x0
	v_fma_f64 v[20:21], s[20:21], v[20:21], v[16:17]
	flat_store_b64 v[18:19], v[20:21]
	s_cbranch_execnz .LBB337_5
	s_branch .LBB337_32
.LBB337_28:                             ;   in Loop: Header=BB337_6 Depth=1
	s_branch .LBB337_16
.LBB337_29:                             ;   in Loop: Header=BB337_6 Depth=1
	s_branch .LBB337_20
.LBB337_30:                             ;   in Loop: Header=BB337_6 Depth=1
	s_branch .LBB337_24
.LBB337_31:                             ;   in Loop: Header=BB337_6 Depth=1
.LBB337_32:                             ;   in Loop: Header=BB337_6 Depth=1
	flat_store_b64 v[18:19], v[16:17]
	s_branch .LBB337_5
.LBB337_33:
	s_endpgm
	.section	.rodata,"a",@progbits
	.p2align	6, 0x0
	.amdhsa_kernel _ZL29rocblas_internal_gemmt_kernelIiLi16ELi32ELi8ELc84ELc84ELc76ELb0ELb0EdPKdPKS1_PKPdEviT_T9_T10_S7_lS9_S7_lS8_T11_S7_li
		.amdhsa_group_segment_fixed_size 4096
		.amdhsa_private_segment_fixed_size 0
		.amdhsa_kernarg_size 100
		.amdhsa_user_sgpr_count 2
		.amdhsa_user_sgpr_dispatch_ptr 0
		.amdhsa_user_sgpr_queue_ptr 0
		.amdhsa_user_sgpr_kernarg_segment_ptr 1
		.amdhsa_user_sgpr_dispatch_id 0
		.amdhsa_user_sgpr_kernarg_preload_length 0
		.amdhsa_user_sgpr_kernarg_preload_offset 0
		.amdhsa_user_sgpr_private_segment_size 0
		.amdhsa_wavefront_size32 1
		.amdhsa_uses_dynamic_stack 0
		.amdhsa_enable_private_segment 0
		.amdhsa_system_sgpr_workgroup_id_x 1
		.amdhsa_system_sgpr_workgroup_id_y 1
		.amdhsa_system_sgpr_workgroup_id_z 1
		.amdhsa_system_sgpr_workgroup_info 0
		.amdhsa_system_vgpr_workitem_id 1
		.amdhsa_next_free_vgpr 54
		.amdhsa_next_free_sgpr 34
		.amdhsa_named_barrier_count 0
		.amdhsa_reserve_vcc 1
		.amdhsa_float_round_mode_32 0
		.amdhsa_float_round_mode_16_64 0
		.amdhsa_float_denorm_mode_32 3
		.amdhsa_float_denorm_mode_16_64 3
		.amdhsa_fp16_overflow 0
		.amdhsa_memory_ordered 1
		.amdhsa_forward_progress 1
		.amdhsa_inst_pref_size 14
		.amdhsa_round_robin_scheduling 0
		.amdhsa_exception_fp_ieee_invalid_op 0
		.amdhsa_exception_fp_denorm_src 0
		.amdhsa_exception_fp_ieee_div_zero 0
		.amdhsa_exception_fp_ieee_overflow 0
		.amdhsa_exception_fp_ieee_underflow 0
		.amdhsa_exception_fp_ieee_inexact 0
		.amdhsa_exception_int_div_zero 0
	.end_amdhsa_kernel
	.section	.text._ZL29rocblas_internal_gemmt_kernelIiLi16ELi32ELi8ELc84ELc84ELc76ELb0ELb0EdPKdPKS1_PKPdEviT_T9_T10_S7_lS9_S7_lS8_T11_S7_li,"axG",@progbits,_ZL29rocblas_internal_gemmt_kernelIiLi16ELi32ELi8ELc84ELc84ELc76ELb0ELb0EdPKdPKS1_PKPdEviT_T9_T10_S7_lS9_S7_lS8_T11_S7_li,comdat
.Lfunc_end337:
	.size	_ZL29rocblas_internal_gemmt_kernelIiLi16ELi32ELi8ELc84ELc84ELc76ELb0ELb0EdPKdPKS1_PKPdEviT_T9_T10_S7_lS9_S7_lS8_T11_S7_li, .Lfunc_end337-_ZL29rocblas_internal_gemmt_kernelIiLi16ELi32ELi8ELc84ELc84ELc76ELb0ELb0EdPKdPKS1_PKPdEviT_T9_T10_S7_lS9_S7_lS8_T11_S7_li
                                        ; -- End function
	.set _ZL29rocblas_internal_gemmt_kernelIiLi16ELi32ELi8ELc84ELc84ELc76ELb0ELb0EdPKdPKS1_PKPdEviT_T9_T10_S7_lS9_S7_lS8_T11_S7_li.num_vgpr, 54
	.set _ZL29rocblas_internal_gemmt_kernelIiLi16ELi32ELi8ELc84ELc84ELc76ELb0ELb0EdPKdPKS1_PKPdEviT_T9_T10_S7_lS9_S7_lS8_T11_S7_li.num_agpr, 0
	.set _ZL29rocblas_internal_gemmt_kernelIiLi16ELi32ELi8ELc84ELc84ELc76ELb0ELb0EdPKdPKS1_PKPdEviT_T9_T10_S7_lS9_S7_lS8_T11_S7_li.numbered_sgpr, 34
	.set _ZL29rocblas_internal_gemmt_kernelIiLi16ELi32ELi8ELc84ELc84ELc76ELb0ELb0EdPKdPKS1_PKPdEviT_T9_T10_S7_lS9_S7_lS8_T11_S7_li.num_named_barrier, 0
	.set _ZL29rocblas_internal_gemmt_kernelIiLi16ELi32ELi8ELc84ELc84ELc76ELb0ELb0EdPKdPKS1_PKPdEviT_T9_T10_S7_lS9_S7_lS8_T11_S7_li.private_seg_size, 0
	.set _ZL29rocblas_internal_gemmt_kernelIiLi16ELi32ELi8ELc84ELc84ELc76ELb0ELb0EdPKdPKS1_PKPdEviT_T9_T10_S7_lS9_S7_lS8_T11_S7_li.uses_vcc, 1
	.set _ZL29rocblas_internal_gemmt_kernelIiLi16ELi32ELi8ELc84ELc84ELc76ELb0ELb0EdPKdPKS1_PKPdEviT_T9_T10_S7_lS9_S7_lS8_T11_S7_li.uses_flat_scratch, 0
	.set _ZL29rocblas_internal_gemmt_kernelIiLi16ELi32ELi8ELc84ELc84ELc76ELb0ELb0EdPKdPKS1_PKPdEviT_T9_T10_S7_lS9_S7_lS8_T11_S7_li.has_dyn_sized_stack, 0
	.set _ZL29rocblas_internal_gemmt_kernelIiLi16ELi32ELi8ELc84ELc84ELc76ELb0ELb0EdPKdPKS1_PKPdEviT_T9_T10_S7_lS9_S7_lS8_T11_S7_li.has_recursion, 0
	.set _ZL29rocblas_internal_gemmt_kernelIiLi16ELi32ELi8ELc84ELc84ELc76ELb0ELb0EdPKdPKS1_PKPdEviT_T9_T10_S7_lS9_S7_lS8_T11_S7_li.has_indirect_call, 0
	.section	.AMDGPU.csdata,"",@progbits
; Kernel info:
; codeLenInByte = 1704
; TotalNumSgprs: 36
; NumVgprs: 54
; ScratchSize: 0
; MemoryBound: 0
; FloatMode: 240
; IeeeMode: 1
; LDSByteSize: 4096 bytes/workgroup (compile time only)
; SGPRBlocks: 0
; VGPRBlocks: 3
; NumSGPRsForWavesPerEU: 36
; NumVGPRsForWavesPerEU: 54
; NamedBarCnt: 0
; Occupancy: 16
; WaveLimiterHint : 1
; COMPUTE_PGM_RSRC2:SCRATCH_EN: 0
; COMPUTE_PGM_RSRC2:USER_SGPR: 2
; COMPUTE_PGM_RSRC2:TRAP_HANDLER: 0
; COMPUTE_PGM_RSRC2:TGID_X_EN: 1
; COMPUTE_PGM_RSRC2:TGID_Y_EN: 1
; COMPUTE_PGM_RSRC2:TGID_Z_EN: 1
; COMPUTE_PGM_RSRC2:TIDIG_COMP_CNT: 1
	.section	.text._ZL29rocblas_internal_gemmt_kernelIiLi16ELi32ELi8ELc84ELc67ELc76ELb0ELb0EdPKdPKS1_PKPdEviT_T9_T10_S7_lS9_S7_lS8_T11_S7_li,"axG",@progbits,_ZL29rocblas_internal_gemmt_kernelIiLi16ELi32ELi8ELc84ELc67ELc76ELb0ELb0EdPKdPKS1_PKPdEviT_T9_T10_S7_lS9_S7_lS8_T11_S7_li,comdat
	.globl	_ZL29rocblas_internal_gemmt_kernelIiLi16ELi32ELi8ELc84ELc67ELc76ELb0ELb0EdPKdPKS1_PKPdEviT_T9_T10_S7_lS9_S7_lS8_T11_S7_li ; -- Begin function _ZL29rocblas_internal_gemmt_kernelIiLi16ELi32ELi8ELc84ELc67ELc76ELb0ELb0EdPKdPKS1_PKPdEviT_T9_T10_S7_lS9_S7_lS8_T11_S7_li
	.p2align	8
	.type	_ZL29rocblas_internal_gemmt_kernelIiLi16ELi32ELi8ELc84ELc67ELc76ELb0ELb0EdPKdPKS1_PKPdEviT_T9_T10_S7_lS9_S7_lS8_T11_S7_li,@function
_ZL29rocblas_internal_gemmt_kernelIiLi16ELi32ELi8ELc84ELc67ELc76ELb0ELb0EdPKdPKS1_PKPdEviT_T9_T10_S7_lS9_S7_lS8_T11_S7_li: ; @_ZL29rocblas_internal_gemmt_kernelIiLi16ELi32ELi8ELc84ELc67ELc76ELb0ELb0EdPKdPKS1_PKPdEviT_T9_T10_S7_lS9_S7_lS8_T11_S7_li
; %bb.0:
	s_load_b128 s[12:15], s[0:1], 0x38
	s_wait_kmcnt 0x0
	s_load_b64 s[20:21], s[14:15], 0x0
	s_load_b128 s[4:7], s[0:1], 0x8
	s_wait_xcnt 0x0
	s_load_b64 s[14:15], s[0:1], 0x0
	s_wait_kmcnt 0x0
	s_load_b64 s[22:23], s[4:5], 0x0
	v_cmp_neq_f64_e64 s2, s[20:21], 1.0
	s_and_b32 vcc_lo, exec_lo, s2
	s_cbranch_vccnz .LBB338_2
; %bb.1:
	s_wait_kmcnt 0x0
	v_cmp_neq_f64_e64 s2, s[22:23], 0
	s_cmp_lg_u32 s15, 0
	s_cselect_b32 s3, -1, 0
	s_delay_alu instid0(SALU_CYCLE_1)
	s_and_b32 s2, s3, s2
.LBB338_2:
	s_delay_alu instid0(SALU_CYCLE_1)
	s_and_not1_b32 vcc_lo, exec_lo, s2
	s_cbranch_vccnz .LBB338_33
; %bb.3:
	s_load_b32 s19, s[0:1], 0x60
	s_bfe_u32 s2, ttmp6, 0x40014
	s_lshr_b32 s3, ttmp7, 16
	s_add_co_i32 s2, s2, 1
	s_wait_xcnt 0x0
	s_bfe_u32 s5, ttmp6, 0x40008
	s_mul_i32 s2, s3, s2
	s_getreg_b32 s4, hwreg(HW_REG_IB_STS2, 6, 4)
	s_add_co_i32 s5, s5, s2
	s_cmp_eq_u32 s4, 0
	s_mov_b32 s25, 0
	s_cselect_b32 s24, s3, s5
	s_wait_kmcnt 0x0
	s_cmp_ge_u32 s24, s19
	s_cbranch_scc1 .LBB338_33
; %bb.4:
	s_clause 0x3
	s_load_b32 s2, s[0:1], 0x18
	s_load_b32 s26, s[0:1], 0x30
	s_load_b96 s[16:18], s[0:1], 0x48
	s_load_b128 s[8:11], s[0:1], 0x20
	v_and_b32_e32 v2, 0x3ff, v0
	v_bfe_u32 v11, v0, 10, 10
	s_load_b64 s[28:29], s[0:1], 0x58
	s_wait_xcnt 0x0
	s_bfe_u32 s1, ttmp6, 0x4000c
	s_bfe_u32 s3, ttmp6, 0x40010
	s_and_b32 s30, ttmp7, 0xffff
	s_add_co_i32 s1, s1, 1
	s_add_co_i32 s3, s3, 1
	v_lshl_add_u32 v1, v11, 4, v2
	s_and_b32 s0, ttmp6, 15
	s_bfe_u32 s31, ttmp6, 0x40004
	s_mul_i32 s1, ttmp9, s1
	s_mul_i32 s33, s30, s3
	s_add_co_i32 s0, s0, s1
	s_add_co_i32 s31, s31, s33
	v_dual_lshrrev_b32 v34, 5, v1 :: v_dual_bitop2_b32 v6, 31, v1 bitop3:0x40
	s_wait_kmcnt 0x0
	s_ashr_i32 s3, s2, 31
	s_ashr_i32 s27, s26, 31
	;; [unrolled: 1-line block ×3, first 2 shown]
	s_cmp_eq_u32 s4, 0
	v_dual_mov_b32 v3, 0 :: v_dual_bitop2_b32 v0, 7, v0 bitop3:0x40
	s_cselect_b32 s0, ttmp9, s0
	s_cselect_b32 s1, s30, s31
	s_lshl_b32 s30, s0, 5
	s_delay_alu instid0(SALU_CYCLE_1) | instskip(SKIP_1) | instid1(SALU_CYCLE_1)
	v_dual_lshrrev_b32 v7, 3, v1 :: v_dual_bitop2_b32 v4, s30, v6 bitop3:0x54
	s_lshl_b32 s0, s1, 5
	v_dual_mov_b32 v1, v3 :: v_dual_add_nc_u32 v12, s0, v11
	s_delay_alu instid0(VALU_DEP_2) | instskip(SKIP_1) | instid1(VALU_DEP_3)
	v_dual_add_nc_u32 v14, s0, v7 :: v_dual_ashrrev_i32 v5, 31, v4
	v_cmp_gt_i32_e64 s0, s14, v4
	v_mul_u64_e32 v[18:19], s[26:27], v[0:1]
	s_delay_alu instid0(VALU_DEP_4) | instskip(SKIP_3) | instid1(VALU_DEP_4)
	v_add_nc_u32_e32 v20, 16, v12
	v_lshlrev_b32_e32 v1, 3, v0
	v_mul_u64_e32 v[16:17], s[2:3], v[4:5]
	v_dual_lshlrev_b32 v5, 3, v6 :: v_dual_ashrrev_i32 v13, 31, v12
	v_dual_ashrrev_i32 v21, 31, v20 :: v_dual_lshlrev_b32 v36, 3, v2
	v_add_nc_u32_e32 v4, s30, v2
	v_lshl_or_b32 v15, v7, 6, v1
	s_mov_b32 s4, s18
	v_cmp_neq_f64_e64 s31, s[22:23], 0
	v_cmp_neq_f64_e64 s18, s[20:21], 0
	v_mul_u64_e32 v[8:9], s[4:5], v[20:21]
	v_add_nc_u32_e32 v35, 0x800, v15
	v_ashrrev_i32_e32 v15, 31, v14
	v_mul_u64_e32 v[6:7], s[4:5], v[12:13]
	v_add_nc_u32_e32 v10, 16, v4
	v_cmp_le_i32_e32 vcc_lo, v12, v4
	v_cmp_gt_i32_e64 s2, s14, v4
	s_cmp_gt_i32 s15, 0
	v_lshl_or_b32 v1, v34, 8, v5
	s_cselect_b32 s33, -1, 0
	s_lshl_b64 s[8:9], s[8:9], 3
	v_cmp_gt_i32_e64 s1, s14, v14
	v_ashrrev_i32_e32 v5, 31, v4
	v_cmp_le_i32_e64 s3, v12, v10
	v_cmp_gt_i32_e64 s4, s14, v10
	s_and_b32 s14, vcc_lo, s2
	v_cmp_le_i32_e32 vcc_lo, v20, v4
	v_lshlrev_b32_e32 v2, 3, v34
	v_lshl_add_u32 v37, v11, 6, 0x800
	v_ashrrev_i32_e32 v11, 31, v10
	s_and_b32 s30, s3, s4
	v_lshl_add_u64 v[12:13], v[16:17], 3, s[8:9]
	s_lshl_b64 s[8:9], s[12:13], 3
	s_delay_alu instid0(SALU_CYCLE_1)
	v_lshl_add_u64 v[16:17], v[18:19], 3, s[8:9]
	s_and_b32 s8, vcc_lo, s2
	v_cmp_le_i32_e32 vcc_lo, v20, v10
	v_add_nc_u64_e32 v[12:13], v[12:13], v[2:3]
	s_lshl_b64 s[2:3], s[26:27], 6
	v_lshl_add_u64 v[14:15], v[14:15], 3, v[16:17]
	s_and_b32 s9, s31, s33
	s_and_b32 s12, vcc_lo, s4
	s_lshl_b64 s[4:5], s[28:29], 3
	s_branch .LBB338_6
.LBB338_5:                              ;   in Loop: Header=BB338_6 Depth=1
	s_wait_xcnt 0x0
	s_or_b32 exec_lo, exec_lo, s13
	s_add_co_i32 s24, s24, 0x10000
	s_delay_alu instid0(SALU_CYCLE_1)
	s_cmp_lt_u32 s24, s19
	s_cbranch_scc0 .LBB338_33
.LBB338_6:                              ; =>This Loop Header: Depth=1
                                        ;     Child Loop BB338_9 Depth 2
	v_mov_b32_e32 v2, s24
	v_mov_b64_e32 v[24:25], 0
	v_mov_b64_e32 v[20:21], 0
	;; [unrolled: 1-line block ×4, first 2 shown]
	global_load_b64 v[22:23], v2, s[16:17] scale_offset
	s_and_not1_b32 vcc_lo, exec_lo, s9
	s_cbranch_vccnz .LBB338_13
; %bb.7:                                ;   in Loop: Header=BB338_6 Depth=1
	s_lshl_b64 s[26:27], s[24:25], 3
	v_mov_b64_e32 v[16:17], 0
	s_add_nc_u64 s[28:29], s[6:7], s[26:27]
	s_add_nc_u64 s[26:27], s[10:11], s[26:27]
	s_clause 0x1
	global_load_b64 v[24:25], v3, s[28:29]
	global_load_b64 v[28:29], v3, s[26:27]
	v_mov_b64_e32 v[18:19], 0
	v_mov_b64_e32 v[20:21], 0
	s_mov_b32 s13, 0
	s_wait_loadcnt 0x1
	v_add_nc_u64_e32 v[26:27], v[24:25], v[12:13]
	s_wait_loadcnt 0x0
	v_add_nc_u64_e32 v[28:29], v[28:29], v[14:15]
	v_mov_b64_e32 v[24:25], 0
	s_branch .LBB338_9
.LBB338_8:                              ;   in Loop: Header=BB338_9 Depth=2
	s_wait_xcnt 0x0
	s_or_b32 exec_lo, exec_lo, s26
	s_wait_loadcnt_dscnt 0x0
	ds_store_b64 v35, v[32:33]
	s_wait_dscnt 0x0
	s_barrier_signal -1
	s_barrier_wait -1
	ds_load_b128 v[30:33], v37
	ds_load_2addr_b64 v[38:41], v36 offset1:16
	ds_load_b128 v[42:45], v37 offset:1024
	ds_load_b128 v[46:49], v37 offset:16
	;; [unrolled: 1-line block ×3, first 2 shown]
	v_add_nc_u64_e32 v[26:27], 64, v[26:27]
	v_add_nc_u64_e32 v[28:29], s[2:3], v[28:29]
	s_add_co_i32 s13, s13, 8
	s_delay_alu instid0(SALU_CYCLE_1)
	s_cmp_lt_i32 s13, s15
	s_wait_dscnt 0x3
	v_fmac_f64_e32 v[24:25], v[38:39], v[30:31]
	v_fmac_f64_e32 v[20:21], v[40:41], v[30:31]
	s_wait_dscnt 0x2
	v_fmac_f64_e32 v[18:19], v[38:39], v[42:43]
	v_fmac_f64_e32 v[16:17], v[40:41], v[42:43]
	ds_load_2addr_b64 v[38:41], v36 offset0:32 offset1:48
	s_wait_dscnt 0x0
	v_fmac_f64_e32 v[24:25], v[38:39], v[32:33]
	v_fmac_f64_e32 v[20:21], v[40:41], v[32:33]
	v_fmac_f64_e32 v[18:19], v[38:39], v[44:45]
	v_fmac_f64_e32 v[16:17], v[40:41], v[44:45]
	ds_load_2addr_b64 v[30:33], v36 offset0:64 offset1:80
	s_wait_dscnt 0x0
	v_fmac_f64_e32 v[24:25], v[30:31], v[46:47]
	v_fmac_f64_e32 v[20:21], v[32:33], v[46:47]
	;; [unrolled: 6-line block ×3, first 2 shown]
	v_fmac_f64_e32 v[18:19], v[30:31], v[52:53]
	v_fmac_f64_e32 v[16:17], v[32:33], v[52:53]
	ds_load_b128 v[30:33], v37 offset:32
	ds_load_2addr_b64 v[38:41], v36 offset0:128 offset1:144
	ds_load_b128 v[42:45], v37 offset:1056
	ds_load_b128 v[46:49], v37 offset:48
	;; [unrolled: 1-line block ×3, first 2 shown]
	s_wait_dscnt 0x3
	v_fmac_f64_e32 v[24:25], v[38:39], v[30:31]
	v_fmac_f64_e32 v[20:21], v[40:41], v[30:31]
	s_wait_dscnt 0x2
	v_fmac_f64_e32 v[18:19], v[38:39], v[42:43]
	v_fmac_f64_e32 v[16:17], v[40:41], v[42:43]
	ds_load_2addr_b64 v[38:41], v36 offset0:160 offset1:176
	s_wait_dscnt 0x0
	v_fmac_f64_e32 v[24:25], v[38:39], v[32:33]
	v_fmac_f64_e32 v[20:21], v[40:41], v[32:33]
	;; [unrolled: 1-line block ×4, first 2 shown]
	ds_load_2addr_b64 v[30:33], v36 offset0:192 offset1:208
	s_wait_dscnt 0x0
	v_fmac_f64_e32 v[24:25], v[30:31], v[46:47]
	v_fmac_f64_e32 v[20:21], v[32:33], v[46:47]
	;; [unrolled: 1-line block ×4, first 2 shown]
	ds_load_2addr_b64 v[30:33], v36 offset0:224 offset1:240
	s_wait_dscnt 0x0
	s_barrier_signal -1
	s_barrier_wait -1
	v_fmac_f64_e32 v[24:25], v[30:31], v[48:49]
	v_fmac_f64_e32 v[20:21], v[32:33], v[48:49]
	;; [unrolled: 1-line block ×4, first 2 shown]
	s_cbranch_scc0 .LBB338_13
.LBB338_9:                              ;   Parent Loop BB338_6 Depth=1
                                        ; =>  This Inner Loop Header: Depth=2
	s_wait_xcnt 0x2
	v_add_nc_u32_e32 v2, s13, v34
	v_mov_b64_e32 v[30:31], 0
	s_delay_alu instid0(VALU_DEP_2) | instskip(SKIP_2) | instid1(SALU_CYCLE_1)
	v_cmp_gt_i32_e32 vcc_lo, s15, v2
	s_wait_xcnt 0x0
	s_and_b32 s27, s0, vcc_lo
	s_and_saveexec_b32 s26, s27
	s_cbranch_execz .LBB338_11
; %bb.10:                               ;   in Loop: Header=BB338_9 Depth=2
	flat_load_b64 v[30:31], v[26:27]
.LBB338_11:                             ;   in Loop: Header=BB338_9 Depth=2
	s_wait_xcnt 0x0
	s_or_b32 exec_lo, exec_lo, s26
	v_add_nc_u32_e32 v2, s13, v0
	v_mov_b64_e32 v[32:33], 0
	s_wait_loadcnt_dscnt 0x0
	ds_store_b64 v1, v[30:31]
	v_cmp_gt_i32_e32 vcc_lo, s15, v2
	s_and_b32 s27, vcc_lo, s1
	s_delay_alu instid0(SALU_CYCLE_1)
	s_and_saveexec_b32 s26, s27
	s_cbranch_execz .LBB338_8
; %bb.12:                               ;   in Loop: Header=BB338_9 Depth=2
	flat_load_b64 v[32:33], v[28:29]
	s_branch .LBB338_8
.LBB338_13:                             ;   in Loop: Header=BB338_6 Depth=1
	s_wait_loadcnt 0x0
	v_add_nc_u64_e32 v[22:23], s[4:5], v[22:23]
	s_delay_alu instid0(VALU_DEP_1)
	v_lshl_add_u64 v[26:27], v[6:7], 3, v[22:23]
	s_wait_xcnt 0x0
	s_and_saveexec_b32 s13, s14
	s_cbranch_execz .LBB338_17
; %bb.14:                               ;   in Loop: Header=BB338_6 Depth=1
	v_mul_f64_e32 v[24:25], s[22:23], v[24:25]
	v_lshl_add_u64 v[28:29], v[4:5], 3, v[26:27]
	s_and_b32 vcc_lo, exec_lo, s18
	s_cbranch_vccz .LBB338_28
; %bb.15:                               ;   in Loop: Header=BB338_6 Depth=1
	flat_load_b64 v[30:31], v[28:29]
	s_wait_loadcnt_dscnt 0x0
	v_fma_f64 v[30:31], s[20:21], v[30:31], v[24:25]
	flat_store_b64 v[28:29], v[30:31]
	s_cbranch_execnz .LBB338_17
.LBB338_16:                             ;   in Loop: Header=BB338_6 Depth=1
	flat_store_b64 v[28:29], v[24:25]
.LBB338_17:                             ;   in Loop: Header=BB338_6 Depth=1
	s_wait_xcnt 0x0
	s_or_b32 exec_lo, exec_lo, s13
	s_and_saveexec_b32 s13, s30
	s_cbranch_execz .LBB338_21
; %bb.18:                               ;   in Loop: Header=BB338_6 Depth=1
	v_mul_f64_e32 v[20:21], s[22:23], v[20:21]
	v_lshl_add_u64 v[24:25], v[10:11], 3, v[26:27]
	s_and_not1_b32 vcc_lo, exec_lo, s18
	s_cbranch_vccnz .LBB338_29
; %bb.19:                               ;   in Loop: Header=BB338_6 Depth=1
	flat_load_b64 v[26:27], v[24:25]
	s_wait_loadcnt_dscnt 0x0
	v_fma_f64 v[26:27], s[20:21], v[26:27], v[20:21]
	flat_store_b64 v[24:25], v[26:27]
	s_cbranch_execnz .LBB338_21
.LBB338_20:                             ;   in Loop: Header=BB338_6 Depth=1
	flat_store_b64 v[24:25], v[20:21]
.LBB338_21:                             ;   in Loop: Header=BB338_6 Depth=1
	s_wait_xcnt 0x0
	s_or_b32 exec_lo, exec_lo, s13
	v_lshl_add_u64 v[20:21], v[8:9], 3, v[22:23]
	s_and_saveexec_b32 s13, s8
	s_cbranch_execz .LBB338_25
; %bb.22:                               ;   in Loop: Header=BB338_6 Depth=1
	v_mul_f64_e32 v[18:19], s[22:23], v[18:19]
	s_delay_alu instid0(VALU_DEP_2)
	v_lshl_add_u64 v[22:23], v[4:5], 3, v[20:21]
	s_and_not1_b32 vcc_lo, exec_lo, s18
	s_cbranch_vccnz .LBB338_30
; %bb.23:                               ;   in Loop: Header=BB338_6 Depth=1
	flat_load_b64 v[24:25], v[22:23]
	s_wait_loadcnt_dscnt 0x0
	v_fma_f64 v[24:25], s[20:21], v[24:25], v[18:19]
	flat_store_b64 v[22:23], v[24:25]
	s_cbranch_execnz .LBB338_25
.LBB338_24:                             ;   in Loop: Header=BB338_6 Depth=1
	flat_store_b64 v[22:23], v[18:19]
.LBB338_25:                             ;   in Loop: Header=BB338_6 Depth=1
	s_wait_xcnt 0x0
	s_or_b32 exec_lo, exec_lo, s13
	s_and_saveexec_b32 s13, s12
	s_cbranch_execz .LBB338_5
; %bb.26:                               ;   in Loop: Header=BB338_6 Depth=1
	s_delay_alu instid0(VALU_DEP_4)
	v_mul_f64_e32 v[16:17], s[22:23], v[16:17]
	v_lshl_add_u64 v[18:19], v[10:11], 3, v[20:21]
	s_and_not1_b32 vcc_lo, exec_lo, s18
	s_cbranch_vccnz .LBB338_31
; %bb.27:                               ;   in Loop: Header=BB338_6 Depth=1
	flat_load_b64 v[20:21], v[18:19]
	s_wait_loadcnt_dscnt 0x0
	v_fma_f64 v[20:21], s[20:21], v[20:21], v[16:17]
	flat_store_b64 v[18:19], v[20:21]
	s_cbranch_execnz .LBB338_5
	s_branch .LBB338_32
.LBB338_28:                             ;   in Loop: Header=BB338_6 Depth=1
	s_branch .LBB338_16
.LBB338_29:                             ;   in Loop: Header=BB338_6 Depth=1
	s_branch .LBB338_20
.LBB338_30:                             ;   in Loop: Header=BB338_6 Depth=1
	s_branch .LBB338_24
.LBB338_31:                             ;   in Loop: Header=BB338_6 Depth=1
.LBB338_32:                             ;   in Loop: Header=BB338_6 Depth=1
	flat_store_b64 v[18:19], v[16:17]
	s_branch .LBB338_5
.LBB338_33:
	s_endpgm
	.section	.rodata,"a",@progbits
	.p2align	6, 0x0
	.amdhsa_kernel _ZL29rocblas_internal_gemmt_kernelIiLi16ELi32ELi8ELc84ELc67ELc76ELb0ELb0EdPKdPKS1_PKPdEviT_T9_T10_S7_lS9_S7_lS8_T11_S7_li
		.amdhsa_group_segment_fixed_size 4096
		.amdhsa_private_segment_fixed_size 0
		.amdhsa_kernarg_size 100
		.amdhsa_user_sgpr_count 2
		.amdhsa_user_sgpr_dispatch_ptr 0
		.amdhsa_user_sgpr_queue_ptr 0
		.amdhsa_user_sgpr_kernarg_segment_ptr 1
		.amdhsa_user_sgpr_dispatch_id 0
		.amdhsa_user_sgpr_kernarg_preload_length 0
		.amdhsa_user_sgpr_kernarg_preload_offset 0
		.amdhsa_user_sgpr_private_segment_size 0
		.amdhsa_wavefront_size32 1
		.amdhsa_uses_dynamic_stack 0
		.amdhsa_enable_private_segment 0
		.amdhsa_system_sgpr_workgroup_id_x 1
		.amdhsa_system_sgpr_workgroup_id_y 1
		.amdhsa_system_sgpr_workgroup_id_z 1
		.amdhsa_system_sgpr_workgroup_info 0
		.amdhsa_system_vgpr_workitem_id 1
		.amdhsa_next_free_vgpr 54
		.amdhsa_next_free_sgpr 34
		.amdhsa_named_barrier_count 0
		.amdhsa_reserve_vcc 1
		.amdhsa_float_round_mode_32 0
		.amdhsa_float_round_mode_16_64 0
		.amdhsa_float_denorm_mode_32 3
		.amdhsa_float_denorm_mode_16_64 3
		.amdhsa_fp16_overflow 0
		.amdhsa_memory_ordered 1
		.amdhsa_forward_progress 1
		.amdhsa_inst_pref_size 14
		.amdhsa_round_robin_scheduling 0
		.amdhsa_exception_fp_ieee_invalid_op 0
		.amdhsa_exception_fp_denorm_src 0
		.amdhsa_exception_fp_ieee_div_zero 0
		.amdhsa_exception_fp_ieee_overflow 0
		.amdhsa_exception_fp_ieee_underflow 0
		.amdhsa_exception_fp_ieee_inexact 0
		.amdhsa_exception_int_div_zero 0
	.end_amdhsa_kernel
	.section	.text._ZL29rocblas_internal_gemmt_kernelIiLi16ELi32ELi8ELc84ELc67ELc76ELb0ELb0EdPKdPKS1_PKPdEviT_T9_T10_S7_lS9_S7_lS8_T11_S7_li,"axG",@progbits,_ZL29rocblas_internal_gemmt_kernelIiLi16ELi32ELi8ELc84ELc67ELc76ELb0ELb0EdPKdPKS1_PKPdEviT_T9_T10_S7_lS9_S7_lS8_T11_S7_li,comdat
.Lfunc_end338:
	.size	_ZL29rocblas_internal_gemmt_kernelIiLi16ELi32ELi8ELc84ELc67ELc76ELb0ELb0EdPKdPKS1_PKPdEviT_T9_T10_S7_lS9_S7_lS8_T11_S7_li, .Lfunc_end338-_ZL29rocblas_internal_gemmt_kernelIiLi16ELi32ELi8ELc84ELc67ELc76ELb0ELb0EdPKdPKS1_PKPdEviT_T9_T10_S7_lS9_S7_lS8_T11_S7_li
                                        ; -- End function
	.set _ZL29rocblas_internal_gemmt_kernelIiLi16ELi32ELi8ELc84ELc67ELc76ELb0ELb0EdPKdPKS1_PKPdEviT_T9_T10_S7_lS9_S7_lS8_T11_S7_li.num_vgpr, 54
	.set _ZL29rocblas_internal_gemmt_kernelIiLi16ELi32ELi8ELc84ELc67ELc76ELb0ELb0EdPKdPKS1_PKPdEviT_T9_T10_S7_lS9_S7_lS8_T11_S7_li.num_agpr, 0
	.set _ZL29rocblas_internal_gemmt_kernelIiLi16ELi32ELi8ELc84ELc67ELc76ELb0ELb0EdPKdPKS1_PKPdEviT_T9_T10_S7_lS9_S7_lS8_T11_S7_li.numbered_sgpr, 34
	.set _ZL29rocblas_internal_gemmt_kernelIiLi16ELi32ELi8ELc84ELc67ELc76ELb0ELb0EdPKdPKS1_PKPdEviT_T9_T10_S7_lS9_S7_lS8_T11_S7_li.num_named_barrier, 0
	.set _ZL29rocblas_internal_gemmt_kernelIiLi16ELi32ELi8ELc84ELc67ELc76ELb0ELb0EdPKdPKS1_PKPdEviT_T9_T10_S7_lS9_S7_lS8_T11_S7_li.private_seg_size, 0
	.set _ZL29rocblas_internal_gemmt_kernelIiLi16ELi32ELi8ELc84ELc67ELc76ELb0ELb0EdPKdPKS1_PKPdEviT_T9_T10_S7_lS9_S7_lS8_T11_S7_li.uses_vcc, 1
	.set _ZL29rocblas_internal_gemmt_kernelIiLi16ELi32ELi8ELc84ELc67ELc76ELb0ELb0EdPKdPKS1_PKPdEviT_T9_T10_S7_lS9_S7_lS8_T11_S7_li.uses_flat_scratch, 0
	.set _ZL29rocblas_internal_gemmt_kernelIiLi16ELi32ELi8ELc84ELc67ELc76ELb0ELb0EdPKdPKS1_PKPdEviT_T9_T10_S7_lS9_S7_lS8_T11_S7_li.has_dyn_sized_stack, 0
	.set _ZL29rocblas_internal_gemmt_kernelIiLi16ELi32ELi8ELc84ELc67ELc76ELb0ELb0EdPKdPKS1_PKPdEviT_T9_T10_S7_lS9_S7_lS8_T11_S7_li.has_recursion, 0
	.set _ZL29rocblas_internal_gemmt_kernelIiLi16ELi32ELi8ELc84ELc67ELc76ELb0ELb0EdPKdPKS1_PKPdEviT_T9_T10_S7_lS9_S7_lS8_T11_S7_li.has_indirect_call, 0
	.section	.AMDGPU.csdata,"",@progbits
; Kernel info:
; codeLenInByte = 1704
; TotalNumSgprs: 36
; NumVgprs: 54
; ScratchSize: 0
; MemoryBound: 0
; FloatMode: 240
; IeeeMode: 1
; LDSByteSize: 4096 bytes/workgroup (compile time only)
; SGPRBlocks: 0
; VGPRBlocks: 3
; NumSGPRsForWavesPerEU: 36
; NumVGPRsForWavesPerEU: 54
; NamedBarCnt: 0
; Occupancy: 16
; WaveLimiterHint : 1
; COMPUTE_PGM_RSRC2:SCRATCH_EN: 0
; COMPUTE_PGM_RSRC2:USER_SGPR: 2
; COMPUTE_PGM_RSRC2:TRAP_HANDLER: 0
; COMPUTE_PGM_RSRC2:TGID_X_EN: 1
; COMPUTE_PGM_RSRC2:TGID_Y_EN: 1
; COMPUTE_PGM_RSRC2:TGID_Z_EN: 1
; COMPUTE_PGM_RSRC2:TIDIG_COMP_CNT: 1
	.section	.text._ZL29rocblas_internal_gemmt_kernelIiLi16ELi32ELi8ELc67ELc78ELc76ELb0ELb0EdPKdPKS1_PKPdEviT_T9_T10_S7_lS9_S7_lS8_T11_S7_li,"axG",@progbits,_ZL29rocblas_internal_gemmt_kernelIiLi16ELi32ELi8ELc67ELc78ELc76ELb0ELb0EdPKdPKS1_PKPdEviT_T9_T10_S7_lS9_S7_lS8_T11_S7_li,comdat
	.globl	_ZL29rocblas_internal_gemmt_kernelIiLi16ELi32ELi8ELc67ELc78ELc76ELb0ELb0EdPKdPKS1_PKPdEviT_T9_T10_S7_lS9_S7_lS8_T11_S7_li ; -- Begin function _ZL29rocblas_internal_gemmt_kernelIiLi16ELi32ELi8ELc67ELc78ELc76ELb0ELb0EdPKdPKS1_PKPdEviT_T9_T10_S7_lS9_S7_lS8_T11_S7_li
	.p2align	8
	.type	_ZL29rocblas_internal_gemmt_kernelIiLi16ELi32ELi8ELc67ELc78ELc76ELb0ELb0EdPKdPKS1_PKPdEviT_T9_T10_S7_lS9_S7_lS8_T11_S7_li,@function
_ZL29rocblas_internal_gemmt_kernelIiLi16ELi32ELi8ELc67ELc78ELc76ELb0ELb0EdPKdPKS1_PKPdEviT_T9_T10_S7_lS9_S7_lS8_T11_S7_li: ; @_ZL29rocblas_internal_gemmt_kernelIiLi16ELi32ELi8ELc67ELc78ELc76ELb0ELb0EdPKdPKS1_PKPdEviT_T9_T10_S7_lS9_S7_lS8_T11_S7_li
; %bb.0:
	s_load_b128 s[12:15], s[0:1], 0x38
	s_wait_kmcnt 0x0
	s_load_b64 s[20:21], s[14:15], 0x0
	s_load_b128 s[4:7], s[0:1], 0x8
	s_wait_xcnt 0x0
	s_load_b64 s[14:15], s[0:1], 0x0
	s_wait_kmcnt 0x0
	s_load_b64 s[22:23], s[4:5], 0x0
	v_cmp_neq_f64_e64 s2, s[20:21], 1.0
	s_and_b32 vcc_lo, exec_lo, s2
	s_cbranch_vccnz .LBB339_2
; %bb.1:
	s_wait_kmcnt 0x0
	v_cmp_neq_f64_e64 s2, s[22:23], 0
	s_cmp_lg_u32 s15, 0
	s_cselect_b32 s3, -1, 0
	s_delay_alu instid0(SALU_CYCLE_1)
	s_and_b32 s2, s3, s2
.LBB339_2:
	s_delay_alu instid0(SALU_CYCLE_1)
	s_and_not1_b32 vcc_lo, exec_lo, s2
	s_cbranch_vccnz .LBB339_33
; %bb.3:
	s_load_b32 s19, s[0:1], 0x60
	s_bfe_u32 s2, ttmp6, 0x40014
	s_lshr_b32 s3, ttmp7, 16
	s_add_co_i32 s2, s2, 1
	s_wait_xcnt 0x0
	s_bfe_u32 s4, ttmp6, 0x40008
	s_mul_i32 s2, s3, s2
	s_getreg_b32 s28, hwreg(HW_REG_IB_STS2, 6, 4)
	s_add_co_i32 s4, s4, s2
	s_cmp_eq_u32 s28, 0
	s_mov_b32 s25, 0
	s_cselect_b32 s24, s3, s4
	s_wait_kmcnt 0x0
	s_cmp_ge_u32 s24, s19
	s_cbranch_scc1 .LBB339_33
; %bb.4:
	s_clause 0x3
	s_load_b32 s4, s[0:1], 0x18
	s_load_b32 s2, s[0:1], 0x30
	s_load_b96 s[16:18], s[0:1], 0x48
	s_load_b128 s[8:11], s[0:1], 0x20
	v_and_b32_e32 v2, 0x3ff, v0
	v_bfe_u32 v3, v0, 10, 10
	s_load_b64 s[26:27], s[0:1], 0x58
	s_wait_xcnt 0x0
	s_bfe_u32 s1, ttmp6, 0x4000c
	s_bfe_u32 s3, ttmp6, 0x40010
	s_and_b32 s29, ttmp7, 0xffff
	s_add_co_i32 s1, s1, 1
	s_add_co_i32 s3, s3, 1
	v_lshl_add_u32 v4, v3, 4, v2
	s_and_b32 s0, ttmp6, 15
	s_bfe_u32 s30, ttmp6, 0x40004
	s_mul_i32 s31, ttmp9, s1
	s_mul_i32 s33, s29, s3
	s_add_co_i32 s0, s0, s31
	s_add_co_i32 s30, s30, s33
	v_dual_lshrrev_b32 v5, 3, v4 :: v_dual_bitop2_b32 v6, 31, v4 bitop3:0x40
	s_wait_kmcnt 0x0
	s_ashr_i32 s5, s4, 31
	s_ashr_i32 s3, s2, 31
	;; [unrolled: 1-line block ×3, first 2 shown]
	s_cmp_eq_u32 s28, 0
	v_dual_lshlrev_b32 v33, 3, v2 :: v_dual_lshrrev_b32 v35, 5, v4
	s_cselect_b32 s0, ttmp9, s0
	s_cselect_b32 s28, s29, s30
	s_lshl_b32 s29, s0, 5
	s_lshl_b32 s0, s28, 5
	s_delay_alu instid0(SALU_CYCLE_1) | instskip(SKIP_2) | instid1(VALU_DEP_3)
	v_dual_add_nc_u32 v12, s0, v5 :: v_dual_bitop2_b32 v10, s29, v6 bitop3:0x54
	v_dual_add_nc_u32 v14, s0, v3 :: v_dual_bitop2_b32 v32, 7, v0 bitop3:0x40
	v_cmp_neq_f64_e64 s33, s[22:23], 0
	v_dual_ashrrev_i32 v11, 31, v10 :: v_dual_ashrrev_i32 v13, 31, v12
	s_delay_alu instid0(VALU_DEP_3) | instskip(NEXT) | instid1(VALU_DEP_4)
	v_dual_mov_b32 v1, 0 :: v_dual_lshlrev_b32 v20, 3, v32
	v_dual_add_nc_u32 v22, 16, v14 :: v_dual_ashrrev_i32 v15, 31, v14
	s_delay_alu instid0(VALU_DEP_3) | instskip(NEXT) | instid1(VALU_DEP_4)
	v_mul_u64_e32 v[16:17], s[4:5], v[10:11]
	v_mul_u64_e32 v[18:19], s[2:3], v[12:13]
	s_delay_alu instid0(VALU_DEP_4) | instskip(NEXT) | instid1(VALU_DEP_4)
	v_dual_mov_b32 v21, v1 :: v_dual_lshlrev_b32 v0, 3, v6
	v_ashrrev_i32_e32 v23, 31, v22
	s_mov_b32 s0, s18
	v_cmp_neq_f64_e64 s28, s[20:21], 0
	v_lshl_add_u32 v34, v3, 6, 0x800
	v_lshl_or_b32 v3, v5, 6, v20
	v_mul_u64_e32 v[4:5], s[0:1], v[14:15]
	v_lshl_or_b32 v36, v35, 8, v0
	v_lshlrev_b32_e32 v0, 3, v35
	v_mul_u64_e32 v[6:7], s[0:1], v[22:23]
	v_add_nc_u32_e32 v2, s29, v2
	s_cmp_gt_i32 s15, 0
	v_add_nc_u32_e32 v37, 0x800, v3
	s_cselect_b32 s18, -1, 0
	s_lshl_b64 s[30:31], s[8:9], 3
	v_add_nc_u32_e32 v8, 16, v2
	s_lshl_b64 s[12:13], s[12:13], 3
	v_cmp_gt_i32_e64 s0, s14, v10
	v_cmp_gt_i32_e64 s1, s14, v12
	s_delay_alu instid0(VALU_DEP_3)
	v_ashrrev_i32_e32 v9, 31, v8
	v_cmp_le_i32_e32 vcc_lo, v14, v2
	v_cmp_gt_i32_e64 s2, s14, v2
	v_ashrrev_i32_e32 v3, 31, v2
	v_cmp_le_i32_e64 s3, v14, v8
	v_cmp_gt_i32_e64 s4, s14, v8
	s_and_b32 s9, s33, s18
	s_and_b32 s5, vcc_lo, s2
	v_cmp_le_i32_e32 vcc_lo, v22, v2
	v_lshl_add_u64 v[10:11], v[16:17], 3, s[30:31]
	v_lshl_add_u64 v[12:13], v[18:19], 3, s[12:13]
	s_and_b32 s8, s3, s4
	v_cmp_le_i32_e64 s3, v22, v8
	s_and_b32 s12, vcc_lo, s2
	v_add_nc_u64_e32 v[10:11], v[10:11], v[0:1]
	v_add_nc_u64_e32 v[12:13], v[12:13], v[20:21]
	s_and_b32 s4, s3, s4
	s_lshl_b64 s[2:3], s[26:27], 3
	s_branch .LBB339_6
.LBB339_5:                              ;   in Loop: Header=BB339_6 Depth=1
	s_wait_xcnt 0x0
	s_or_b32 exec_lo, exec_lo, s13
	s_add_co_i32 s24, s24, 0x10000
	s_delay_alu instid0(SALU_CYCLE_1)
	s_cmp_lt_u32 s24, s19
	s_cbranch_scc0 .LBB339_33
.LBB339_6:                              ; =>This Loop Header: Depth=1
                                        ;     Child Loop BB339_9 Depth 2
	v_mov_b32_e32 v0, s24
	v_mov_b64_e32 v[22:23], 0
	v_mov_b64_e32 v[18:19], 0
	;; [unrolled: 1-line block ×4, first 2 shown]
	global_load_b64 v[20:21], v0, s[16:17] scale_offset
	s_and_not1_b32 vcc_lo, exec_lo, s9
	s_cbranch_vccnz .LBB339_13
; %bb.7:                                ;   in Loop: Header=BB339_6 Depth=1
	s_lshl_b64 s[26:27], s[24:25], 3
	v_mov_b64_e32 v[14:15], 0
	s_add_nc_u64 s[30:31], s[6:7], s[26:27]
	s_add_nc_u64 s[26:27], s[10:11], s[26:27]
	s_clause 0x1
	global_load_b64 v[22:23], v1, s[30:31]
	global_load_b64 v[26:27], v1, s[26:27]
	v_mov_b64_e32 v[16:17], 0
	v_mov_b64_e32 v[18:19], 0
	s_mov_b32 s13, 0
	s_wait_loadcnt 0x1
	v_add_nc_u64_e32 v[24:25], v[22:23], v[10:11]
	s_wait_loadcnt 0x0
	v_add_nc_u64_e32 v[26:27], v[26:27], v[12:13]
	v_mov_b64_e32 v[22:23], 0
	s_branch .LBB339_9
.LBB339_8:                              ;   in Loop: Header=BB339_9 Depth=2
	s_wait_xcnt 0x0
	s_or_b32 exec_lo, exec_lo, s14
	s_wait_loadcnt_dscnt 0x0
	ds_store_b64 v37, v[30:31]
	s_wait_dscnt 0x0
	s_barrier_signal -1
	s_barrier_wait -1
	ds_load_b128 v[28:31], v34
	ds_load_2addr_b64 v[38:41], v33 offset1:16
	ds_load_b128 v[42:45], v34 offset:1024
	ds_load_b128 v[46:49], v34 offset:16
	;; [unrolled: 1-line block ×3, first 2 shown]
	v_add_nc_u64_e32 v[24:25], 64, v[24:25]
	v_add_nc_u64_e32 v[26:27], 64, v[26:27]
	s_add_co_i32 s13, s13, 8
	s_delay_alu instid0(SALU_CYCLE_1)
	s_cmp_lt_i32 s13, s15
	s_wait_dscnt 0x3
	v_fmac_f64_e32 v[22:23], v[38:39], v[28:29]
	v_fmac_f64_e32 v[18:19], v[40:41], v[28:29]
	s_wait_dscnt 0x2
	v_fmac_f64_e32 v[16:17], v[38:39], v[42:43]
	v_fmac_f64_e32 v[14:15], v[40:41], v[42:43]
	ds_load_2addr_b64 v[38:41], v33 offset0:32 offset1:48
	s_wait_dscnt 0x0
	v_fmac_f64_e32 v[22:23], v[38:39], v[30:31]
	v_fmac_f64_e32 v[18:19], v[40:41], v[30:31]
	v_fmac_f64_e32 v[16:17], v[38:39], v[44:45]
	v_fmac_f64_e32 v[14:15], v[40:41], v[44:45]
	ds_load_2addr_b64 v[28:31], v33 offset0:64 offset1:80
	s_wait_dscnt 0x0
	v_fmac_f64_e32 v[22:23], v[28:29], v[46:47]
	v_fmac_f64_e32 v[18:19], v[30:31], v[46:47]
	;; [unrolled: 6-line block ×3, first 2 shown]
	v_fmac_f64_e32 v[16:17], v[28:29], v[52:53]
	v_fmac_f64_e32 v[14:15], v[30:31], v[52:53]
	ds_load_b128 v[28:31], v34 offset:32
	ds_load_2addr_b64 v[38:41], v33 offset0:128 offset1:144
	ds_load_b128 v[42:45], v34 offset:1056
	ds_load_b128 v[46:49], v34 offset:48
	;; [unrolled: 1-line block ×3, first 2 shown]
	s_wait_dscnt 0x3
	v_fmac_f64_e32 v[22:23], v[38:39], v[28:29]
	v_fmac_f64_e32 v[18:19], v[40:41], v[28:29]
	s_wait_dscnt 0x2
	v_fmac_f64_e32 v[16:17], v[38:39], v[42:43]
	v_fmac_f64_e32 v[14:15], v[40:41], v[42:43]
	ds_load_2addr_b64 v[38:41], v33 offset0:160 offset1:176
	s_wait_dscnt 0x0
	v_fmac_f64_e32 v[22:23], v[38:39], v[30:31]
	v_fmac_f64_e32 v[18:19], v[40:41], v[30:31]
	;; [unrolled: 1-line block ×4, first 2 shown]
	ds_load_2addr_b64 v[28:31], v33 offset0:192 offset1:208
	s_wait_dscnt 0x0
	v_fmac_f64_e32 v[22:23], v[28:29], v[46:47]
	v_fmac_f64_e32 v[18:19], v[30:31], v[46:47]
	;; [unrolled: 1-line block ×4, first 2 shown]
	ds_load_2addr_b64 v[28:31], v33 offset0:224 offset1:240
	s_wait_dscnt 0x0
	s_barrier_signal -1
	s_barrier_wait -1
	v_fmac_f64_e32 v[22:23], v[28:29], v[48:49]
	v_fmac_f64_e32 v[18:19], v[30:31], v[48:49]
	;; [unrolled: 1-line block ×4, first 2 shown]
	s_cbranch_scc0 .LBB339_13
.LBB339_9:                              ;   Parent Loop BB339_6 Depth=1
                                        ; =>  This Inner Loop Header: Depth=2
	s_wait_xcnt 0x2
	v_add_nc_u32_e32 v0, s13, v35
	v_mov_b64_e32 v[28:29], 0
	s_delay_alu instid0(VALU_DEP_2)
	v_cmp_gt_i32_e32 vcc_lo, s15, v0
	s_and_b32 s18, s0, vcc_lo
	s_wait_xcnt 0x0
	s_and_saveexec_b32 s14, s18
	s_cbranch_execz .LBB339_11
; %bb.10:                               ;   in Loop: Header=BB339_9 Depth=2
	flat_load_b64 v[28:29], v[24:25]
.LBB339_11:                             ;   in Loop: Header=BB339_9 Depth=2
	s_wait_xcnt 0x0
	s_or_b32 exec_lo, exec_lo, s14
	v_add_nc_u32_e32 v0, s13, v32
	v_mov_b64_e32 v[30:31], 0
	s_wait_loadcnt_dscnt 0x0
	ds_store_b64 v36, v[28:29]
	v_cmp_gt_i32_e32 vcc_lo, s15, v0
	s_and_b32 s18, vcc_lo, s1
	s_delay_alu instid0(SALU_CYCLE_1)
	s_and_saveexec_b32 s14, s18
	s_cbranch_execz .LBB339_8
; %bb.12:                               ;   in Loop: Header=BB339_9 Depth=2
	flat_load_b64 v[30:31], v[26:27]
	s_branch .LBB339_8
.LBB339_13:                             ;   in Loop: Header=BB339_6 Depth=1
	s_wait_loadcnt 0x0
	v_add_nc_u64_e32 v[20:21], s[2:3], v[20:21]
	s_delay_alu instid0(VALU_DEP_1)
	v_lshl_add_u64 v[24:25], v[4:5], 3, v[20:21]
	s_wait_xcnt 0x0
	s_and_saveexec_b32 s13, s5
	s_cbranch_execz .LBB339_17
; %bb.14:                               ;   in Loop: Header=BB339_6 Depth=1
	v_mul_f64_e32 v[22:23], s[22:23], v[22:23]
	v_lshl_add_u64 v[26:27], v[2:3], 3, v[24:25]
	s_and_b32 vcc_lo, exec_lo, s28
	s_cbranch_vccz .LBB339_28
; %bb.15:                               ;   in Loop: Header=BB339_6 Depth=1
	flat_load_b64 v[28:29], v[26:27]
	s_wait_loadcnt_dscnt 0x0
	v_fma_f64 v[28:29], s[20:21], v[28:29], v[22:23]
	flat_store_b64 v[26:27], v[28:29]
	s_cbranch_execnz .LBB339_17
.LBB339_16:                             ;   in Loop: Header=BB339_6 Depth=1
	flat_store_b64 v[26:27], v[22:23]
.LBB339_17:                             ;   in Loop: Header=BB339_6 Depth=1
	s_wait_xcnt 0x0
	s_or_b32 exec_lo, exec_lo, s13
	s_and_saveexec_b32 s13, s8
	s_cbranch_execz .LBB339_21
; %bb.18:                               ;   in Loop: Header=BB339_6 Depth=1
	v_mul_f64_e32 v[18:19], s[22:23], v[18:19]
	v_lshl_add_u64 v[22:23], v[8:9], 3, v[24:25]
	s_and_not1_b32 vcc_lo, exec_lo, s28
	s_cbranch_vccnz .LBB339_29
; %bb.19:                               ;   in Loop: Header=BB339_6 Depth=1
	flat_load_b64 v[24:25], v[22:23]
	s_wait_loadcnt_dscnt 0x0
	v_fma_f64 v[24:25], s[20:21], v[24:25], v[18:19]
	flat_store_b64 v[22:23], v[24:25]
	s_cbranch_execnz .LBB339_21
.LBB339_20:                             ;   in Loop: Header=BB339_6 Depth=1
	flat_store_b64 v[22:23], v[18:19]
.LBB339_21:                             ;   in Loop: Header=BB339_6 Depth=1
	s_wait_xcnt 0x0
	s_or_b32 exec_lo, exec_lo, s13
	v_lshl_add_u64 v[18:19], v[6:7], 3, v[20:21]
	s_and_saveexec_b32 s13, s12
	s_cbranch_execz .LBB339_25
; %bb.22:                               ;   in Loop: Header=BB339_6 Depth=1
	v_mul_f64_e32 v[16:17], s[22:23], v[16:17]
	s_delay_alu instid0(VALU_DEP_2)
	v_lshl_add_u64 v[20:21], v[2:3], 3, v[18:19]
	s_and_not1_b32 vcc_lo, exec_lo, s28
	s_cbranch_vccnz .LBB339_30
; %bb.23:                               ;   in Loop: Header=BB339_6 Depth=1
	flat_load_b64 v[22:23], v[20:21]
	s_wait_loadcnt_dscnt 0x0
	v_fma_f64 v[22:23], s[20:21], v[22:23], v[16:17]
	flat_store_b64 v[20:21], v[22:23]
	s_cbranch_execnz .LBB339_25
.LBB339_24:                             ;   in Loop: Header=BB339_6 Depth=1
	flat_store_b64 v[20:21], v[16:17]
.LBB339_25:                             ;   in Loop: Header=BB339_6 Depth=1
	s_wait_xcnt 0x0
	s_or_b32 exec_lo, exec_lo, s13
	s_and_saveexec_b32 s13, s4
	s_cbranch_execz .LBB339_5
; %bb.26:                               ;   in Loop: Header=BB339_6 Depth=1
	s_delay_alu instid0(VALU_DEP_4)
	v_mul_f64_e32 v[14:15], s[22:23], v[14:15]
	v_lshl_add_u64 v[16:17], v[8:9], 3, v[18:19]
	s_and_not1_b32 vcc_lo, exec_lo, s28
	s_cbranch_vccnz .LBB339_31
; %bb.27:                               ;   in Loop: Header=BB339_6 Depth=1
	flat_load_b64 v[18:19], v[16:17]
	s_wait_loadcnt_dscnt 0x0
	v_fma_f64 v[18:19], s[20:21], v[18:19], v[14:15]
	flat_store_b64 v[16:17], v[18:19]
	s_cbranch_execnz .LBB339_5
	s_branch .LBB339_32
.LBB339_28:                             ;   in Loop: Header=BB339_6 Depth=1
	s_branch .LBB339_16
.LBB339_29:                             ;   in Loop: Header=BB339_6 Depth=1
	s_branch .LBB339_20
.LBB339_30:                             ;   in Loop: Header=BB339_6 Depth=1
	s_branch .LBB339_24
.LBB339_31:                             ;   in Loop: Header=BB339_6 Depth=1
.LBB339_32:                             ;   in Loop: Header=BB339_6 Depth=1
	flat_store_b64 v[16:17], v[14:15]
	s_branch .LBB339_5
.LBB339_33:
	s_endpgm
	.section	.rodata,"a",@progbits
	.p2align	6, 0x0
	.amdhsa_kernel _ZL29rocblas_internal_gemmt_kernelIiLi16ELi32ELi8ELc67ELc78ELc76ELb0ELb0EdPKdPKS1_PKPdEviT_T9_T10_S7_lS9_S7_lS8_T11_S7_li
		.amdhsa_group_segment_fixed_size 4096
		.amdhsa_private_segment_fixed_size 0
		.amdhsa_kernarg_size 100
		.amdhsa_user_sgpr_count 2
		.amdhsa_user_sgpr_dispatch_ptr 0
		.amdhsa_user_sgpr_queue_ptr 0
		.amdhsa_user_sgpr_kernarg_segment_ptr 1
		.amdhsa_user_sgpr_dispatch_id 0
		.amdhsa_user_sgpr_kernarg_preload_length 0
		.amdhsa_user_sgpr_kernarg_preload_offset 0
		.amdhsa_user_sgpr_private_segment_size 0
		.amdhsa_wavefront_size32 1
		.amdhsa_uses_dynamic_stack 0
		.amdhsa_enable_private_segment 0
		.amdhsa_system_sgpr_workgroup_id_x 1
		.amdhsa_system_sgpr_workgroup_id_y 1
		.amdhsa_system_sgpr_workgroup_id_z 1
		.amdhsa_system_sgpr_workgroup_info 0
		.amdhsa_system_vgpr_workitem_id 1
		.amdhsa_next_free_vgpr 54
		.amdhsa_next_free_sgpr 34
		.amdhsa_named_barrier_count 0
		.amdhsa_reserve_vcc 1
		.amdhsa_float_round_mode_32 0
		.amdhsa_float_round_mode_16_64 0
		.amdhsa_float_denorm_mode_32 3
		.amdhsa_float_denorm_mode_16_64 3
		.amdhsa_fp16_overflow 0
		.amdhsa_memory_ordered 1
		.amdhsa_forward_progress 1
		.amdhsa_inst_pref_size 14
		.amdhsa_round_robin_scheduling 0
		.amdhsa_exception_fp_ieee_invalid_op 0
		.amdhsa_exception_fp_denorm_src 0
		.amdhsa_exception_fp_ieee_div_zero 0
		.amdhsa_exception_fp_ieee_overflow 0
		.amdhsa_exception_fp_ieee_underflow 0
		.amdhsa_exception_fp_ieee_inexact 0
		.amdhsa_exception_int_div_zero 0
	.end_amdhsa_kernel
	.section	.text._ZL29rocblas_internal_gemmt_kernelIiLi16ELi32ELi8ELc67ELc78ELc76ELb0ELb0EdPKdPKS1_PKPdEviT_T9_T10_S7_lS9_S7_lS8_T11_S7_li,"axG",@progbits,_ZL29rocblas_internal_gemmt_kernelIiLi16ELi32ELi8ELc67ELc78ELc76ELb0ELb0EdPKdPKS1_PKPdEviT_T9_T10_S7_lS9_S7_lS8_T11_S7_li,comdat
.Lfunc_end339:
	.size	_ZL29rocblas_internal_gemmt_kernelIiLi16ELi32ELi8ELc67ELc78ELc76ELb0ELb0EdPKdPKS1_PKPdEviT_T9_T10_S7_lS9_S7_lS8_T11_S7_li, .Lfunc_end339-_ZL29rocblas_internal_gemmt_kernelIiLi16ELi32ELi8ELc67ELc78ELc76ELb0ELb0EdPKdPKS1_PKPdEviT_T9_T10_S7_lS9_S7_lS8_T11_S7_li
                                        ; -- End function
	.set _ZL29rocblas_internal_gemmt_kernelIiLi16ELi32ELi8ELc67ELc78ELc76ELb0ELb0EdPKdPKS1_PKPdEviT_T9_T10_S7_lS9_S7_lS8_T11_S7_li.num_vgpr, 54
	.set _ZL29rocblas_internal_gemmt_kernelIiLi16ELi32ELi8ELc67ELc78ELc76ELb0ELb0EdPKdPKS1_PKPdEviT_T9_T10_S7_lS9_S7_lS8_T11_S7_li.num_agpr, 0
	.set _ZL29rocblas_internal_gemmt_kernelIiLi16ELi32ELi8ELc67ELc78ELc76ELb0ELb0EdPKdPKS1_PKPdEviT_T9_T10_S7_lS9_S7_lS8_T11_S7_li.numbered_sgpr, 34
	.set _ZL29rocblas_internal_gemmt_kernelIiLi16ELi32ELi8ELc67ELc78ELc76ELb0ELb0EdPKdPKS1_PKPdEviT_T9_T10_S7_lS9_S7_lS8_T11_S7_li.num_named_barrier, 0
	.set _ZL29rocblas_internal_gemmt_kernelIiLi16ELi32ELi8ELc67ELc78ELc76ELb0ELb0EdPKdPKS1_PKPdEviT_T9_T10_S7_lS9_S7_lS8_T11_S7_li.private_seg_size, 0
	.set _ZL29rocblas_internal_gemmt_kernelIiLi16ELi32ELi8ELc67ELc78ELc76ELb0ELb0EdPKdPKS1_PKPdEviT_T9_T10_S7_lS9_S7_lS8_T11_S7_li.uses_vcc, 1
	.set _ZL29rocblas_internal_gemmt_kernelIiLi16ELi32ELi8ELc67ELc78ELc76ELb0ELb0EdPKdPKS1_PKPdEviT_T9_T10_S7_lS9_S7_lS8_T11_S7_li.uses_flat_scratch, 0
	.set _ZL29rocblas_internal_gemmt_kernelIiLi16ELi32ELi8ELc67ELc78ELc76ELb0ELb0EdPKdPKS1_PKPdEviT_T9_T10_S7_lS9_S7_lS8_T11_S7_li.has_dyn_sized_stack, 0
	.set _ZL29rocblas_internal_gemmt_kernelIiLi16ELi32ELi8ELc67ELc78ELc76ELb0ELb0EdPKdPKS1_PKPdEviT_T9_T10_S7_lS9_S7_lS8_T11_S7_li.has_recursion, 0
	.set _ZL29rocblas_internal_gemmt_kernelIiLi16ELi32ELi8ELc67ELc78ELc76ELb0ELb0EdPKdPKS1_PKPdEviT_T9_T10_S7_lS9_S7_lS8_T11_S7_li.has_indirect_call, 0
	.section	.AMDGPU.csdata,"",@progbits
; Kernel info:
; codeLenInByte = 1704
; TotalNumSgprs: 36
; NumVgprs: 54
; ScratchSize: 0
; MemoryBound: 0
; FloatMode: 240
; IeeeMode: 1
; LDSByteSize: 4096 bytes/workgroup (compile time only)
; SGPRBlocks: 0
; VGPRBlocks: 3
; NumSGPRsForWavesPerEU: 36
; NumVGPRsForWavesPerEU: 54
; NamedBarCnt: 0
; Occupancy: 16
; WaveLimiterHint : 1
; COMPUTE_PGM_RSRC2:SCRATCH_EN: 0
; COMPUTE_PGM_RSRC2:USER_SGPR: 2
; COMPUTE_PGM_RSRC2:TRAP_HANDLER: 0
; COMPUTE_PGM_RSRC2:TGID_X_EN: 1
; COMPUTE_PGM_RSRC2:TGID_Y_EN: 1
; COMPUTE_PGM_RSRC2:TGID_Z_EN: 1
; COMPUTE_PGM_RSRC2:TIDIG_COMP_CNT: 1
	.section	.text._ZL29rocblas_internal_gemmt_kernelIiLi16ELi32ELi8ELc67ELc84ELc76ELb0ELb0EdPKdPKS1_PKPdEviT_T9_T10_S7_lS9_S7_lS8_T11_S7_li,"axG",@progbits,_ZL29rocblas_internal_gemmt_kernelIiLi16ELi32ELi8ELc67ELc84ELc76ELb0ELb0EdPKdPKS1_PKPdEviT_T9_T10_S7_lS9_S7_lS8_T11_S7_li,comdat
	.globl	_ZL29rocblas_internal_gemmt_kernelIiLi16ELi32ELi8ELc67ELc84ELc76ELb0ELb0EdPKdPKS1_PKPdEviT_T9_T10_S7_lS9_S7_lS8_T11_S7_li ; -- Begin function _ZL29rocblas_internal_gemmt_kernelIiLi16ELi32ELi8ELc67ELc84ELc76ELb0ELb0EdPKdPKS1_PKPdEviT_T9_T10_S7_lS9_S7_lS8_T11_S7_li
	.p2align	8
	.type	_ZL29rocblas_internal_gemmt_kernelIiLi16ELi32ELi8ELc67ELc84ELc76ELb0ELb0EdPKdPKS1_PKPdEviT_T9_T10_S7_lS9_S7_lS8_T11_S7_li,@function
_ZL29rocblas_internal_gemmt_kernelIiLi16ELi32ELi8ELc67ELc84ELc76ELb0ELb0EdPKdPKS1_PKPdEviT_T9_T10_S7_lS9_S7_lS8_T11_S7_li: ; @_ZL29rocblas_internal_gemmt_kernelIiLi16ELi32ELi8ELc67ELc84ELc76ELb0ELb0EdPKdPKS1_PKPdEviT_T9_T10_S7_lS9_S7_lS8_T11_S7_li
; %bb.0:
	s_load_b128 s[12:15], s[0:1], 0x38
	s_wait_kmcnt 0x0
	s_load_b64 s[20:21], s[14:15], 0x0
	s_load_b128 s[4:7], s[0:1], 0x8
	s_wait_xcnt 0x0
	s_load_b64 s[14:15], s[0:1], 0x0
	s_wait_kmcnt 0x0
	s_load_b64 s[22:23], s[4:5], 0x0
	v_cmp_neq_f64_e64 s2, s[20:21], 1.0
	s_and_b32 vcc_lo, exec_lo, s2
	s_cbranch_vccnz .LBB340_2
; %bb.1:
	s_wait_kmcnt 0x0
	v_cmp_neq_f64_e64 s2, s[22:23], 0
	s_cmp_lg_u32 s15, 0
	s_cselect_b32 s3, -1, 0
	s_delay_alu instid0(SALU_CYCLE_1)
	s_and_b32 s2, s3, s2
.LBB340_2:
	s_delay_alu instid0(SALU_CYCLE_1)
	s_and_not1_b32 vcc_lo, exec_lo, s2
	s_cbranch_vccnz .LBB340_33
; %bb.3:
	s_load_b32 s19, s[0:1], 0x60
	s_bfe_u32 s2, ttmp6, 0x40014
	s_lshr_b32 s3, ttmp7, 16
	s_add_co_i32 s2, s2, 1
	s_wait_xcnt 0x0
	s_bfe_u32 s5, ttmp6, 0x40008
	s_mul_i32 s2, s3, s2
	s_getreg_b32 s4, hwreg(HW_REG_IB_STS2, 6, 4)
	s_add_co_i32 s5, s5, s2
	s_cmp_eq_u32 s4, 0
	s_mov_b32 s25, 0
	s_cselect_b32 s24, s3, s5
	s_wait_kmcnt 0x0
	s_cmp_ge_u32 s24, s19
	s_cbranch_scc1 .LBB340_33
; %bb.4:
	s_clause 0x3
	s_load_b32 s2, s[0:1], 0x18
	s_load_b32 s26, s[0:1], 0x30
	s_load_b96 s[16:18], s[0:1], 0x48
	s_load_b128 s[8:11], s[0:1], 0x20
	v_and_b32_e32 v2, 0x3ff, v0
	v_bfe_u32 v11, v0, 10, 10
	s_load_b64 s[28:29], s[0:1], 0x58
	s_wait_xcnt 0x0
	s_bfe_u32 s1, ttmp6, 0x4000c
	s_bfe_u32 s3, ttmp6, 0x40010
	s_and_b32 s30, ttmp7, 0xffff
	s_add_co_i32 s1, s1, 1
	s_add_co_i32 s3, s3, 1
	v_lshl_add_u32 v1, v11, 4, v2
	s_and_b32 s0, ttmp6, 15
	s_bfe_u32 s31, ttmp6, 0x40004
	s_mul_i32 s1, ttmp9, s1
	s_mul_i32 s33, s30, s3
	s_add_co_i32 s0, s0, s1
	s_add_co_i32 s31, s31, s33
	v_dual_lshrrev_b32 v34, 5, v1 :: v_dual_bitop2_b32 v6, 31, v1 bitop3:0x40
	s_wait_kmcnt 0x0
	s_ashr_i32 s3, s2, 31
	s_ashr_i32 s27, s26, 31
	;; [unrolled: 1-line block ×3, first 2 shown]
	s_cmp_eq_u32 s4, 0
	v_dual_mov_b32 v3, 0 :: v_dual_bitop2_b32 v0, 7, v0 bitop3:0x40
	s_cselect_b32 s0, ttmp9, s0
	s_cselect_b32 s1, s30, s31
	s_lshl_b32 s30, s0, 5
	s_delay_alu instid0(SALU_CYCLE_1) | instskip(SKIP_1) | instid1(SALU_CYCLE_1)
	v_dual_lshrrev_b32 v7, 3, v1 :: v_dual_bitop2_b32 v4, s30, v6 bitop3:0x54
	s_lshl_b32 s0, s1, 5
	v_dual_mov_b32 v1, v3 :: v_dual_add_nc_u32 v12, s0, v11
	s_delay_alu instid0(VALU_DEP_2) | instskip(SKIP_1) | instid1(VALU_DEP_3)
	v_dual_add_nc_u32 v14, s0, v7 :: v_dual_ashrrev_i32 v5, 31, v4
	v_cmp_gt_i32_e64 s0, s14, v4
	v_mul_u64_e32 v[18:19], s[26:27], v[0:1]
	s_delay_alu instid0(VALU_DEP_4) | instskip(SKIP_3) | instid1(VALU_DEP_4)
	v_add_nc_u32_e32 v20, 16, v12
	v_lshlrev_b32_e32 v1, 3, v0
	v_mul_u64_e32 v[16:17], s[2:3], v[4:5]
	v_dual_lshlrev_b32 v5, 3, v6 :: v_dual_ashrrev_i32 v13, 31, v12
	v_dual_ashrrev_i32 v21, 31, v20 :: v_dual_lshlrev_b32 v36, 3, v2
	v_add_nc_u32_e32 v4, s30, v2
	v_lshl_or_b32 v15, v7, 6, v1
	s_mov_b32 s4, s18
	v_cmp_neq_f64_e64 s31, s[22:23], 0
	v_cmp_neq_f64_e64 s18, s[20:21], 0
	v_mul_u64_e32 v[8:9], s[4:5], v[20:21]
	v_add_nc_u32_e32 v35, 0x800, v15
	v_ashrrev_i32_e32 v15, 31, v14
	v_mul_u64_e32 v[6:7], s[4:5], v[12:13]
	v_add_nc_u32_e32 v10, 16, v4
	v_cmp_le_i32_e32 vcc_lo, v12, v4
	v_cmp_gt_i32_e64 s2, s14, v4
	s_cmp_gt_i32 s15, 0
	v_lshl_or_b32 v1, v34, 8, v5
	s_cselect_b32 s33, -1, 0
	s_lshl_b64 s[8:9], s[8:9], 3
	v_cmp_gt_i32_e64 s1, s14, v14
	v_ashrrev_i32_e32 v5, 31, v4
	v_cmp_le_i32_e64 s3, v12, v10
	v_cmp_gt_i32_e64 s4, s14, v10
	s_and_b32 s14, vcc_lo, s2
	v_cmp_le_i32_e32 vcc_lo, v20, v4
	v_lshlrev_b32_e32 v2, 3, v34
	v_lshl_add_u32 v37, v11, 6, 0x800
	v_ashrrev_i32_e32 v11, 31, v10
	s_and_b32 s30, s3, s4
	v_lshl_add_u64 v[12:13], v[16:17], 3, s[8:9]
	s_lshl_b64 s[8:9], s[12:13], 3
	s_delay_alu instid0(SALU_CYCLE_1)
	v_lshl_add_u64 v[16:17], v[18:19], 3, s[8:9]
	s_and_b32 s8, vcc_lo, s2
	v_cmp_le_i32_e32 vcc_lo, v20, v10
	v_add_nc_u64_e32 v[12:13], v[12:13], v[2:3]
	s_lshl_b64 s[2:3], s[26:27], 6
	v_lshl_add_u64 v[14:15], v[14:15], 3, v[16:17]
	s_and_b32 s9, s31, s33
	s_and_b32 s12, vcc_lo, s4
	s_lshl_b64 s[4:5], s[28:29], 3
	s_branch .LBB340_6
.LBB340_5:                              ;   in Loop: Header=BB340_6 Depth=1
	s_wait_xcnt 0x0
	s_or_b32 exec_lo, exec_lo, s13
	s_add_co_i32 s24, s24, 0x10000
	s_delay_alu instid0(SALU_CYCLE_1)
	s_cmp_lt_u32 s24, s19
	s_cbranch_scc0 .LBB340_33
.LBB340_6:                              ; =>This Loop Header: Depth=1
                                        ;     Child Loop BB340_9 Depth 2
	v_mov_b32_e32 v2, s24
	v_mov_b64_e32 v[24:25], 0
	v_mov_b64_e32 v[20:21], 0
	;; [unrolled: 1-line block ×4, first 2 shown]
	global_load_b64 v[22:23], v2, s[16:17] scale_offset
	s_and_not1_b32 vcc_lo, exec_lo, s9
	s_cbranch_vccnz .LBB340_13
; %bb.7:                                ;   in Loop: Header=BB340_6 Depth=1
	s_lshl_b64 s[26:27], s[24:25], 3
	v_mov_b64_e32 v[16:17], 0
	s_add_nc_u64 s[28:29], s[6:7], s[26:27]
	s_add_nc_u64 s[26:27], s[10:11], s[26:27]
	s_clause 0x1
	global_load_b64 v[24:25], v3, s[28:29]
	global_load_b64 v[28:29], v3, s[26:27]
	v_mov_b64_e32 v[18:19], 0
	v_mov_b64_e32 v[20:21], 0
	s_mov_b32 s13, 0
	s_wait_loadcnt 0x1
	v_add_nc_u64_e32 v[26:27], v[24:25], v[12:13]
	s_wait_loadcnt 0x0
	v_add_nc_u64_e32 v[28:29], v[28:29], v[14:15]
	v_mov_b64_e32 v[24:25], 0
	s_branch .LBB340_9
.LBB340_8:                              ;   in Loop: Header=BB340_9 Depth=2
	s_wait_xcnt 0x0
	s_or_b32 exec_lo, exec_lo, s26
	s_wait_loadcnt_dscnt 0x0
	ds_store_b64 v35, v[32:33]
	s_wait_dscnt 0x0
	s_barrier_signal -1
	s_barrier_wait -1
	ds_load_b128 v[30:33], v37
	ds_load_2addr_b64 v[38:41], v36 offset1:16
	ds_load_b128 v[42:45], v37 offset:1024
	ds_load_b128 v[46:49], v37 offset:16
	;; [unrolled: 1-line block ×3, first 2 shown]
	v_add_nc_u64_e32 v[26:27], 64, v[26:27]
	v_add_nc_u64_e32 v[28:29], s[2:3], v[28:29]
	s_add_co_i32 s13, s13, 8
	s_delay_alu instid0(SALU_CYCLE_1)
	s_cmp_lt_i32 s13, s15
	s_wait_dscnt 0x3
	v_fmac_f64_e32 v[24:25], v[38:39], v[30:31]
	v_fmac_f64_e32 v[20:21], v[40:41], v[30:31]
	s_wait_dscnt 0x2
	v_fmac_f64_e32 v[18:19], v[38:39], v[42:43]
	v_fmac_f64_e32 v[16:17], v[40:41], v[42:43]
	ds_load_2addr_b64 v[38:41], v36 offset0:32 offset1:48
	s_wait_dscnt 0x0
	v_fmac_f64_e32 v[24:25], v[38:39], v[32:33]
	v_fmac_f64_e32 v[20:21], v[40:41], v[32:33]
	v_fmac_f64_e32 v[18:19], v[38:39], v[44:45]
	v_fmac_f64_e32 v[16:17], v[40:41], v[44:45]
	ds_load_2addr_b64 v[30:33], v36 offset0:64 offset1:80
	s_wait_dscnt 0x0
	v_fmac_f64_e32 v[24:25], v[30:31], v[46:47]
	v_fmac_f64_e32 v[20:21], v[32:33], v[46:47]
	;; [unrolled: 6-line block ×3, first 2 shown]
	v_fmac_f64_e32 v[18:19], v[30:31], v[52:53]
	v_fmac_f64_e32 v[16:17], v[32:33], v[52:53]
	ds_load_b128 v[30:33], v37 offset:32
	ds_load_2addr_b64 v[38:41], v36 offset0:128 offset1:144
	ds_load_b128 v[42:45], v37 offset:1056
	ds_load_b128 v[46:49], v37 offset:48
	;; [unrolled: 1-line block ×3, first 2 shown]
	s_wait_dscnt 0x3
	v_fmac_f64_e32 v[24:25], v[38:39], v[30:31]
	v_fmac_f64_e32 v[20:21], v[40:41], v[30:31]
	s_wait_dscnt 0x2
	v_fmac_f64_e32 v[18:19], v[38:39], v[42:43]
	v_fmac_f64_e32 v[16:17], v[40:41], v[42:43]
	ds_load_2addr_b64 v[38:41], v36 offset0:160 offset1:176
	s_wait_dscnt 0x0
	v_fmac_f64_e32 v[24:25], v[38:39], v[32:33]
	v_fmac_f64_e32 v[20:21], v[40:41], v[32:33]
	;; [unrolled: 1-line block ×4, first 2 shown]
	ds_load_2addr_b64 v[30:33], v36 offset0:192 offset1:208
	s_wait_dscnt 0x0
	v_fmac_f64_e32 v[24:25], v[30:31], v[46:47]
	v_fmac_f64_e32 v[20:21], v[32:33], v[46:47]
	;; [unrolled: 1-line block ×4, first 2 shown]
	ds_load_2addr_b64 v[30:33], v36 offset0:224 offset1:240
	s_wait_dscnt 0x0
	s_barrier_signal -1
	s_barrier_wait -1
	v_fmac_f64_e32 v[24:25], v[30:31], v[48:49]
	v_fmac_f64_e32 v[20:21], v[32:33], v[48:49]
	;; [unrolled: 1-line block ×4, first 2 shown]
	s_cbranch_scc0 .LBB340_13
.LBB340_9:                              ;   Parent Loop BB340_6 Depth=1
                                        ; =>  This Inner Loop Header: Depth=2
	s_wait_xcnt 0x2
	v_add_nc_u32_e32 v2, s13, v34
	v_mov_b64_e32 v[30:31], 0
	s_delay_alu instid0(VALU_DEP_2) | instskip(SKIP_2) | instid1(SALU_CYCLE_1)
	v_cmp_gt_i32_e32 vcc_lo, s15, v2
	s_wait_xcnt 0x0
	s_and_b32 s27, s0, vcc_lo
	s_and_saveexec_b32 s26, s27
	s_cbranch_execz .LBB340_11
; %bb.10:                               ;   in Loop: Header=BB340_9 Depth=2
	flat_load_b64 v[30:31], v[26:27]
.LBB340_11:                             ;   in Loop: Header=BB340_9 Depth=2
	s_wait_xcnt 0x0
	s_or_b32 exec_lo, exec_lo, s26
	v_add_nc_u32_e32 v2, s13, v0
	v_mov_b64_e32 v[32:33], 0
	s_wait_loadcnt_dscnt 0x0
	ds_store_b64 v1, v[30:31]
	v_cmp_gt_i32_e32 vcc_lo, s15, v2
	s_and_b32 s27, vcc_lo, s1
	s_delay_alu instid0(SALU_CYCLE_1)
	s_and_saveexec_b32 s26, s27
	s_cbranch_execz .LBB340_8
; %bb.12:                               ;   in Loop: Header=BB340_9 Depth=2
	flat_load_b64 v[32:33], v[28:29]
	s_branch .LBB340_8
.LBB340_13:                             ;   in Loop: Header=BB340_6 Depth=1
	s_wait_loadcnt 0x0
	v_add_nc_u64_e32 v[22:23], s[4:5], v[22:23]
	s_delay_alu instid0(VALU_DEP_1)
	v_lshl_add_u64 v[26:27], v[6:7], 3, v[22:23]
	s_wait_xcnt 0x0
	s_and_saveexec_b32 s13, s14
	s_cbranch_execz .LBB340_17
; %bb.14:                               ;   in Loop: Header=BB340_6 Depth=1
	v_mul_f64_e32 v[24:25], s[22:23], v[24:25]
	v_lshl_add_u64 v[28:29], v[4:5], 3, v[26:27]
	s_and_b32 vcc_lo, exec_lo, s18
	s_cbranch_vccz .LBB340_28
; %bb.15:                               ;   in Loop: Header=BB340_6 Depth=1
	flat_load_b64 v[30:31], v[28:29]
	s_wait_loadcnt_dscnt 0x0
	v_fma_f64 v[30:31], s[20:21], v[30:31], v[24:25]
	flat_store_b64 v[28:29], v[30:31]
	s_cbranch_execnz .LBB340_17
.LBB340_16:                             ;   in Loop: Header=BB340_6 Depth=1
	flat_store_b64 v[28:29], v[24:25]
.LBB340_17:                             ;   in Loop: Header=BB340_6 Depth=1
	s_wait_xcnt 0x0
	s_or_b32 exec_lo, exec_lo, s13
	s_and_saveexec_b32 s13, s30
	s_cbranch_execz .LBB340_21
; %bb.18:                               ;   in Loop: Header=BB340_6 Depth=1
	v_mul_f64_e32 v[20:21], s[22:23], v[20:21]
	v_lshl_add_u64 v[24:25], v[10:11], 3, v[26:27]
	s_and_not1_b32 vcc_lo, exec_lo, s18
	s_cbranch_vccnz .LBB340_29
; %bb.19:                               ;   in Loop: Header=BB340_6 Depth=1
	flat_load_b64 v[26:27], v[24:25]
	s_wait_loadcnt_dscnt 0x0
	v_fma_f64 v[26:27], s[20:21], v[26:27], v[20:21]
	flat_store_b64 v[24:25], v[26:27]
	s_cbranch_execnz .LBB340_21
.LBB340_20:                             ;   in Loop: Header=BB340_6 Depth=1
	flat_store_b64 v[24:25], v[20:21]
.LBB340_21:                             ;   in Loop: Header=BB340_6 Depth=1
	s_wait_xcnt 0x0
	s_or_b32 exec_lo, exec_lo, s13
	v_lshl_add_u64 v[20:21], v[8:9], 3, v[22:23]
	s_and_saveexec_b32 s13, s8
	s_cbranch_execz .LBB340_25
; %bb.22:                               ;   in Loop: Header=BB340_6 Depth=1
	v_mul_f64_e32 v[18:19], s[22:23], v[18:19]
	s_delay_alu instid0(VALU_DEP_2)
	v_lshl_add_u64 v[22:23], v[4:5], 3, v[20:21]
	s_and_not1_b32 vcc_lo, exec_lo, s18
	s_cbranch_vccnz .LBB340_30
; %bb.23:                               ;   in Loop: Header=BB340_6 Depth=1
	flat_load_b64 v[24:25], v[22:23]
	s_wait_loadcnt_dscnt 0x0
	v_fma_f64 v[24:25], s[20:21], v[24:25], v[18:19]
	flat_store_b64 v[22:23], v[24:25]
	s_cbranch_execnz .LBB340_25
.LBB340_24:                             ;   in Loop: Header=BB340_6 Depth=1
	flat_store_b64 v[22:23], v[18:19]
.LBB340_25:                             ;   in Loop: Header=BB340_6 Depth=1
	s_wait_xcnt 0x0
	s_or_b32 exec_lo, exec_lo, s13
	s_and_saveexec_b32 s13, s12
	s_cbranch_execz .LBB340_5
; %bb.26:                               ;   in Loop: Header=BB340_6 Depth=1
	s_delay_alu instid0(VALU_DEP_4)
	v_mul_f64_e32 v[16:17], s[22:23], v[16:17]
	v_lshl_add_u64 v[18:19], v[10:11], 3, v[20:21]
	s_and_not1_b32 vcc_lo, exec_lo, s18
	s_cbranch_vccnz .LBB340_31
; %bb.27:                               ;   in Loop: Header=BB340_6 Depth=1
	flat_load_b64 v[20:21], v[18:19]
	s_wait_loadcnt_dscnt 0x0
	v_fma_f64 v[20:21], s[20:21], v[20:21], v[16:17]
	flat_store_b64 v[18:19], v[20:21]
	s_cbranch_execnz .LBB340_5
	s_branch .LBB340_32
.LBB340_28:                             ;   in Loop: Header=BB340_6 Depth=1
	s_branch .LBB340_16
.LBB340_29:                             ;   in Loop: Header=BB340_6 Depth=1
	s_branch .LBB340_20
.LBB340_30:                             ;   in Loop: Header=BB340_6 Depth=1
	s_branch .LBB340_24
.LBB340_31:                             ;   in Loop: Header=BB340_6 Depth=1
.LBB340_32:                             ;   in Loop: Header=BB340_6 Depth=1
	flat_store_b64 v[18:19], v[16:17]
	s_branch .LBB340_5
.LBB340_33:
	s_endpgm
	.section	.rodata,"a",@progbits
	.p2align	6, 0x0
	.amdhsa_kernel _ZL29rocblas_internal_gemmt_kernelIiLi16ELi32ELi8ELc67ELc84ELc76ELb0ELb0EdPKdPKS1_PKPdEviT_T9_T10_S7_lS9_S7_lS8_T11_S7_li
		.amdhsa_group_segment_fixed_size 4096
		.amdhsa_private_segment_fixed_size 0
		.amdhsa_kernarg_size 100
		.amdhsa_user_sgpr_count 2
		.amdhsa_user_sgpr_dispatch_ptr 0
		.amdhsa_user_sgpr_queue_ptr 0
		.amdhsa_user_sgpr_kernarg_segment_ptr 1
		.amdhsa_user_sgpr_dispatch_id 0
		.amdhsa_user_sgpr_kernarg_preload_length 0
		.amdhsa_user_sgpr_kernarg_preload_offset 0
		.amdhsa_user_sgpr_private_segment_size 0
		.amdhsa_wavefront_size32 1
		.amdhsa_uses_dynamic_stack 0
		.amdhsa_enable_private_segment 0
		.amdhsa_system_sgpr_workgroup_id_x 1
		.amdhsa_system_sgpr_workgroup_id_y 1
		.amdhsa_system_sgpr_workgroup_id_z 1
		.amdhsa_system_sgpr_workgroup_info 0
		.amdhsa_system_vgpr_workitem_id 1
		.amdhsa_next_free_vgpr 54
		.amdhsa_next_free_sgpr 34
		.amdhsa_named_barrier_count 0
		.amdhsa_reserve_vcc 1
		.amdhsa_float_round_mode_32 0
		.amdhsa_float_round_mode_16_64 0
		.amdhsa_float_denorm_mode_32 3
		.amdhsa_float_denorm_mode_16_64 3
		.amdhsa_fp16_overflow 0
		.amdhsa_memory_ordered 1
		.amdhsa_forward_progress 1
		.amdhsa_inst_pref_size 14
		.amdhsa_round_robin_scheduling 0
		.amdhsa_exception_fp_ieee_invalid_op 0
		.amdhsa_exception_fp_denorm_src 0
		.amdhsa_exception_fp_ieee_div_zero 0
		.amdhsa_exception_fp_ieee_overflow 0
		.amdhsa_exception_fp_ieee_underflow 0
		.amdhsa_exception_fp_ieee_inexact 0
		.amdhsa_exception_int_div_zero 0
	.end_amdhsa_kernel
	.section	.text._ZL29rocblas_internal_gemmt_kernelIiLi16ELi32ELi8ELc67ELc84ELc76ELb0ELb0EdPKdPKS1_PKPdEviT_T9_T10_S7_lS9_S7_lS8_T11_S7_li,"axG",@progbits,_ZL29rocblas_internal_gemmt_kernelIiLi16ELi32ELi8ELc67ELc84ELc76ELb0ELb0EdPKdPKS1_PKPdEviT_T9_T10_S7_lS9_S7_lS8_T11_S7_li,comdat
.Lfunc_end340:
	.size	_ZL29rocblas_internal_gemmt_kernelIiLi16ELi32ELi8ELc67ELc84ELc76ELb0ELb0EdPKdPKS1_PKPdEviT_T9_T10_S7_lS9_S7_lS8_T11_S7_li, .Lfunc_end340-_ZL29rocblas_internal_gemmt_kernelIiLi16ELi32ELi8ELc67ELc84ELc76ELb0ELb0EdPKdPKS1_PKPdEviT_T9_T10_S7_lS9_S7_lS8_T11_S7_li
                                        ; -- End function
	.set _ZL29rocblas_internal_gemmt_kernelIiLi16ELi32ELi8ELc67ELc84ELc76ELb0ELb0EdPKdPKS1_PKPdEviT_T9_T10_S7_lS9_S7_lS8_T11_S7_li.num_vgpr, 54
	.set _ZL29rocblas_internal_gemmt_kernelIiLi16ELi32ELi8ELc67ELc84ELc76ELb0ELb0EdPKdPKS1_PKPdEviT_T9_T10_S7_lS9_S7_lS8_T11_S7_li.num_agpr, 0
	.set _ZL29rocblas_internal_gemmt_kernelIiLi16ELi32ELi8ELc67ELc84ELc76ELb0ELb0EdPKdPKS1_PKPdEviT_T9_T10_S7_lS9_S7_lS8_T11_S7_li.numbered_sgpr, 34
	.set _ZL29rocblas_internal_gemmt_kernelIiLi16ELi32ELi8ELc67ELc84ELc76ELb0ELb0EdPKdPKS1_PKPdEviT_T9_T10_S7_lS9_S7_lS8_T11_S7_li.num_named_barrier, 0
	.set _ZL29rocblas_internal_gemmt_kernelIiLi16ELi32ELi8ELc67ELc84ELc76ELb0ELb0EdPKdPKS1_PKPdEviT_T9_T10_S7_lS9_S7_lS8_T11_S7_li.private_seg_size, 0
	.set _ZL29rocblas_internal_gemmt_kernelIiLi16ELi32ELi8ELc67ELc84ELc76ELb0ELb0EdPKdPKS1_PKPdEviT_T9_T10_S7_lS9_S7_lS8_T11_S7_li.uses_vcc, 1
	.set _ZL29rocblas_internal_gemmt_kernelIiLi16ELi32ELi8ELc67ELc84ELc76ELb0ELb0EdPKdPKS1_PKPdEviT_T9_T10_S7_lS9_S7_lS8_T11_S7_li.uses_flat_scratch, 0
	.set _ZL29rocblas_internal_gemmt_kernelIiLi16ELi32ELi8ELc67ELc84ELc76ELb0ELb0EdPKdPKS1_PKPdEviT_T9_T10_S7_lS9_S7_lS8_T11_S7_li.has_dyn_sized_stack, 0
	.set _ZL29rocblas_internal_gemmt_kernelIiLi16ELi32ELi8ELc67ELc84ELc76ELb0ELb0EdPKdPKS1_PKPdEviT_T9_T10_S7_lS9_S7_lS8_T11_S7_li.has_recursion, 0
	.set _ZL29rocblas_internal_gemmt_kernelIiLi16ELi32ELi8ELc67ELc84ELc76ELb0ELb0EdPKdPKS1_PKPdEviT_T9_T10_S7_lS9_S7_lS8_T11_S7_li.has_indirect_call, 0
	.section	.AMDGPU.csdata,"",@progbits
; Kernel info:
; codeLenInByte = 1704
; TotalNumSgprs: 36
; NumVgprs: 54
; ScratchSize: 0
; MemoryBound: 0
; FloatMode: 240
; IeeeMode: 1
; LDSByteSize: 4096 bytes/workgroup (compile time only)
; SGPRBlocks: 0
; VGPRBlocks: 3
; NumSGPRsForWavesPerEU: 36
; NumVGPRsForWavesPerEU: 54
; NamedBarCnt: 0
; Occupancy: 16
; WaveLimiterHint : 1
; COMPUTE_PGM_RSRC2:SCRATCH_EN: 0
; COMPUTE_PGM_RSRC2:USER_SGPR: 2
; COMPUTE_PGM_RSRC2:TRAP_HANDLER: 0
; COMPUTE_PGM_RSRC2:TGID_X_EN: 1
; COMPUTE_PGM_RSRC2:TGID_Y_EN: 1
; COMPUTE_PGM_RSRC2:TGID_Z_EN: 1
; COMPUTE_PGM_RSRC2:TIDIG_COMP_CNT: 1
	.section	.text._ZL29rocblas_internal_gemmt_kernelIiLi16ELi32ELi8ELc67ELc67ELc76ELb0ELb0EdPKdPKS1_PKPdEviT_T9_T10_S7_lS9_S7_lS8_T11_S7_li,"axG",@progbits,_ZL29rocblas_internal_gemmt_kernelIiLi16ELi32ELi8ELc67ELc67ELc76ELb0ELb0EdPKdPKS1_PKPdEviT_T9_T10_S7_lS9_S7_lS8_T11_S7_li,comdat
	.globl	_ZL29rocblas_internal_gemmt_kernelIiLi16ELi32ELi8ELc67ELc67ELc76ELb0ELb0EdPKdPKS1_PKPdEviT_T9_T10_S7_lS9_S7_lS8_T11_S7_li ; -- Begin function _ZL29rocblas_internal_gemmt_kernelIiLi16ELi32ELi8ELc67ELc67ELc76ELb0ELb0EdPKdPKS1_PKPdEviT_T9_T10_S7_lS9_S7_lS8_T11_S7_li
	.p2align	8
	.type	_ZL29rocblas_internal_gemmt_kernelIiLi16ELi32ELi8ELc67ELc67ELc76ELb0ELb0EdPKdPKS1_PKPdEviT_T9_T10_S7_lS9_S7_lS8_T11_S7_li,@function
_ZL29rocblas_internal_gemmt_kernelIiLi16ELi32ELi8ELc67ELc67ELc76ELb0ELb0EdPKdPKS1_PKPdEviT_T9_T10_S7_lS9_S7_lS8_T11_S7_li: ; @_ZL29rocblas_internal_gemmt_kernelIiLi16ELi32ELi8ELc67ELc67ELc76ELb0ELb0EdPKdPKS1_PKPdEviT_T9_T10_S7_lS9_S7_lS8_T11_S7_li
; %bb.0:
	s_load_b128 s[12:15], s[0:1], 0x38
	s_wait_kmcnt 0x0
	s_load_b64 s[20:21], s[14:15], 0x0
	s_load_b128 s[4:7], s[0:1], 0x8
	s_wait_xcnt 0x0
	s_load_b64 s[14:15], s[0:1], 0x0
	s_wait_kmcnt 0x0
	s_load_b64 s[22:23], s[4:5], 0x0
	v_cmp_neq_f64_e64 s2, s[20:21], 1.0
	s_and_b32 vcc_lo, exec_lo, s2
	s_cbranch_vccnz .LBB341_2
; %bb.1:
	s_wait_kmcnt 0x0
	v_cmp_neq_f64_e64 s2, s[22:23], 0
	s_cmp_lg_u32 s15, 0
	s_cselect_b32 s3, -1, 0
	s_delay_alu instid0(SALU_CYCLE_1)
	s_and_b32 s2, s3, s2
.LBB341_2:
	s_delay_alu instid0(SALU_CYCLE_1)
	s_and_not1_b32 vcc_lo, exec_lo, s2
	s_cbranch_vccnz .LBB341_33
; %bb.3:
	s_load_b32 s19, s[0:1], 0x60
	s_bfe_u32 s2, ttmp6, 0x40014
	s_lshr_b32 s3, ttmp7, 16
	s_add_co_i32 s2, s2, 1
	s_wait_xcnt 0x0
	s_bfe_u32 s5, ttmp6, 0x40008
	s_mul_i32 s2, s3, s2
	s_getreg_b32 s4, hwreg(HW_REG_IB_STS2, 6, 4)
	s_add_co_i32 s5, s5, s2
	s_cmp_eq_u32 s4, 0
	s_mov_b32 s25, 0
	s_cselect_b32 s24, s3, s5
	s_wait_kmcnt 0x0
	s_cmp_ge_u32 s24, s19
	s_cbranch_scc1 .LBB341_33
; %bb.4:
	s_clause 0x3
	s_load_b32 s2, s[0:1], 0x18
	s_load_b32 s26, s[0:1], 0x30
	s_load_b96 s[16:18], s[0:1], 0x48
	s_load_b128 s[8:11], s[0:1], 0x20
	v_and_b32_e32 v2, 0x3ff, v0
	v_bfe_u32 v11, v0, 10, 10
	s_load_b64 s[28:29], s[0:1], 0x58
	s_wait_xcnt 0x0
	s_bfe_u32 s1, ttmp6, 0x4000c
	s_bfe_u32 s3, ttmp6, 0x40010
	s_and_b32 s30, ttmp7, 0xffff
	s_add_co_i32 s1, s1, 1
	s_add_co_i32 s3, s3, 1
	v_lshl_add_u32 v1, v11, 4, v2
	s_and_b32 s0, ttmp6, 15
	s_bfe_u32 s31, ttmp6, 0x40004
	s_mul_i32 s1, ttmp9, s1
	s_mul_i32 s33, s30, s3
	s_add_co_i32 s0, s0, s1
	s_add_co_i32 s31, s31, s33
	v_dual_lshrrev_b32 v34, 5, v1 :: v_dual_bitop2_b32 v6, 31, v1 bitop3:0x40
	s_wait_kmcnt 0x0
	s_ashr_i32 s3, s2, 31
	s_ashr_i32 s27, s26, 31
	;; [unrolled: 1-line block ×3, first 2 shown]
	s_cmp_eq_u32 s4, 0
	v_dual_mov_b32 v3, 0 :: v_dual_bitop2_b32 v0, 7, v0 bitop3:0x40
	s_cselect_b32 s0, ttmp9, s0
	s_cselect_b32 s1, s30, s31
	s_lshl_b32 s30, s0, 5
	s_delay_alu instid0(SALU_CYCLE_1) | instskip(SKIP_1) | instid1(SALU_CYCLE_1)
	v_dual_lshrrev_b32 v7, 3, v1 :: v_dual_bitop2_b32 v4, s30, v6 bitop3:0x54
	s_lshl_b32 s0, s1, 5
	v_dual_mov_b32 v1, v3 :: v_dual_add_nc_u32 v12, s0, v11
	s_delay_alu instid0(VALU_DEP_2) | instskip(SKIP_1) | instid1(VALU_DEP_3)
	v_dual_add_nc_u32 v14, s0, v7 :: v_dual_ashrrev_i32 v5, 31, v4
	v_cmp_gt_i32_e64 s0, s14, v4
	v_mul_u64_e32 v[18:19], s[26:27], v[0:1]
	s_delay_alu instid0(VALU_DEP_4) | instskip(SKIP_3) | instid1(VALU_DEP_4)
	v_add_nc_u32_e32 v20, 16, v12
	v_lshlrev_b32_e32 v1, 3, v0
	v_mul_u64_e32 v[16:17], s[2:3], v[4:5]
	v_dual_lshlrev_b32 v5, 3, v6 :: v_dual_ashrrev_i32 v13, 31, v12
	v_dual_ashrrev_i32 v21, 31, v20 :: v_dual_lshlrev_b32 v36, 3, v2
	v_add_nc_u32_e32 v4, s30, v2
	v_lshl_or_b32 v15, v7, 6, v1
	s_mov_b32 s4, s18
	v_cmp_neq_f64_e64 s31, s[22:23], 0
	v_cmp_neq_f64_e64 s18, s[20:21], 0
	v_mul_u64_e32 v[8:9], s[4:5], v[20:21]
	v_add_nc_u32_e32 v35, 0x800, v15
	v_ashrrev_i32_e32 v15, 31, v14
	v_mul_u64_e32 v[6:7], s[4:5], v[12:13]
	v_add_nc_u32_e32 v10, 16, v4
	v_cmp_le_i32_e32 vcc_lo, v12, v4
	v_cmp_gt_i32_e64 s2, s14, v4
	s_cmp_gt_i32 s15, 0
	v_lshl_or_b32 v1, v34, 8, v5
	s_cselect_b32 s33, -1, 0
	s_lshl_b64 s[8:9], s[8:9], 3
	v_cmp_gt_i32_e64 s1, s14, v14
	v_ashrrev_i32_e32 v5, 31, v4
	v_cmp_le_i32_e64 s3, v12, v10
	v_cmp_gt_i32_e64 s4, s14, v10
	s_and_b32 s14, vcc_lo, s2
	v_cmp_le_i32_e32 vcc_lo, v20, v4
	v_lshlrev_b32_e32 v2, 3, v34
	v_lshl_add_u32 v37, v11, 6, 0x800
	v_ashrrev_i32_e32 v11, 31, v10
	s_and_b32 s30, s3, s4
	v_lshl_add_u64 v[12:13], v[16:17], 3, s[8:9]
	s_lshl_b64 s[8:9], s[12:13], 3
	s_delay_alu instid0(SALU_CYCLE_1)
	v_lshl_add_u64 v[16:17], v[18:19], 3, s[8:9]
	s_and_b32 s8, vcc_lo, s2
	v_cmp_le_i32_e32 vcc_lo, v20, v10
	v_add_nc_u64_e32 v[12:13], v[12:13], v[2:3]
	s_lshl_b64 s[2:3], s[26:27], 6
	v_lshl_add_u64 v[14:15], v[14:15], 3, v[16:17]
	s_and_b32 s9, s31, s33
	s_and_b32 s12, vcc_lo, s4
	s_lshl_b64 s[4:5], s[28:29], 3
	s_branch .LBB341_6
.LBB341_5:                              ;   in Loop: Header=BB341_6 Depth=1
	s_wait_xcnt 0x0
	s_or_b32 exec_lo, exec_lo, s13
	s_add_co_i32 s24, s24, 0x10000
	s_delay_alu instid0(SALU_CYCLE_1)
	s_cmp_lt_u32 s24, s19
	s_cbranch_scc0 .LBB341_33
.LBB341_6:                              ; =>This Loop Header: Depth=1
                                        ;     Child Loop BB341_9 Depth 2
	v_mov_b32_e32 v2, s24
	v_mov_b64_e32 v[24:25], 0
	v_mov_b64_e32 v[20:21], 0
	;; [unrolled: 1-line block ×4, first 2 shown]
	global_load_b64 v[22:23], v2, s[16:17] scale_offset
	s_and_not1_b32 vcc_lo, exec_lo, s9
	s_cbranch_vccnz .LBB341_13
; %bb.7:                                ;   in Loop: Header=BB341_6 Depth=1
	s_lshl_b64 s[26:27], s[24:25], 3
	v_mov_b64_e32 v[16:17], 0
	s_add_nc_u64 s[28:29], s[6:7], s[26:27]
	s_add_nc_u64 s[26:27], s[10:11], s[26:27]
	s_clause 0x1
	global_load_b64 v[24:25], v3, s[28:29]
	global_load_b64 v[28:29], v3, s[26:27]
	v_mov_b64_e32 v[18:19], 0
	v_mov_b64_e32 v[20:21], 0
	s_mov_b32 s13, 0
	s_wait_loadcnt 0x1
	v_add_nc_u64_e32 v[26:27], v[24:25], v[12:13]
	s_wait_loadcnt 0x0
	v_add_nc_u64_e32 v[28:29], v[28:29], v[14:15]
	v_mov_b64_e32 v[24:25], 0
	s_branch .LBB341_9
.LBB341_8:                              ;   in Loop: Header=BB341_9 Depth=2
	s_wait_xcnt 0x0
	s_or_b32 exec_lo, exec_lo, s26
	s_wait_loadcnt_dscnt 0x0
	ds_store_b64 v35, v[32:33]
	s_wait_dscnt 0x0
	s_barrier_signal -1
	s_barrier_wait -1
	ds_load_b128 v[30:33], v37
	ds_load_2addr_b64 v[38:41], v36 offset1:16
	ds_load_b128 v[42:45], v37 offset:1024
	ds_load_b128 v[46:49], v37 offset:16
	ds_load_b128 v[50:53], v37 offset:1040
	v_add_nc_u64_e32 v[26:27], 64, v[26:27]
	v_add_nc_u64_e32 v[28:29], s[2:3], v[28:29]
	s_add_co_i32 s13, s13, 8
	s_delay_alu instid0(SALU_CYCLE_1)
	s_cmp_lt_i32 s13, s15
	s_wait_dscnt 0x3
	v_fmac_f64_e32 v[24:25], v[38:39], v[30:31]
	v_fmac_f64_e32 v[20:21], v[40:41], v[30:31]
	s_wait_dscnt 0x2
	v_fmac_f64_e32 v[18:19], v[38:39], v[42:43]
	v_fmac_f64_e32 v[16:17], v[40:41], v[42:43]
	ds_load_2addr_b64 v[38:41], v36 offset0:32 offset1:48
	s_wait_dscnt 0x0
	v_fmac_f64_e32 v[24:25], v[38:39], v[32:33]
	v_fmac_f64_e32 v[20:21], v[40:41], v[32:33]
	v_fmac_f64_e32 v[18:19], v[38:39], v[44:45]
	v_fmac_f64_e32 v[16:17], v[40:41], v[44:45]
	ds_load_2addr_b64 v[30:33], v36 offset0:64 offset1:80
	s_wait_dscnt 0x0
	v_fmac_f64_e32 v[24:25], v[30:31], v[46:47]
	v_fmac_f64_e32 v[20:21], v[32:33], v[46:47]
	;; [unrolled: 6-line block ×3, first 2 shown]
	v_fmac_f64_e32 v[18:19], v[30:31], v[52:53]
	v_fmac_f64_e32 v[16:17], v[32:33], v[52:53]
	ds_load_b128 v[30:33], v37 offset:32
	ds_load_2addr_b64 v[38:41], v36 offset0:128 offset1:144
	ds_load_b128 v[42:45], v37 offset:1056
	ds_load_b128 v[46:49], v37 offset:48
	;; [unrolled: 1-line block ×3, first 2 shown]
	s_wait_dscnt 0x3
	v_fmac_f64_e32 v[24:25], v[38:39], v[30:31]
	v_fmac_f64_e32 v[20:21], v[40:41], v[30:31]
	s_wait_dscnt 0x2
	v_fmac_f64_e32 v[18:19], v[38:39], v[42:43]
	v_fmac_f64_e32 v[16:17], v[40:41], v[42:43]
	ds_load_2addr_b64 v[38:41], v36 offset0:160 offset1:176
	s_wait_dscnt 0x0
	v_fmac_f64_e32 v[24:25], v[38:39], v[32:33]
	v_fmac_f64_e32 v[20:21], v[40:41], v[32:33]
	;; [unrolled: 1-line block ×4, first 2 shown]
	ds_load_2addr_b64 v[30:33], v36 offset0:192 offset1:208
	s_wait_dscnt 0x0
	v_fmac_f64_e32 v[24:25], v[30:31], v[46:47]
	v_fmac_f64_e32 v[20:21], v[32:33], v[46:47]
	v_fmac_f64_e32 v[18:19], v[30:31], v[50:51]
	v_fmac_f64_e32 v[16:17], v[32:33], v[50:51]
	ds_load_2addr_b64 v[30:33], v36 offset0:224 offset1:240
	s_wait_dscnt 0x0
	s_barrier_signal -1
	s_barrier_wait -1
	v_fmac_f64_e32 v[24:25], v[30:31], v[48:49]
	v_fmac_f64_e32 v[20:21], v[32:33], v[48:49]
	;; [unrolled: 1-line block ×4, first 2 shown]
	s_cbranch_scc0 .LBB341_13
.LBB341_9:                              ;   Parent Loop BB341_6 Depth=1
                                        ; =>  This Inner Loop Header: Depth=2
	s_wait_xcnt 0x2
	v_add_nc_u32_e32 v2, s13, v34
	v_mov_b64_e32 v[30:31], 0
	s_delay_alu instid0(VALU_DEP_2) | instskip(SKIP_2) | instid1(SALU_CYCLE_1)
	v_cmp_gt_i32_e32 vcc_lo, s15, v2
	s_wait_xcnt 0x0
	s_and_b32 s27, s0, vcc_lo
	s_and_saveexec_b32 s26, s27
	s_cbranch_execz .LBB341_11
; %bb.10:                               ;   in Loop: Header=BB341_9 Depth=2
	flat_load_b64 v[30:31], v[26:27]
.LBB341_11:                             ;   in Loop: Header=BB341_9 Depth=2
	s_wait_xcnt 0x0
	s_or_b32 exec_lo, exec_lo, s26
	v_add_nc_u32_e32 v2, s13, v0
	v_mov_b64_e32 v[32:33], 0
	s_wait_loadcnt_dscnt 0x0
	ds_store_b64 v1, v[30:31]
	v_cmp_gt_i32_e32 vcc_lo, s15, v2
	s_and_b32 s27, vcc_lo, s1
	s_delay_alu instid0(SALU_CYCLE_1)
	s_and_saveexec_b32 s26, s27
	s_cbranch_execz .LBB341_8
; %bb.12:                               ;   in Loop: Header=BB341_9 Depth=2
	flat_load_b64 v[32:33], v[28:29]
	s_branch .LBB341_8
.LBB341_13:                             ;   in Loop: Header=BB341_6 Depth=1
	s_wait_loadcnt 0x0
	v_add_nc_u64_e32 v[22:23], s[4:5], v[22:23]
	s_delay_alu instid0(VALU_DEP_1)
	v_lshl_add_u64 v[26:27], v[6:7], 3, v[22:23]
	s_wait_xcnt 0x0
	s_and_saveexec_b32 s13, s14
	s_cbranch_execz .LBB341_17
; %bb.14:                               ;   in Loop: Header=BB341_6 Depth=1
	v_mul_f64_e32 v[24:25], s[22:23], v[24:25]
	v_lshl_add_u64 v[28:29], v[4:5], 3, v[26:27]
	s_and_b32 vcc_lo, exec_lo, s18
	s_cbranch_vccz .LBB341_28
; %bb.15:                               ;   in Loop: Header=BB341_6 Depth=1
	flat_load_b64 v[30:31], v[28:29]
	s_wait_loadcnt_dscnt 0x0
	v_fma_f64 v[30:31], s[20:21], v[30:31], v[24:25]
	flat_store_b64 v[28:29], v[30:31]
	s_cbranch_execnz .LBB341_17
.LBB341_16:                             ;   in Loop: Header=BB341_6 Depth=1
	flat_store_b64 v[28:29], v[24:25]
.LBB341_17:                             ;   in Loop: Header=BB341_6 Depth=1
	s_wait_xcnt 0x0
	s_or_b32 exec_lo, exec_lo, s13
	s_and_saveexec_b32 s13, s30
	s_cbranch_execz .LBB341_21
; %bb.18:                               ;   in Loop: Header=BB341_6 Depth=1
	v_mul_f64_e32 v[20:21], s[22:23], v[20:21]
	v_lshl_add_u64 v[24:25], v[10:11], 3, v[26:27]
	s_and_not1_b32 vcc_lo, exec_lo, s18
	s_cbranch_vccnz .LBB341_29
; %bb.19:                               ;   in Loop: Header=BB341_6 Depth=1
	flat_load_b64 v[26:27], v[24:25]
	s_wait_loadcnt_dscnt 0x0
	v_fma_f64 v[26:27], s[20:21], v[26:27], v[20:21]
	flat_store_b64 v[24:25], v[26:27]
	s_cbranch_execnz .LBB341_21
.LBB341_20:                             ;   in Loop: Header=BB341_6 Depth=1
	flat_store_b64 v[24:25], v[20:21]
.LBB341_21:                             ;   in Loop: Header=BB341_6 Depth=1
	s_wait_xcnt 0x0
	s_or_b32 exec_lo, exec_lo, s13
	v_lshl_add_u64 v[20:21], v[8:9], 3, v[22:23]
	s_and_saveexec_b32 s13, s8
	s_cbranch_execz .LBB341_25
; %bb.22:                               ;   in Loop: Header=BB341_6 Depth=1
	v_mul_f64_e32 v[18:19], s[22:23], v[18:19]
	s_delay_alu instid0(VALU_DEP_2)
	v_lshl_add_u64 v[22:23], v[4:5], 3, v[20:21]
	s_and_not1_b32 vcc_lo, exec_lo, s18
	s_cbranch_vccnz .LBB341_30
; %bb.23:                               ;   in Loop: Header=BB341_6 Depth=1
	flat_load_b64 v[24:25], v[22:23]
	s_wait_loadcnt_dscnt 0x0
	v_fma_f64 v[24:25], s[20:21], v[24:25], v[18:19]
	flat_store_b64 v[22:23], v[24:25]
	s_cbranch_execnz .LBB341_25
.LBB341_24:                             ;   in Loop: Header=BB341_6 Depth=1
	flat_store_b64 v[22:23], v[18:19]
.LBB341_25:                             ;   in Loop: Header=BB341_6 Depth=1
	s_wait_xcnt 0x0
	s_or_b32 exec_lo, exec_lo, s13
	s_and_saveexec_b32 s13, s12
	s_cbranch_execz .LBB341_5
; %bb.26:                               ;   in Loop: Header=BB341_6 Depth=1
	s_delay_alu instid0(VALU_DEP_4)
	v_mul_f64_e32 v[16:17], s[22:23], v[16:17]
	v_lshl_add_u64 v[18:19], v[10:11], 3, v[20:21]
	s_and_not1_b32 vcc_lo, exec_lo, s18
	s_cbranch_vccnz .LBB341_31
; %bb.27:                               ;   in Loop: Header=BB341_6 Depth=1
	flat_load_b64 v[20:21], v[18:19]
	s_wait_loadcnt_dscnt 0x0
	v_fma_f64 v[20:21], s[20:21], v[20:21], v[16:17]
	flat_store_b64 v[18:19], v[20:21]
	s_cbranch_execnz .LBB341_5
	s_branch .LBB341_32
.LBB341_28:                             ;   in Loop: Header=BB341_6 Depth=1
	s_branch .LBB341_16
.LBB341_29:                             ;   in Loop: Header=BB341_6 Depth=1
	s_branch .LBB341_20
.LBB341_30:                             ;   in Loop: Header=BB341_6 Depth=1
	s_branch .LBB341_24
.LBB341_31:                             ;   in Loop: Header=BB341_6 Depth=1
.LBB341_32:                             ;   in Loop: Header=BB341_6 Depth=1
	flat_store_b64 v[18:19], v[16:17]
	s_branch .LBB341_5
.LBB341_33:
	s_endpgm
	.section	.rodata,"a",@progbits
	.p2align	6, 0x0
	.amdhsa_kernel _ZL29rocblas_internal_gemmt_kernelIiLi16ELi32ELi8ELc67ELc67ELc76ELb0ELb0EdPKdPKS1_PKPdEviT_T9_T10_S7_lS9_S7_lS8_T11_S7_li
		.amdhsa_group_segment_fixed_size 4096
		.amdhsa_private_segment_fixed_size 0
		.amdhsa_kernarg_size 100
		.amdhsa_user_sgpr_count 2
		.amdhsa_user_sgpr_dispatch_ptr 0
		.amdhsa_user_sgpr_queue_ptr 0
		.amdhsa_user_sgpr_kernarg_segment_ptr 1
		.amdhsa_user_sgpr_dispatch_id 0
		.amdhsa_user_sgpr_kernarg_preload_length 0
		.amdhsa_user_sgpr_kernarg_preload_offset 0
		.amdhsa_user_sgpr_private_segment_size 0
		.amdhsa_wavefront_size32 1
		.amdhsa_uses_dynamic_stack 0
		.amdhsa_enable_private_segment 0
		.amdhsa_system_sgpr_workgroup_id_x 1
		.amdhsa_system_sgpr_workgroup_id_y 1
		.amdhsa_system_sgpr_workgroup_id_z 1
		.amdhsa_system_sgpr_workgroup_info 0
		.amdhsa_system_vgpr_workitem_id 1
		.amdhsa_next_free_vgpr 54
		.amdhsa_next_free_sgpr 34
		.amdhsa_named_barrier_count 0
		.amdhsa_reserve_vcc 1
		.amdhsa_float_round_mode_32 0
		.amdhsa_float_round_mode_16_64 0
		.amdhsa_float_denorm_mode_32 3
		.amdhsa_float_denorm_mode_16_64 3
		.amdhsa_fp16_overflow 0
		.amdhsa_memory_ordered 1
		.amdhsa_forward_progress 1
		.amdhsa_inst_pref_size 14
		.amdhsa_round_robin_scheduling 0
		.amdhsa_exception_fp_ieee_invalid_op 0
		.amdhsa_exception_fp_denorm_src 0
		.amdhsa_exception_fp_ieee_div_zero 0
		.amdhsa_exception_fp_ieee_overflow 0
		.amdhsa_exception_fp_ieee_underflow 0
		.amdhsa_exception_fp_ieee_inexact 0
		.amdhsa_exception_int_div_zero 0
	.end_amdhsa_kernel
	.section	.text._ZL29rocblas_internal_gemmt_kernelIiLi16ELi32ELi8ELc67ELc67ELc76ELb0ELb0EdPKdPKS1_PKPdEviT_T9_T10_S7_lS9_S7_lS8_T11_S7_li,"axG",@progbits,_ZL29rocblas_internal_gemmt_kernelIiLi16ELi32ELi8ELc67ELc67ELc76ELb0ELb0EdPKdPKS1_PKPdEviT_T9_T10_S7_lS9_S7_lS8_T11_S7_li,comdat
.Lfunc_end341:
	.size	_ZL29rocblas_internal_gemmt_kernelIiLi16ELi32ELi8ELc67ELc67ELc76ELb0ELb0EdPKdPKS1_PKPdEviT_T9_T10_S7_lS9_S7_lS8_T11_S7_li, .Lfunc_end341-_ZL29rocblas_internal_gemmt_kernelIiLi16ELi32ELi8ELc67ELc67ELc76ELb0ELb0EdPKdPKS1_PKPdEviT_T9_T10_S7_lS9_S7_lS8_T11_S7_li
                                        ; -- End function
	.set _ZL29rocblas_internal_gemmt_kernelIiLi16ELi32ELi8ELc67ELc67ELc76ELb0ELb0EdPKdPKS1_PKPdEviT_T9_T10_S7_lS9_S7_lS8_T11_S7_li.num_vgpr, 54
	.set _ZL29rocblas_internal_gemmt_kernelIiLi16ELi32ELi8ELc67ELc67ELc76ELb0ELb0EdPKdPKS1_PKPdEviT_T9_T10_S7_lS9_S7_lS8_T11_S7_li.num_agpr, 0
	.set _ZL29rocblas_internal_gemmt_kernelIiLi16ELi32ELi8ELc67ELc67ELc76ELb0ELb0EdPKdPKS1_PKPdEviT_T9_T10_S7_lS9_S7_lS8_T11_S7_li.numbered_sgpr, 34
	.set _ZL29rocblas_internal_gemmt_kernelIiLi16ELi32ELi8ELc67ELc67ELc76ELb0ELb0EdPKdPKS1_PKPdEviT_T9_T10_S7_lS9_S7_lS8_T11_S7_li.num_named_barrier, 0
	.set _ZL29rocblas_internal_gemmt_kernelIiLi16ELi32ELi8ELc67ELc67ELc76ELb0ELb0EdPKdPKS1_PKPdEviT_T9_T10_S7_lS9_S7_lS8_T11_S7_li.private_seg_size, 0
	.set _ZL29rocblas_internal_gemmt_kernelIiLi16ELi32ELi8ELc67ELc67ELc76ELb0ELb0EdPKdPKS1_PKPdEviT_T9_T10_S7_lS9_S7_lS8_T11_S7_li.uses_vcc, 1
	.set _ZL29rocblas_internal_gemmt_kernelIiLi16ELi32ELi8ELc67ELc67ELc76ELb0ELb0EdPKdPKS1_PKPdEviT_T9_T10_S7_lS9_S7_lS8_T11_S7_li.uses_flat_scratch, 0
	.set _ZL29rocblas_internal_gemmt_kernelIiLi16ELi32ELi8ELc67ELc67ELc76ELb0ELb0EdPKdPKS1_PKPdEviT_T9_T10_S7_lS9_S7_lS8_T11_S7_li.has_dyn_sized_stack, 0
	.set _ZL29rocblas_internal_gemmt_kernelIiLi16ELi32ELi8ELc67ELc67ELc76ELb0ELb0EdPKdPKS1_PKPdEviT_T9_T10_S7_lS9_S7_lS8_T11_S7_li.has_recursion, 0
	.set _ZL29rocblas_internal_gemmt_kernelIiLi16ELi32ELi8ELc67ELc67ELc76ELb0ELb0EdPKdPKS1_PKPdEviT_T9_T10_S7_lS9_S7_lS8_T11_S7_li.has_indirect_call, 0
	.section	.AMDGPU.csdata,"",@progbits
; Kernel info:
; codeLenInByte = 1704
; TotalNumSgprs: 36
; NumVgprs: 54
; ScratchSize: 0
; MemoryBound: 0
; FloatMode: 240
; IeeeMode: 1
; LDSByteSize: 4096 bytes/workgroup (compile time only)
; SGPRBlocks: 0
; VGPRBlocks: 3
; NumSGPRsForWavesPerEU: 36
; NumVGPRsForWavesPerEU: 54
; NamedBarCnt: 0
; Occupancy: 16
; WaveLimiterHint : 1
; COMPUTE_PGM_RSRC2:SCRATCH_EN: 0
; COMPUTE_PGM_RSRC2:USER_SGPR: 2
; COMPUTE_PGM_RSRC2:TRAP_HANDLER: 0
; COMPUTE_PGM_RSRC2:TGID_X_EN: 1
; COMPUTE_PGM_RSRC2:TGID_Y_EN: 1
; COMPUTE_PGM_RSRC2:TGID_Z_EN: 1
; COMPUTE_PGM_RSRC2:TIDIG_COMP_CNT: 1
	.section	.text._ZL29rocblas_internal_gemmt_kernelIiLi16ELi32ELi8ELc78ELc78ELc85ELb0ELb0EddPKPKdPKPdEviT_T9_T10_S7_lS9_S7_lS8_T11_S7_li,"axG",@progbits,_ZL29rocblas_internal_gemmt_kernelIiLi16ELi32ELi8ELc78ELc78ELc85ELb0ELb0EddPKPKdPKPdEviT_T9_T10_S7_lS9_S7_lS8_T11_S7_li,comdat
	.globl	_ZL29rocblas_internal_gemmt_kernelIiLi16ELi32ELi8ELc78ELc78ELc85ELb0ELb0EddPKPKdPKPdEviT_T9_T10_S7_lS9_S7_lS8_T11_S7_li ; -- Begin function _ZL29rocblas_internal_gemmt_kernelIiLi16ELi32ELi8ELc78ELc78ELc85ELb0ELb0EddPKPKdPKPdEviT_T9_T10_S7_lS9_S7_lS8_T11_S7_li
	.p2align	8
	.type	_ZL29rocblas_internal_gemmt_kernelIiLi16ELi32ELi8ELc78ELc78ELc85ELb0ELb0EddPKPKdPKPdEviT_T9_T10_S7_lS9_S7_lS8_T11_S7_li,@function
_ZL29rocblas_internal_gemmt_kernelIiLi16ELi32ELi8ELc78ELc78ELc85ELb0ELb0EddPKPKdPKPdEviT_T9_T10_S7_lS9_S7_lS8_T11_S7_li: ; @_ZL29rocblas_internal_gemmt_kernelIiLi16ELi32ELi8ELc78ELc78ELc85ELb0ELb0EddPKPKdPKPdEviT_T9_T10_S7_lS9_S7_lS8_T11_S7_li
; %bb.0:
	s_clause 0x2
	s_load_b128 s[4:7], s[0:1], 0x38
	s_load_b64 s[20:21], s[0:1], 0x0
	s_load_b128 s[8:11], s[0:1], 0x8
	s_wait_kmcnt 0x0
	v_cmp_neq_f64_e64 s2, s[6:7], 1.0
	s_and_b32 vcc_lo, exec_lo, s2
	s_cbranch_vccnz .LBB342_2
; %bb.1:
	v_cmp_neq_f64_e64 s2, s[8:9], 0
	s_cmp_lg_u32 s21, 0
	s_cselect_b32 s3, -1, 0
	s_delay_alu instid0(SALU_CYCLE_1)
	s_and_b32 s2, s3, s2
.LBB342_2:
	s_delay_alu instid0(SALU_CYCLE_1)
	s_and_not1_b32 vcc_lo, exec_lo, s2
	s_cbranch_vccnz .LBB342_33
; %bb.3:
	s_load_b32 s19, s[0:1], 0x60
	s_bfe_u32 s2, ttmp6, 0x40014
	s_lshr_b32 s3, ttmp7, 16
	s_add_co_i32 s2, s2, 1
	s_bfe_u32 s12, ttmp6, 0x40008
	s_mul_i32 s2, s3, s2
	s_getreg_b32 s28, hwreg(HW_REG_IB_STS2, 6, 4)
	s_add_co_i32 s12, s12, s2
	s_cmp_eq_u32 s28, 0
	s_mov_b32 s23, 0
	s_cselect_b32 s22, s3, s12
	s_wait_kmcnt 0x0
	s_cmp_ge_u32 s22, s19
	s_cbranch_scc1 .LBB342_33
; %bb.4:
	s_clause 0x3
	s_load_b32 s24, s[0:1], 0x18
	s_load_b32 s2, s[0:1], 0x30
	s_load_b96 s[16:18], s[0:1], 0x48
	s_load_b128 s[12:15], s[0:1], 0x20
	v_and_b32_e32 v1, 0x3ff, v0
	v_bfe_u32 v9, v0, 10, 10
	s_load_b64 s[26:27], s[0:1], 0x58
	s_wait_xcnt 0x0
	s_bfe_u32 s1, ttmp6, 0x4000c
	s_bfe_u32 s3, ttmp6, 0x40010
	s_and_b32 s30, ttmp7, 0xffff
	s_add_co_i32 s1, s1, 1
	s_add_co_i32 s3, s3, 1
	v_lshl_add_u32 v3, v9, 4, v1
	s_and_b32 s0, ttmp6, 15
	s_bfe_u32 s31, ttmp6, 0x40004
	s_mul_i32 s1, ttmp9, s1
	s_mul_i32 s33, s30, s3
	s_add_co_i32 s0, s0, s1
	s_add_co_i32 s31, s31, s33
	v_dual_lshrrev_b32 v2, 5, v3 :: v_dual_lshrrev_b32 v8, 3, v3
	s_wait_kmcnt 0x0
	s_ashr_i32 s25, s24, 31
	s_ashr_i32 s3, s2, 31
	;; [unrolled: 1-line block ×3, first 2 shown]
	s_cmp_eq_u32 s28, 0
	v_and_b32_e32 v32, 7, v0
	s_cselect_b32 s1, s30, s31
	s_cselect_b32 s0, ttmp9, s0
	s_lshl_b32 s1, s1, 5
	s_delay_alu instid0(SALU_CYCLE_1) | instskip(SKIP_3) | instid1(VALU_DEP_2)
	v_dual_add_nc_u32 v10, s1, v8 :: v_dual_bitop2_b32 v0, 31, v3 bitop3:0x40
	v_mov_b32_e32 v3, 0
	s_mov_b32 s28, s18
	s_lshl_b32 s18, s0, 5
	v_dual_add_nc_u32 v16, s1, v9 :: v_dual_ashrrev_i32 v11, 31, v10
	v_or_b32_e32 v12, s18, v0
	v_mul_u64_e32 v[14:15], s[24:25], v[2:3]
	v_lshlrev_b32_e32 v0, 3, v0
	s_delay_alu instid0(VALU_DEP_4) | instskip(SKIP_2) | instid1(VALU_DEP_4)
	v_dual_add_nc_u32 v20, 16, v16 :: v_dual_ashrrev_i32 v17, 31, v16
	v_mul_u64_e32 v[18:19], s[2:3], v[10:11]
	v_cmp_neq_f64_e64 s30, s[8:9], 0
	v_lshl_or_b32 v33, v2, 8, v0
	s_delay_alu instid0(VALU_DEP_4) | instskip(SKIP_3) | instid1(VALU_DEP_4)
	v_dual_ashrrev_i32 v21, 31, v20 :: v_dual_add_nc_u32 v0, s18, v1
	v_cmp_neq_f64_e64 s18, s[6:7], 0
	v_mul_u64_e32 v[4:5], s[28:29], v[16:17]
	v_dual_lshlrev_b32 v22, 3, v32 :: v_dual_lshlrev_b32 v35, 3, v1
	v_mul_u64_e32 v[6:7], s[28:29], v[20:21]
	v_cmp_gt_i32_e32 vcc_lo, s20, v16
	v_cmp_le_i32_e64 s2, v0, v16
	s_delay_alu instid0(VALU_DEP_4)
	v_lshl_or_b32 v11, v8, 6, v22
	v_dual_add_nc_u32 v8, 16, v0 :: v_dual_ashrrev_i32 v1, 31, v0
	s_cmp_gt_i32 s21, 0
	v_cmp_gt_i32_e64 s1, s20, v10
	s_cselect_b32 s31, -1, 0
	v_cmp_le_i32_e64 s3, v8, v16
	s_lshl_b64 s[12:13], s[12:13], 3
	s_lshl_b64 s[4:5], s[4:5], 3
	v_dual_mov_b32 v23, v3 :: v_dual_add_nc_u32 v34, 0x800, v11
	s_and_b32 s28, vcc_lo, s2
	s_and_b32 s29, vcc_lo, s3
	v_cmp_gt_i32_e32 vcc_lo, s20, v20
	v_cmp_le_i32_e64 s2, v0, v20
	v_ashrrev_i32_e32 v13, 31, v12
	v_lshl_add_u64 v[10:11], v[14:15], 3, s[12:13]
	v_cmp_gt_i32_e64 s0, s20, v12
	v_lshl_add_u32 v36, v9, 6, 0x800
	s_and_b32 s12, vcc_lo, s2
	v_lshl_add_u64 v[14:15], v[18:19], 3, s[4:5]
	v_cmp_le_i32_e64 s2, v8, v20
	v_lshl_add_u64 v[10:11], v[12:13], 3, v[10:11]
	v_ashrrev_i32_e32 v9, 31, v8
	s_and_b32 s13, s30, s31
	v_add_nc_u64_e32 v[12:13], v[14:15], v[22:23]
	s_and_b32 s20, vcc_lo, s2
	s_lshl_b64 s[2:3], s[24:25], 6
	s_lshl_b64 s[4:5], s[26:27], 3
	s_branch .LBB342_6
.LBB342_5:                              ;   in Loop: Header=BB342_6 Depth=1
	s_wait_xcnt 0x0
	s_or_b32 exec_lo, exec_lo, s24
	s_add_co_i32 s22, s22, 0x10000
	s_delay_alu instid0(SALU_CYCLE_1)
	s_cmp_lt_u32 s22, s19
	s_cbranch_scc0 .LBB342_33
.LBB342_6:                              ; =>This Loop Header: Depth=1
                                        ;     Child Loop BB342_9 Depth 2
	v_mov_b32_e32 v14, s22
	v_mov_b64_e32 v[22:23], 0
	v_mov_b64_e32 v[18:19], 0
	;; [unrolled: 1-line block ×3, first 2 shown]
	s_and_not1_b32 vcc_lo, exec_lo, s13
	global_load_b64 v[20:21], v14, s[16:17] scale_offset
	s_wait_xcnt 0x0
	v_mov_b64_e32 v[14:15], 0
	s_cbranch_vccnz .LBB342_13
; %bb.7:                                ;   in Loop: Header=BB342_6 Depth=1
	s_lshl_b64 s[24:25], s[22:23], 3
	v_mov_b64_e32 v[14:15], 0
	s_add_nc_u64 s[26:27], s[10:11], s[24:25]
	s_add_nc_u64 s[24:25], s[14:15], s[24:25]
	s_clause 0x1
	global_load_b64 v[22:23], v3, s[26:27]
	global_load_b64 v[26:27], v3, s[24:25]
	v_mov_b64_e32 v[16:17], 0
	v_mov_b64_e32 v[18:19], 0
	s_wait_xcnt 0x0
	s_mov_b32 s24, 0
	s_wait_loadcnt 0x1
	v_add_nc_u64_e32 v[24:25], v[22:23], v[10:11]
	s_wait_loadcnt 0x0
	v_add_nc_u64_e32 v[26:27], v[26:27], v[12:13]
	v_mov_b64_e32 v[22:23], 0
	s_branch .LBB342_9
.LBB342_8:                              ;   in Loop: Header=BB342_9 Depth=2
	s_wait_xcnt 0x0
	s_or_b32 exec_lo, exec_lo, s25
	s_wait_loadcnt_dscnt 0x0
	ds_store_b64 v34, v[30:31]
	s_wait_dscnt 0x0
	s_barrier_signal -1
	s_barrier_wait -1
	ds_load_b128 v[28:31], v36
	ds_load_2addr_b64 v[38:41], v35 offset1:16
	ds_load_b128 v[42:45], v36 offset:1024
	ds_load_b128 v[46:49], v36 offset:16
	;; [unrolled: 1-line block ×3, first 2 shown]
	v_add_nc_u64_e32 v[24:25], s[2:3], v[24:25]
	v_add_nc_u64_e32 v[26:27], 64, v[26:27]
	s_add_co_i32 s24, s24, 8
	s_delay_alu instid0(SALU_CYCLE_1)
	s_cmp_lt_i32 s24, s21
	s_wait_dscnt 0x3
	v_fmac_f64_e32 v[22:23], v[38:39], v[28:29]
	v_fmac_f64_e32 v[18:19], v[40:41], v[28:29]
	s_wait_dscnt 0x2
	v_fmac_f64_e32 v[16:17], v[38:39], v[42:43]
	v_fmac_f64_e32 v[14:15], v[40:41], v[42:43]
	ds_load_2addr_b64 v[38:41], v35 offset0:32 offset1:48
	s_wait_dscnt 0x0
	v_fmac_f64_e32 v[22:23], v[38:39], v[30:31]
	v_fmac_f64_e32 v[18:19], v[40:41], v[30:31]
	v_fmac_f64_e32 v[16:17], v[38:39], v[44:45]
	v_fmac_f64_e32 v[14:15], v[40:41], v[44:45]
	ds_load_2addr_b64 v[28:31], v35 offset0:64 offset1:80
	s_wait_dscnt 0x0
	v_fmac_f64_e32 v[22:23], v[28:29], v[46:47]
	v_fmac_f64_e32 v[18:19], v[30:31], v[46:47]
	;; [unrolled: 6-line block ×3, first 2 shown]
	v_fmac_f64_e32 v[16:17], v[28:29], v[52:53]
	v_fmac_f64_e32 v[14:15], v[30:31], v[52:53]
	ds_load_b128 v[28:31], v36 offset:32
	ds_load_2addr_b64 v[38:41], v35 offset0:128 offset1:144
	ds_load_b128 v[42:45], v36 offset:1056
	ds_load_b128 v[46:49], v36 offset:48
	;; [unrolled: 1-line block ×3, first 2 shown]
	s_wait_dscnt 0x3
	v_fmac_f64_e32 v[22:23], v[38:39], v[28:29]
	v_fmac_f64_e32 v[18:19], v[40:41], v[28:29]
	s_wait_dscnt 0x2
	v_fmac_f64_e32 v[16:17], v[38:39], v[42:43]
	v_fmac_f64_e32 v[14:15], v[40:41], v[42:43]
	ds_load_2addr_b64 v[38:41], v35 offset0:160 offset1:176
	s_wait_dscnt 0x0
	v_fmac_f64_e32 v[22:23], v[38:39], v[30:31]
	v_fmac_f64_e32 v[18:19], v[40:41], v[30:31]
	;; [unrolled: 1-line block ×4, first 2 shown]
	ds_load_2addr_b64 v[28:31], v35 offset0:192 offset1:208
	s_wait_dscnt 0x0
	v_fmac_f64_e32 v[22:23], v[28:29], v[46:47]
	v_fmac_f64_e32 v[18:19], v[30:31], v[46:47]
	;; [unrolled: 1-line block ×4, first 2 shown]
	ds_load_2addr_b64 v[28:31], v35 offset0:224 offset1:240
	s_wait_dscnt 0x0
	s_barrier_signal -1
	s_barrier_wait -1
	v_fmac_f64_e32 v[22:23], v[28:29], v[48:49]
	v_fmac_f64_e32 v[18:19], v[30:31], v[48:49]
	;; [unrolled: 1-line block ×4, first 2 shown]
	s_cbranch_scc0 .LBB342_13
.LBB342_9:                              ;   Parent Loop BB342_6 Depth=1
                                        ; =>  This Inner Loop Header: Depth=2
	v_add_nc_u32_e32 v28, s24, v2
	s_delay_alu instid0(VALU_DEP_1) | instskip(SKIP_2) | instid1(SALU_CYCLE_1)
	v_cmp_gt_i32_e32 vcc_lo, s21, v28
	v_mov_b64_e32 v[28:29], 0
	s_and_b32 s26, s0, vcc_lo
	s_and_saveexec_b32 s25, s26
	s_cbranch_execz .LBB342_11
; %bb.10:                               ;   in Loop: Header=BB342_9 Depth=2
	flat_load_b64 v[28:29], v[24:25]
.LBB342_11:                             ;   in Loop: Header=BB342_9 Depth=2
	s_wait_xcnt 0x0
	s_or_b32 exec_lo, exec_lo, s25
	v_add_nc_u32_e32 v30, s24, v32
	s_wait_loadcnt_dscnt 0x0
	ds_store_b64 v33, v[28:29]
	v_cmp_gt_i32_e32 vcc_lo, s21, v30
	v_mov_b64_e32 v[30:31], 0
	s_and_b32 s26, vcc_lo, s1
	s_delay_alu instid0(SALU_CYCLE_1)
	s_and_saveexec_b32 s25, s26
	s_cbranch_execz .LBB342_8
; %bb.12:                               ;   in Loop: Header=BB342_9 Depth=2
	flat_load_b64 v[30:31], v[26:27]
	s_branch .LBB342_8
.LBB342_13:                             ;   in Loop: Header=BB342_6 Depth=1
	s_wait_loadcnt 0x0
	v_add_nc_u64_e32 v[20:21], s[4:5], v[20:21]
	s_delay_alu instid0(VALU_DEP_1)
	v_lshl_add_u64 v[24:25], v[4:5], 3, v[20:21]
	s_and_saveexec_b32 s24, s28
	s_cbranch_execz .LBB342_17
; %bb.14:                               ;   in Loop: Header=BB342_6 Depth=1
	v_mul_f64_e32 v[22:23], s[8:9], v[22:23]
	s_delay_alu instid0(VALU_DEP_2)
	v_lshl_add_u64 v[26:27], v[0:1], 3, v[24:25]
	s_and_b32 vcc_lo, exec_lo, s18
	s_cbranch_vccz .LBB342_28
; %bb.15:                               ;   in Loop: Header=BB342_6 Depth=1
	flat_load_b64 v[28:29], v[26:27]
	s_wait_loadcnt_dscnt 0x0
	v_fma_f64 v[28:29], s[6:7], v[28:29], v[22:23]
	flat_store_b64 v[26:27], v[28:29]
	s_cbranch_execnz .LBB342_17
.LBB342_16:                             ;   in Loop: Header=BB342_6 Depth=1
	flat_store_b64 v[26:27], v[22:23]
.LBB342_17:                             ;   in Loop: Header=BB342_6 Depth=1
	s_wait_xcnt 0x0
	s_or_b32 exec_lo, exec_lo, s24
	s_and_saveexec_b32 s24, s29
	s_cbranch_execz .LBB342_21
; %bb.18:                               ;   in Loop: Header=BB342_6 Depth=1
	v_mul_f64_e32 v[18:19], s[8:9], v[18:19]
	v_lshl_add_u64 v[22:23], v[8:9], 3, v[24:25]
	s_and_not1_b32 vcc_lo, exec_lo, s18
	s_cbranch_vccnz .LBB342_29
; %bb.19:                               ;   in Loop: Header=BB342_6 Depth=1
	flat_load_b64 v[24:25], v[22:23]
	s_wait_loadcnt_dscnt 0x0
	v_fma_f64 v[24:25], s[6:7], v[24:25], v[18:19]
	flat_store_b64 v[22:23], v[24:25]
	s_cbranch_execnz .LBB342_21
.LBB342_20:                             ;   in Loop: Header=BB342_6 Depth=1
	flat_store_b64 v[22:23], v[18:19]
.LBB342_21:                             ;   in Loop: Header=BB342_6 Depth=1
	s_wait_xcnt 0x0
	s_or_b32 exec_lo, exec_lo, s24
	v_lshl_add_u64 v[18:19], v[6:7], 3, v[20:21]
	s_and_saveexec_b32 s24, s12
	s_cbranch_execz .LBB342_25
; %bb.22:                               ;   in Loop: Header=BB342_6 Depth=1
	v_mul_f64_e32 v[16:17], s[8:9], v[16:17]
	s_delay_alu instid0(VALU_DEP_2)
	v_lshl_add_u64 v[20:21], v[0:1], 3, v[18:19]
	s_and_not1_b32 vcc_lo, exec_lo, s18
	s_cbranch_vccnz .LBB342_30
; %bb.23:                               ;   in Loop: Header=BB342_6 Depth=1
	flat_load_b64 v[22:23], v[20:21]
	s_wait_loadcnt_dscnt 0x0
	v_fma_f64 v[22:23], s[6:7], v[22:23], v[16:17]
	flat_store_b64 v[20:21], v[22:23]
	s_cbranch_execnz .LBB342_25
.LBB342_24:                             ;   in Loop: Header=BB342_6 Depth=1
	flat_store_b64 v[20:21], v[16:17]
.LBB342_25:                             ;   in Loop: Header=BB342_6 Depth=1
	s_wait_xcnt 0x0
	s_or_b32 exec_lo, exec_lo, s24
	s_and_saveexec_b32 s24, s20
	s_cbranch_execz .LBB342_5
; %bb.26:                               ;   in Loop: Header=BB342_6 Depth=1
	s_delay_alu instid0(VALU_DEP_4)
	v_mul_f64_e32 v[14:15], s[8:9], v[14:15]
	v_lshl_add_u64 v[16:17], v[8:9], 3, v[18:19]
	s_and_not1_b32 vcc_lo, exec_lo, s18
	s_cbranch_vccnz .LBB342_31
; %bb.27:                               ;   in Loop: Header=BB342_6 Depth=1
	flat_load_b64 v[18:19], v[16:17]
	s_wait_loadcnt_dscnt 0x0
	v_fma_f64 v[18:19], s[6:7], v[18:19], v[14:15]
	flat_store_b64 v[16:17], v[18:19]
	s_cbranch_execnz .LBB342_5
	s_branch .LBB342_32
.LBB342_28:                             ;   in Loop: Header=BB342_6 Depth=1
	s_branch .LBB342_16
.LBB342_29:                             ;   in Loop: Header=BB342_6 Depth=1
	s_branch .LBB342_20
.LBB342_30:                             ;   in Loop: Header=BB342_6 Depth=1
	s_branch .LBB342_24
.LBB342_31:                             ;   in Loop: Header=BB342_6 Depth=1
.LBB342_32:                             ;   in Loop: Header=BB342_6 Depth=1
	flat_store_b64 v[16:17], v[14:15]
	s_branch .LBB342_5
.LBB342_33:
	s_endpgm
	.section	.rodata,"a",@progbits
	.p2align	6, 0x0
	.amdhsa_kernel _ZL29rocblas_internal_gemmt_kernelIiLi16ELi32ELi8ELc78ELc78ELc85ELb0ELb0EddPKPKdPKPdEviT_T9_T10_S7_lS9_S7_lS8_T11_S7_li
		.amdhsa_group_segment_fixed_size 4096
		.amdhsa_private_segment_fixed_size 0
		.amdhsa_kernarg_size 100
		.amdhsa_user_sgpr_count 2
		.amdhsa_user_sgpr_dispatch_ptr 0
		.amdhsa_user_sgpr_queue_ptr 0
		.amdhsa_user_sgpr_kernarg_segment_ptr 1
		.amdhsa_user_sgpr_dispatch_id 0
		.amdhsa_user_sgpr_kernarg_preload_length 0
		.amdhsa_user_sgpr_kernarg_preload_offset 0
		.amdhsa_user_sgpr_private_segment_size 0
		.amdhsa_wavefront_size32 1
		.amdhsa_uses_dynamic_stack 0
		.amdhsa_enable_private_segment 0
		.amdhsa_system_sgpr_workgroup_id_x 1
		.amdhsa_system_sgpr_workgroup_id_y 1
		.amdhsa_system_sgpr_workgroup_id_z 1
		.amdhsa_system_sgpr_workgroup_info 0
		.amdhsa_system_vgpr_workitem_id 1
		.amdhsa_next_free_vgpr 54
		.amdhsa_next_free_sgpr 34
		.amdhsa_named_barrier_count 0
		.amdhsa_reserve_vcc 1
		.amdhsa_float_round_mode_32 0
		.amdhsa_float_round_mode_16_64 0
		.amdhsa_float_denorm_mode_32 3
		.amdhsa_float_denorm_mode_16_64 3
		.amdhsa_fp16_overflow 0
		.amdhsa_memory_ordered 1
		.amdhsa_forward_progress 1
		.amdhsa_inst_pref_size 14
		.amdhsa_round_robin_scheduling 0
		.amdhsa_exception_fp_ieee_invalid_op 0
		.amdhsa_exception_fp_denorm_src 0
		.amdhsa_exception_fp_ieee_div_zero 0
		.amdhsa_exception_fp_ieee_overflow 0
		.amdhsa_exception_fp_ieee_underflow 0
		.amdhsa_exception_fp_ieee_inexact 0
		.amdhsa_exception_int_div_zero 0
	.end_amdhsa_kernel
	.section	.text._ZL29rocblas_internal_gemmt_kernelIiLi16ELi32ELi8ELc78ELc78ELc85ELb0ELb0EddPKPKdPKPdEviT_T9_T10_S7_lS9_S7_lS8_T11_S7_li,"axG",@progbits,_ZL29rocblas_internal_gemmt_kernelIiLi16ELi32ELi8ELc78ELc78ELc85ELb0ELb0EddPKPKdPKPdEviT_T9_T10_S7_lS9_S7_lS8_T11_S7_li,comdat
.Lfunc_end342:
	.size	_ZL29rocblas_internal_gemmt_kernelIiLi16ELi32ELi8ELc78ELc78ELc85ELb0ELb0EddPKPKdPKPdEviT_T9_T10_S7_lS9_S7_lS8_T11_S7_li, .Lfunc_end342-_ZL29rocblas_internal_gemmt_kernelIiLi16ELi32ELi8ELc78ELc78ELc85ELb0ELb0EddPKPKdPKPdEviT_T9_T10_S7_lS9_S7_lS8_T11_S7_li
                                        ; -- End function
	.set _ZL29rocblas_internal_gemmt_kernelIiLi16ELi32ELi8ELc78ELc78ELc85ELb0ELb0EddPKPKdPKPdEviT_T9_T10_S7_lS9_S7_lS8_T11_S7_li.num_vgpr, 54
	.set _ZL29rocblas_internal_gemmt_kernelIiLi16ELi32ELi8ELc78ELc78ELc85ELb0ELb0EddPKPKdPKPdEviT_T9_T10_S7_lS9_S7_lS8_T11_S7_li.num_agpr, 0
	.set _ZL29rocblas_internal_gemmt_kernelIiLi16ELi32ELi8ELc78ELc78ELc85ELb0ELb0EddPKPKdPKPdEviT_T9_T10_S7_lS9_S7_lS8_T11_S7_li.numbered_sgpr, 34
	.set _ZL29rocblas_internal_gemmt_kernelIiLi16ELi32ELi8ELc78ELc78ELc85ELb0ELb0EddPKPKdPKPdEviT_T9_T10_S7_lS9_S7_lS8_T11_S7_li.num_named_barrier, 0
	.set _ZL29rocblas_internal_gemmt_kernelIiLi16ELi32ELi8ELc78ELc78ELc85ELb0ELb0EddPKPKdPKPdEviT_T9_T10_S7_lS9_S7_lS8_T11_S7_li.private_seg_size, 0
	.set _ZL29rocblas_internal_gemmt_kernelIiLi16ELi32ELi8ELc78ELc78ELc85ELb0ELb0EddPKPKdPKPdEviT_T9_T10_S7_lS9_S7_lS8_T11_S7_li.uses_vcc, 1
	.set _ZL29rocblas_internal_gemmt_kernelIiLi16ELi32ELi8ELc78ELc78ELc85ELb0ELb0EddPKPKdPKPdEviT_T9_T10_S7_lS9_S7_lS8_T11_S7_li.uses_flat_scratch, 0
	.set _ZL29rocblas_internal_gemmt_kernelIiLi16ELi32ELi8ELc78ELc78ELc85ELb0ELb0EddPKPKdPKPdEviT_T9_T10_S7_lS9_S7_lS8_T11_S7_li.has_dyn_sized_stack, 0
	.set _ZL29rocblas_internal_gemmt_kernelIiLi16ELi32ELi8ELc78ELc78ELc85ELb0ELb0EddPKPKdPKPdEviT_T9_T10_S7_lS9_S7_lS8_T11_S7_li.has_recursion, 0
	.set _ZL29rocblas_internal_gemmt_kernelIiLi16ELi32ELi8ELc78ELc78ELc85ELb0ELb0EddPKPKdPKPdEviT_T9_T10_S7_lS9_S7_lS8_T11_S7_li.has_indirect_call, 0
	.section	.AMDGPU.csdata,"",@progbits
; Kernel info:
; codeLenInByte = 1680
; TotalNumSgprs: 36
; NumVgprs: 54
; ScratchSize: 0
; MemoryBound: 0
; FloatMode: 240
; IeeeMode: 1
; LDSByteSize: 4096 bytes/workgroup (compile time only)
; SGPRBlocks: 0
; VGPRBlocks: 3
; NumSGPRsForWavesPerEU: 36
; NumVGPRsForWavesPerEU: 54
; NamedBarCnt: 0
; Occupancy: 16
; WaveLimiterHint : 1
; COMPUTE_PGM_RSRC2:SCRATCH_EN: 0
; COMPUTE_PGM_RSRC2:USER_SGPR: 2
; COMPUTE_PGM_RSRC2:TRAP_HANDLER: 0
; COMPUTE_PGM_RSRC2:TGID_X_EN: 1
; COMPUTE_PGM_RSRC2:TGID_Y_EN: 1
; COMPUTE_PGM_RSRC2:TGID_Z_EN: 1
; COMPUTE_PGM_RSRC2:TIDIG_COMP_CNT: 1
	.section	.text._ZL29rocblas_internal_gemmt_kernelIiLi16ELi32ELi8ELc78ELc84ELc85ELb0ELb0EddPKPKdPKPdEviT_T9_T10_S7_lS9_S7_lS8_T11_S7_li,"axG",@progbits,_ZL29rocblas_internal_gemmt_kernelIiLi16ELi32ELi8ELc78ELc84ELc85ELb0ELb0EddPKPKdPKPdEviT_T9_T10_S7_lS9_S7_lS8_T11_S7_li,comdat
	.globl	_ZL29rocblas_internal_gemmt_kernelIiLi16ELi32ELi8ELc78ELc84ELc85ELb0ELb0EddPKPKdPKPdEviT_T9_T10_S7_lS9_S7_lS8_T11_S7_li ; -- Begin function _ZL29rocblas_internal_gemmt_kernelIiLi16ELi32ELi8ELc78ELc84ELc85ELb0ELb0EddPKPKdPKPdEviT_T9_T10_S7_lS9_S7_lS8_T11_S7_li
	.p2align	8
	.type	_ZL29rocblas_internal_gemmt_kernelIiLi16ELi32ELi8ELc78ELc84ELc85ELb0ELb0EddPKPKdPKPdEviT_T9_T10_S7_lS9_S7_lS8_T11_S7_li,@function
_ZL29rocblas_internal_gemmt_kernelIiLi16ELi32ELi8ELc78ELc84ELc85ELb0ELb0EddPKPKdPKPdEviT_T9_T10_S7_lS9_S7_lS8_T11_S7_li: ; @_ZL29rocblas_internal_gemmt_kernelIiLi16ELi32ELi8ELc78ELc84ELc85ELb0ELb0EddPKPKdPKPdEviT_T9_T10_S7_lS9_S7_lS8_T11_S7_li
; %bb.0:
	s_clause 0x2
	s_load_b128 s[4:7], s[0:1], 0x38
	s_load_b64 s[20:21], s[0:1], 0x0
	s_load_b128 s[8:11], s[0:1], 0x8
	s_wait_kmcnt 0x0
	v_cmp_neq_f64_e64 s2, s[6:7], 1.0
	s_and_b32 vcc_lo, exec_lo, s2
	s_cbranch_vccnz .LBB343_2
; %bb.1:
	v_cmp_neq_f64_e64 s2, s[8:9], 0
	s_cmp_lg_u32 s21, 0
	s_cselect_b32 s3, -1, 0
	s_delay_alu instid0(SALU_CYCLE_1)
	s_and_b32 s2, s3, s2
.LBB343_2:
	s_delay_alu instid0(SALU_CYCLE_1)
	s_and_not1_b32 vcc_lo, exec_lo, s2
	s_cbranch_vccnz .LBB343_33
; %bb.3:
	s_load_b32 s19, s[0:1], 0x60
	s_bfe_u32 s2, ttmp6, 0x40014
	s_lshr_b32 s3, ttmp7, 16
	s_add_co_i32 s2, s2, 1
	s_bfe_u32 s13, ttmp6, 0x40008
	s_mul_i32 s12, s3, s2
	s_getreg_b32 s2, hwreg(HW_REG_IB_STS2, 6, 4)
	s_add_co_i32 s13, s13, s12
	s_cmp_eq_u32 s2, 0
	s_mov_b32 s23, 0
	s_cselect_b32 s22, s3, s13
	s_wait_kmcnt 0x0
	s_cmp_ge_u32 s22, s19
	s_cbranch_scc1 .LBB343_33
; %bb.4:
	s_clause 0x4
	s_load_b32 s24, s[0:1], 0x18
	s_load_b32 s26, s[0:1], 0x30
	s_load_b96 s[16:18], s[0:1], 0x48
	s_load_b128 s[12:15], s[0:1], 0x20
	s_load_b64 s[28:29], s[0:1], 0x58
	s_wait_xcnt 0x0
	s_bfe_u32 s1, ttmp6, 0x4000c
	s_bfe_u32 s25, ttmp6, 0x40010
	v_and_b32_e32 v5, 0x3ff, v0
	v_bfe_u32 v11, v0, 10, 10
	s_and_b32 s3, ttmp7, 0xffff
	s_add_co_i32 s1, s1, 1
	s_add_co_i32 s33, s25, 1
	s_and_b32 s0, ttmp6, 15
	s_mul_i32 s1, ttmp9, s1
	v_lshl_add_u32 v1, v11, 4, v5
	s_add_co_i32 s0, s0, s1
	v_and_b32_e32 v0, 7, v0
	v_cmp_neq_f64_e64 s34, s[8:9], 0
	v_lshl_add_u32 v36, v11, 6, 0x800
	v_dual_lshrrev_b32 v4, 3, v1 :: v_dual_bitop2_b32 v6, 31, v1 bitop3:0x40
	s_wait_kmcnt 0x0
	s_ashr_i32 s25, s24, 31
	s_ashr_i32 s31, s18, 31
	s_mov_b32 s30, s18
	s_mul_i32 s18, s3, s33
	s_bfe_u32 s33, ttmp6, 0x40004
	s_ashr_i32 s27, s26, 31
	s_add_co_i32 s33, s33, s18
	s_cmp_eq_u32 s2, 0
	v_lshrrev_b32_e32 v2, 5, v1
	s_cselect_b32 s0, ttmp9, s0
	s_cselect_b32 s1, s3, s33
	s_lshl_b32 s2, s0, 5
	s_delay_alu instid0(SALU_CYCLE_1) | instskip(SKIP_1) | instid1(SALU_CYCLE_1)
	v_dual_mov_b32 v3, 0 :: v_dual_bitop2_b32 v12, s2, v6 bitop3:0x54
	s_lshl_b32 s0, s1, 5
	v_dual_lshlrev_b32 v6, 3, v6 :: v_dual_add_nc_u32 v16, s0, v11
	s_delay_alu instid0(VALU_DEP_2) | instskip(SKIP_2) | instid1(VALU_DEP_4)
	v_dual_mov_b32 v1, v3 :: v_dual_add_nc_u32 v14, s0, v4
	v_mul_u64_e32 v[18:19], s[24:25], v[2:3]
	v_cmp_neq_f64_e64 s18, s[6:7], 0
	v_dual_add_nc_u32 v22, 16, v16 :: v_dual_ashrrev_i32 v17, 31, v16
	s_delay_alu instid0(VALU_DEP_4) | instskip(SKIP_2) | instid1(VALU_DEP_4)
	v_mul_u64_e32 v[20:21], s[26:27], v[0:1]
	v_lshlrev_b32_e32 v7, 3, v0
	v_lshl_or_b32 v1, v2, 8, v6
	v_ashrrev_i32_e32 v23, 31, v22
	v_ashrrev_i32_e32 v15, 31, v14
	s_cmp_gt_i32 s21, 0
	v_lshl_or_b32 v13, v4, 6, v7
	v_mul_u64_e32 v[6:7], s[30:31], v[16:17]
	v_mul_u64_e32 v[8:9], s[30:31], v[22:23]
	v_add_nc_u32_e32 v4, s2, v5
	s_cselect_b32 s35, -1, 0
	v_cmp_gt_i32_e32 vcc_lo, s20, v16
	v_lshlrev_b32_e32 v35, 3, v5
	s_lshl_b64 s[12:13], s[12:13], 3
	v_add_nc_u32_e32 v10, 16, v4
	v_cmp_le_i32_e64 s2, v4, v16
	s_lshl_b64 s[4:5], s[4:5], 3
	v_add_nc_u32_e32 v34, 0x800, v13
	v_ashrrev_i32_e32 v13, 31, v12
	v_cmp_le_i32_e64 s3, v10, v16
	s_and_b32 s30, vcc_lo, s2
	v_cmp_le_i32_e64 s2, v4, v22
	v_cmp_gt_i32_e64 s0, s20, v12
	v_cmp_gt_i32_e64 s1, s20, v14
	s_and_b32 s31, vcc_lo, s3
	v_cmp_gt_i32_e32 vcc_lo, s20, v22
	v_cmp_le_i32_e64 s3, v10, v22
	v_dual_ashrrev_i32 v5, 31, v4 :: v_dual_ashrrev_i32 v11, 31, v10
	v_lshl_add_u64 v[16:17], v[18:19], 3, s[12:13]
	s_and_b32 s20, vcc_lo, s2
	s_and_b32 s33, vcc_lo, s3
	v_lshl_add_u64 v[18:19], v[20:21], 3, s[4:5]
	s_and_b32 s34, s34, s35
	v_lshl_add_u64 v[12:13], v[12:13], 3, v[16:17]
	s_lshl_b64 s[2:3], s[24:25], 6
	s_lshl_b64 s[4:5], s[26:27], 6
	v_lshl_add_u64 v[14:15], v[14:15], 3, v[18:19]
	s_lshl_b64 s[12:13], s[28:29], 3
	s_branch .LBB343_6
.LBB343_5:                              ;   in Loop: Header=BB343_6 Depth=1
	s_wait_xcnt 0x0
	s_or_b32 exec_lo, exec_lo, s24
	s_add_co_i32 s22, s22, 0x10000
	s_delay_alu instid0(SALU_CYCLE_1)
	s_cmp_lt_u32 s22, s19
	s_cbranch_scc0 .LBB343_33
.LBB343_6:                              ; =>This Loop Header: Depth=1
                                        ;     Child Loop BB343_9 Depth 2
	v_mov_b32_e32 v16, s22
	v_mov_b64_e32 v[24:25], 0
	v_mov_b64_e32 v[20:21], 0
	;; [unrolled: 1-line block ×3, first 2 shown]
	s_and_not1_b32 vcc_lo, exec_lo, s34
	global_load_b64 v[22:23], v16, s[16:17] scale_offset
	s_wait_xcnt 0x0
	v_mov_b64_e32 v[16:17], 0
	s_cbranch_vccnz .LBB343_13
; %bb.7:                                ;   in Loop: Header=BB343_6 Depth=1
	s_lshl_b64 s[24:25], s[22:23], 3
	v_mov_b64_e32 v[16:17], 0
	s_add_nc_u64 s[26:27], s[10:11], s[24:25]
	s_add_nc_u64 s[24:25], s[14:15], s[24:25]
	s_clause 0x1
	global_load_b64 v[24:25], v3, s[26:27]
	global_load_b64 v[28:29], v3, s[24:25]
	v_mov_b64_e32 v[18:19], 0
	v_mov_b64_e32 v[20:21], 0
	s_wait_xcnt 0x0
	s_mov_b32 s24, 0
	s_wait_loadcnt 0x1
	v_add_nc_u64_e32 v[26:27], v[24:25], v[12:13]
	s_wait_loadcnt 0x0
	v_add_nc_u64_e32 v[28:29], v[28:29], v[14:15]
	v_mov_b64_e32 v[24:25], 0
	s_branch .LBB343_9
.LBB343_8:                              ;   in Loop: Header=BB343_9 Depth=2
	s_wait_xcnt 0x0
	s_or_b32 exec_lo, exec_lo, s25
	s_wait_loadcnt_dscnt 0x0
	ds_store_b64 v34, v[32:33]
	s_wait_dscnt 0x0
	s_barrier_signal -1
	s_barrier_wait -1
	ds_load_b128 v[30:33], v36
	ds_load_2addr_b64 v[38:41], v35 offset1:16
	ds_load_b128 v[42:45], v36 offset:1024
	ds_load_b128 v[46:49], v36 offset:16
	;; [unrolled: 1-line block ×3, first 2 shown]
	v_add_nc_u64_e32 v[26:27], s[2:3], v[26:27]
	v_add_nc_u64_e32 v[28:29], s[4:5], v[28:29]
	s_add_co_i32 s24, s24, 8
	s_delay_alu instid0(SALU_CYCLE_1)
	s_cmp_lt_i32 s24, s21
	s_wait_dscnt 0x3
	v_fmac_f64_e32 v[24:25], v[38:39], v[30:31]
	v_fmac_f64_e32 v[20:21], v[40:41], v[30:31]
	s_wait_dscnt 0x2
	v_fmac_f64_e32 v[18:19], v[38:39], v[42:43]
	v_fmac_f64_e32 v[16:17], v[40:41], v[42:43]
	ds_load_2addr_b64 v[38:41], v35 offset0:32 offset1:48
	s_wait_dscnt 0x0
	v_fmac_f64_e32 v[24:25], v[38:39], v[32:33]
	v_fmac_f64_e32 v[20:21], v[40:41], v[32:33]
	v_fmac_f64_e32 v[18:19], v[38:39], v[44:45]
	v_fmac_f64_e32 v[16:17], v[40:41], v[44:45]
	ds_load_2addr_b64 v[30:33], v35 offset0:64 offset1:80
	s_wait_dscnt 0x0
	v_fmac_f64_e32 v[24:25], v[30:31], v[46:47]
	v_fmac_f64_e32 v[20:21], v[32:33], v[46:47]
	;; [unrolled: 6-line block ×3, first 2 shown]
	v_fmac_f64_e32 v[18:19], v[30:31], v[52:53]
	v_fmac_f64_e32 v[16:17], v[32:33], v[52:53]
	ds_load_b128 v[30:33], v36 offset:32
	ds_load_2addr_b64 v[38:41], v35 offset0:128 offset1:144
	ds_load_b128 v[42:45], v36 offset:1056
	ds_load_b128 v[46:49], v36 offset:48
	;; [unrolled: 1-line block ×3, first 2 shown]
	s_wait_dscnt 0x3
	v_fmac_f64_e32 v[24:25], v[38:39], v[30:31]
	v_fmac_f64_e32 v[20:21], v[40:41], v[30:31]
	s_wait_dscnt 0x2
	v_fmac_f64_e32 v[18:19], v[38:39], v[42:43]
	v_fmac_f64_e32 v[16:17], v[40:41], v[42:43]
	ds_load_2addr_b64 v[38:41], v35 offset0:160 offset1:176
	s_wait_dscnt 0x0
	v_fmac_f64_e32 v[24:25], v[38:39], v[32:33]
	v_fmac_f64_e32 v[20:21], v[40:41], v[32:33]
	;; [unrolled: 1-line block ×4, first 2 shown]
	ds_load_2addr_b64 v[30:33], v35 offset0:192 offset1:208
	s_wait_dscnt 0x0
	v_fmac_f64_e32 v[24:25], v[30:31], v[46:47]
	v_fmac_f64_e32 v[20:21], v[32:33], v[46:47]
	;; [unrolled: 1-line block ×4, first 2 shown]
	ds_load_2addr_b64 v[30:33], v35 offset0:224 offset1:240
	s_wait_dscnt 0x0
	s_barrier_signal -1
	s_barrier_wait -1
	v_fmac_f64_e32 v[24:25], v[30:31], v[48:49]
	v_fmac_f64_e32 v[20:21], v[32:33], v[48:49]
	;; [unrolled: 1-line block ×4, first 2 shown]
	s_cbranch_scc0 .LBB343_13
.LBB343_9:                              ;   Parent Loop BB343_6 Depth=1
                                        ; =>  This Inner Loop Header: Depth=2
	v_add_nc_u32_e32 v30, s24, v2
	s_delay_alu instid0(VALU_DEP_1) | instskip(SKIP_2) | instid1(SALU_CYCLE_1)
	v_cmp_gt_i32_e32 vcc_lo, s21, v30
	v_mov_b64_e32 v[30:31], 0
	s_and_b32 s26, s0, vcc_lo
	s_and_saveexec_b32 s25, s26
	s_cbranch_execz .LBB343_11
; %bb.10:                               ;   in Loop: Header=BB343_9 Depth=2
	flat_load_b64 v[30:31], v[26:27]
.LBB343_11:                             ;   in Loop: Header=BB343_9 Depth=2
	s_wait_xcnt 0x0
	s_or_b32 exec_lo, exec_lo, s25
	v_add_nc_u32_e32 v32, s24, v0
	s_wait_loadcnt_dscnt 0x0
	ds_store_b64 v1, v[30:31]
	v_cmp_gt_i32_e32 vcc_lo, s21, v32
	v_mov_b64_e32 v[32:33], 0
	s_and_b32 s26, vcc_lo, s1
	s_delay_alu instid0(SALU_CYCLE_1)
	s_and_saveexec_b32 s25, s26
	s_cbranch_execz .LBB343_8
; %bb.12:                               ;   in Loop: Header=BB343_9 Depth=2
	flat_load_b64 v[32:33], v[28:29]
	s_branch .LBB343_8
.LBB343_13:                             ;   in Loop: Header=BB343_6 Depth=1
	s_wait_loadcnt 0x0
	v_add_nc_u64_e32 v[22:23], s[12:13], v[22:23]
	s_delay_alu instid0(VALU_DEP_1)
	v_lshl_add_u64 v[26:27], v[6:7], 3, v[22:23]
	s_and_saveexec_b32 s24, s30
	s_cbranch_execz .LBB343_17
; %bb.14:                               ;   in Loop: Header=BB343_6 Depth=1
	v_mul_f64_e32 v[24:25], s[8:9], v[24:25]
	s_delay_alu instid0(VALU_DEP_2)
	v_lshl_add_u64 v[28:29], v[4:5], 3, v[26:27]
	s_and_b32 vcc_lo, exec_lo, s18
	s_cbranch_vccz .LBB343_28
; %bb.15:                               ;   in Loop: Header=BB343_6 Depth=1
	flat_load_b64 v[30:31], v[28:29]
	s_wait_loadcnt_dscnt 0x0
	v_fma_f64 v[30:31], s[6:7], v[30:31], v[24:25]
	flat_store_b64 v[28:29], v[30:31]
	s_cbranch_execnz .LBB343_17
.LBB343_16:                             ;   in Loop: Header=BB343_6 Depth=1
	flat_store_b64 v[28:29], v[24:25]
.LBB343_17:                             ;   in Loop: Header=BB343_6 Depth=1
	s_wait_xcnt 0x0
	s_or_b32 exec_lo, exec_lo, s24
	s_and_saveexec_b32 s24, s31
	s_cbranch_execz .LBB343_21
; %bb.18:                               ;   in Loop: Header=BB343_6 Depth=1
	v_mul_f64_e32 v[20:21], s[8:9], v[20:21]
	v_lshl_add_u64 v[24:25], v[10:11], 3, v[26:27]
	s_and_not1_b32 vcc_lo, exec_lo, s18
	s_cbranch_vccnz .LBB343_29
; %bb.19:                               ;   in Loop: Header=BB343_6 Depth=1
	flat_load_b64 v[26:27], v[24:25]
	s_wait_loadcnt_dscnt 0x0
	v_fma_f64 v[26:27], s[6:7], v[26:27], v[20:21]
	flat_store_b64 v[24:25], v[26:27]
	s_cbranch_execnz .LBB343_21
.LBB343_20:                             ;   in Loop: Header=BB343_6 Depth=1
	flat_store_b64 v[24:25], v[20:21]
.LBB343_21:                             ;   in Loop: Header=BB343_6 Depth=1
	s_wait_xcnt 0x0
	s_or_b32 exec_lo, exec_lo, s24
	v_lshl_add_u64 v[20:21], v[8:9], 3, v[22:23]
	s_and_saveexec_b32 s24, s20
	s_cbranch_execz .LBB343_25
; %bb.22:                               ;   in Loop: Header=BB343_6 Depth=1
	v_mul_f64_e32 v[18:19], s[8:9], v[18:19]
	s_delay_alu instid0(VALU_DEP_2)
	v_lshl_add_u64 v[22:23], v[4:5], 3, v[20:21]
	s_and_not1_b32 vcc_lo, exec_lo, s18
	s_cbranch_vccnz .LBB343_30
; %bb.23:                               ;   in Loop: Header=BB343_6 Depth=1
	flat_load_b64 v[24:25], v[22:23]
	s_wait_loadcnt_dscnt 0x0
	v_fma_f64 v[24:25], s[6:7], v[24:25], v[18:19]
	flat_store_b64 v[22:23], v[24:25]
	s_cbranch_execnz .LBB343_25
.LBB343_24:                             ;   in Loop: Header=BB343_6 Depth=1
	flat_store_b64 v[22:23], v[18:19]
.LBB343_25:                             ;   in Loop: Header=BB343_6 Depth=1
	s_wait_xcnt 0x0
	s_or_b32 exec_lo, exec_lo, s24
	s_and_saveexec_b32 s24, s33
	s_cbranch_execz .LBB343_5
; %bb.26:                               ;   in Loop: Header=BB343_6 Depth=1
	s_delay_alu instid0(VALU_DEP_4)
	v_mul_f64_e32 v[16:17], s[8:9], v[16:17]
	v_lshl_add_u64 v[18:19], v[10:11], 3, v[20:21]
	s_and_not1_b32 vcc_lo, exec_lo, s18
	s_cbranch_vccnz .LBB343_31
; %bb.27:                               ;   in Loop: Header=BB343_6 Depth=1
	flat_load_b64 v[20:21], v[18:19]
	s_wait_loadcnt_dscnt 0x0
	v_fma_f64 v[20:21], s[6:7], v[20:21], v[16:17]
	flat_store_b64 v[18:19], v[20:21]
	s_cbranch_execnz .LBB343_5
	s_branch .LBB343_32
.LBB343_28:                             ;   in Loop: Header=BB343_6 Depth=1
	s_branch .LBB343_16
.LBB343_29:                             ;   in Loop: Header=BB343_6 Depth=1
	s_branch .LBB343_20
.LBB343_30:                             ;   in Loop: Header=BB343_6 Depth=1
	s_branch .LBB343_24
.LBB343_31:                             ;   in Loop: Header=BB343_6 Depth=1
.LBB343_32:                             ;   in Loop: Header=BB343_6 Depth=1
	flat_store_b64 v[18:19], v[16:17]
	s_branch .LBB343_5
.LBB343_33:
	s_endpgm
	.section	.rodata,"a",@progbits
	.p2align	6, 0x0
	.amdhsa_kernel _ZL29rocblas_internal_gemmt_kernelIiLi16ELi32ELi8ELc78ELc84ELc85ELb0ELb0EddPKPKdPKPdEviT_T9_T10_S7_lS9_S7_lS8_T11_S7_li
		.amdhsa_group_segment_fixed_size 4096
		.amdhsa_private_segment_fixed_size 0
		.amdhsa_kernarg_size 100
		.amdhsa_user_sgpr_count 2
		.amdhsa_user_sgpr_dispatch_ptr 0
		.amdhsa_user_sgpr_queue_ptr 0
		.amdhsa_user_sgpr_kernarg_segment_ptr 1
		.amdhsa_user_sgpr_dispatch_id 0
		.amdhsa_user_sgpr_kernarg_preload_length 0
		.amdhsa_user_sgpr_kernarg_preload_offset 0
		.amdhsa_user_sgpr_private_segment_size 0
		.amdhsa_wavefront_size32 1
		.amdhsa_uses_dynamic_stack 0
		.amdhsa_enable_private_segment 0
		.amdhsa_system_sgpr_workgroup_id_x 1
		.amdhsa_system_sgpr_workgroup_id_y 1
		.amdhsa_system_sgpr_workgroup_id_z 1
		.amdhsa_system_sgpr_workgroup_info 0
		.amdhsa_system_vgpr_workitem_id 1
		.amdhsa_next_free_vgpr 54
		.amdhsa_next_free_sgpr 36
		.amdhsa_named_barrier_count 0
		.amdhsa_reserve_vcc 1
		.amdhsa_float_round_mode_32 0
		.amdhsa_float_round_mode_16_64 0
		.amdhsa_float_denorm_mode_32 3
		.amdhsa_float_denorm_mode_16_64 3
		.amdhsa_fp16_overflow 0
		.amdhsa_memory_ordered 1
		.amdhsa_forward_progress 1
		.amdhsa_inst_pref_size 14
		.amdhsa_round_robin_scheduling 0
		.amdhsa_exception_fp_ieee_invalid_op 0
		.amdhsa_exception_fp_denorm_src 0
		.amdhsa_exception_fp_ieee_div_zero 0
		.amdhsa_exception_fp_ieee_overflow 0
		.amdhsa_exception_fp_ieee_underflow 0
		.amdhsa_exception_fp_ieee_inexact 0
		.amdhsa_exception_int_div_zero 0
	.end_amdhsa_kernel
	.section	.text._ZL29rocblas_internal_gemmt_kernelIiLi16ELi32ELi8ELc78ELc84ELc85ELb0ELb0EddPKPKdPKPdEviT_T9_T10_S7_lS9_S7_lS8_T11_S7_li,"axG",@progbits,_ZL29rocblas_internal_gemmt_kernelIiLi16ELi32ELi8ELc78ELc84ELc85ELb0ELb0EddPKPKdPKPdEviT_T9_T10_S7_lS9_S7_lS8_T11_S7_li,comdat
.Lfunc_end343:
	.size	_ZL29rocblas_internal_gemmt_kernelIiLi16ELi32ELi8ELc78ELc84ELc85ELb0ELb0EddPKPKdPKPdEviT_T9_T10_S7_lS9_S7_lS8_T11_S7_li, .Lfunc_end343-_ZL29rocblas_internal_gemmt_kernelIiLi16ELi32ELi8ELc78ELc84ELc85ELb0ELb0EddPKPKdPKPdEviT_T9_T10_S7_lS9_S7_lS8_T11_S7_li
                                        ; -- End function
	.set _ZL29rocblas_internal_gemmt_kernelIiLi16ELi32ELi8ELc78ELc84ELc85ELb0ELb0EddPKPKdPKPdEviT_T9_T10_S7_lS9_S7_lS8_T11_S7_li.num_vgpr, 54
	.set _ZL29rocblas_internal_gemmt_kernelIiLi16ELi32ELi8ELc78ELc84ELc85ELb0ELb0EddPKPKdPKPdEviT_T9_T10_S7_lS9_S7_lS8_T11_S7_li.num_agpr, 0
	.set _ZL29rocblas_internal_gemmt_kernelIiLi16ELi32ELi8ELc78ELc84ELc85ELb0ELb0EddPKPKdPKPdEviT_T9_T10_S7_lS9_S7_lS8_T11_S7_li.numbered_sgpr, 36
	.set _ZL29rocblas_internal_gemmt_kernelIiLi16ELi32ELi8ELc78ELc84ELc85ELb0ELb0EddPKPKdPKPdEviT_T9_T10_S7_lS9_S7_lS8_T11_S7_li.num_named_barrier, 0
	.set _ZL29rocblas_internal_gemmt_kernelIiLi16ELi32ELi8ELc78ELc84ELc85ELb0ELb0EddPKPKdPKPdEviT_T9_T10_S7_lS9_S7_lS8_T11_S7_li.private_seg_size, 0
	.set _ZL29rocblas_internal_gemmt_kernelIiLi16ELi32ELi8ELc78ELc84ELc85ELb0ELb0EddPKPKdPKPdEviT_T9_T10_S7_lS9_S7_lS8_T11_S7_li.uses_vcc, 1
	.set _ZL29rocblas_internal_gemmt_kernelIiLi16ELi32ELi8ELc78ELc84ELc85ELb0ELb0EddPKPKdPKPdEviT_T9_T10_S7_lS9_S7_lS8_T11_S7_li.uses_flat_scratch, 0
	.set _ZL29rocblas_internal_gemmt_kernelIiLi16ELi32ELi8ELc78ELc84ELc85ELb0ELb0EddPKPKdPKPdEviT_T9_T10_S7_lS9_S7_lS8_T11_S7_li.has_dyn_sized_stack, 0
	.set _ZL29rocblas_internal_gemmt_kernelIiLi16ELi32ELi8ELc78ELc84ELc85ELb0ELb0EddPKPKdPKPdEviT_T9_T10_S7_lS9_S7_lS8_T11_S7_li.has_recursion, 0
	.set _ZL29rocblas_internal_gemmt_kernelIiLi16ELi32ELi8ELc78ELc84ELc85ELb0ELb0EddPKPKdPKPdEviT_T9_T10_S7_lS9_S7_lS8_T11_S7_li.has_indirect_call, 0
	.section	.AMDGPU.csdata,"",@progbits
; Kernel info:
; codeLenInByte = 1676
; TotalNumSgprs: 38
; NumVgprs: 54
; ScratchSize: 0
; MemoryBound: 0
; FloatMode: 240
; IeeeMode: 1
; LDSByteSize: 4096 bytes/workgroup (compile time only)
; SGPRBlocks: 0
; VGPRBlocks: 3
; NumSGPRsForWavesPerEU: 38
; NumVGPRsForWavesPerEU: 54
; NamedBarCnt: 0
; Occupancy: 16
; WaveLimiterHint : 1
; COMPUTE_PGM_RSRC2:SCRATCH_EN: 0
; COMPUTE_PGM_RSRC2:USER_SGPR: 2
; COMPUTE_PGM_RSRC2:TRAP_HANDLER: 0
; COMPUTE_PGM_RSRC2:TGID_X_EN: 1
; COMPUTE_PGM_RSRC2:TGID_Y_EN: 1
; COMPUTE_PGM_RSRC2:TGID_Z_EN: 1
; COMPUTE_PGM_RSRC2:TIDIG_COMP_CNT: 1
	.section	.text._ZL29rocblas_internal_gemmt_kernelIiLi16ELi32ELi8ELc78ELc67ELc85ELb0ELb0EddPKPKdPKPdEviT_T9_T10_S7_lS9_S7_lS8_T11_S7_li,"axG",@progbits,_ZL29rocblas_internal_gemmt_kernelIiLi16ELi32ELi8ELc78ELc67ELc85ELb0ELb0EddPKPKdPKPdEviT_T9_T10_S7_lS9_S7_lS8_T11_S7_li,comdat
	.globl	_ZL29rocblas_internal_gemmt_kernelIiLi16ELi32ELi8ELc78ELc67ELc85ELb0ELb0EddPKPKdPKPdEviT_T9_T10_S7_lS9_S7_lS8_T11_S7_li ; -- Begin function _ZL29rocblas_internal_gemmt_kernelIiLi16ELi32ELi8ELc78ELc67ELc85ELb0ELb0EddPKPKdPKPdEviT_T9_T10_S7_lS9_S7_lS8_T11_S7_li
	.p2align	8
	.type	_ZL29rocblas_internal_gemmt_kernelIiLi16ELi32ELi8ELc78ELc67ELc85ELb0ELb0EddPKPKdPKPdEviT_T9_T10_S7_lS9_S7_lS8_T11_S7_li,@function
_ZL29rocblas_internal_gemmt_kernelIiLi16ELi32ELi8ELc78ELc67ELc85ELb0ELb0EddPKPKdPKPdEviT_T9_T10_S7_lS9_S7_lS8_T11_S7_li: ; @_ZL29rocblas_internal_gemmt_kernelIiLi16ELi32ELi8ELc78ELc67ELc85ELb0ELb0EddPKPKdPKPdEviT_T9_T10_S7_lS9_S7_lS8_T11_S7_li
; %bb.0:
	s_clause 0x2
	s_load_b128 s[4:7], s[0:1], 0x38
	s_load_b64 s[20:21], s[0:1], 0x0
	s_load_b128 s[8:11], s[0:1], 0x8
	s_wait_kmcnt 0x0
	v_cmp_neq_f64_e64 s2, s[6:7], 1.0
	s_and_b32 vcc_lo, exec_lo, s2
	s_cbranch_vccnz .LBB344_2
; %bb.1:
	v_cmp_neq_f64_e64 s2, s[8:9], 0
	s_cmp_lg_u32 s21, 0
	s_cselect_b32 s3, -1, 0
	s_delay_alu instid0(SALU_CYCLE_1)
	s_and_b32 s2, s3, s2
.LBB344_2:
	s_delay_alu instid0(SALU_CYCLE_1)
	s_and_not1_b32 vcc_lo, exec_lo, s2
	s_cbranch_vccnz .LBB344_33
; %bb.3:
	s_load_b32 s19, s[0:1], 0x60
	s_bfe_u32 s2, ttmp6, 0x40014
	s_lshr_b32 s3, ttmp7, 16
	s_add_co_i32 s2, s2, 1
	s_bfe_u32 s13, ttmp6, 0x40008
	s_mul_i32 s12, s3, s2
	s_getreg_b32 s2, hwreg(HW_REG_IB_STS2, 6, 4)
	s_add_co_i32 s13, s13, s12
	s_cmp_eq_u32 s2, 0
	s_mov_b32 s23, 0
	s_cselect_b32 s22, s3, s13
	s_wait_kmcnt 0x0
	s_cmp_ge_u32 s22, s19
	s_cbranch_scc1 .LBB344_33
; %bb.4:
	s_clause 0x4
	s_load_b32 s24, s[0:1], 0x18
	s_load_b32 s26, s[0:1], 0x30
	s_load_b96 s[16:18], s[0:1], 0x48
	s_load_b128 s[12:15], s[0:1], 0x20
	s_load_b64 s[28:29], s[0:1], 0x58
	s_wait_xcnt 0x0
	s_bfe_u32 s1, ttmp6, 0x4000c
	s_bfe_u32 s25, ttmp6, 0x40010
	v_and_b32_e32 v5, 0x3ff, v0
	v_bfe_u32 v11, v0, 10, 10
	s_and_b32 s3, ttmp7, 0xffff
	s_add_co_i32 s1, s1, 1
	s_add_co_i32 s33, s25, 1
	s_and_b32 s0, ttmp6, 15
	s_mul_i32 s1, ttmp9, s1
	v_lshl_add_u32 v1, v11, 4, v5
	s_add_co_i32 s0, s0, s1
	v_and_b32_e32 v0, 7, v0
	v_cmp_neq_f64_e64 s34, s[8:9], 0
	v_lshl_add_u32 v36, v11, 6, 0x800
	v_dual_lshrrev_b32 v4, 3, v1 :: v_dual_bitop2_b32 v6, 31, v1 bitop3:0x40
	s_wait_kmcnt 0x0
	s_ashr_i32 s25, s24, 31
	s_ashr_i32 s31, s18, 31
	s_mov_b32 s30, s18
	s_mul_i32 s18, s3, s33
	s_bfe_u32 s33, ttmp6, 0x40004
	s_ashr_i32 s27, s26, 31
	s_add_co_i32 s33, s33, s18
	s_cmp_eq_u32 s2, 0
	v_lshrrev_b32_e32 v2, 5, v1
	s_cselect_b32 s0, ttmp9, s0
	s_cselect_b32 s1, s3, s33
	s_lshl_b32 s2, s0, 5
	s_delay_alu instid0(SALU_CYCLE_1) | instskip(SKIP_1) | instid1(SALU_CYCLE_1)
	v_dual_mov_b32 v3, 0 :: v_dual_bitop2_b32 v12, s2, v6 bitop3:0x54
	s_lshl_b32 s0, s1, 5
	v_dual_lshlrev_b32 v6, 3, v6 :: v_dual_add_nc_u32 v16, s0, v11
	s_delay_alu instid0(VALU_DEP_2) | instskip(SKIP_2) | instid1(VALU_DEP_4)
	v_dual_mov_b32 v1, v3 :: v_dual_add_nc_u32 v14, s0, v4
	v_mul_u64_e32 v[18:19], s[24:25], v[2:3]
	v_cmp_neq_f64_e64 s18, s[6:7], 0
	v_dual_add_nc_u32 v22, 16, v16 :: v_dual_ashrrev_i32 v17, 31, v16
	s_delay_alu instid0(VALU_DEP_4) | instskip(SKIP_2) | instid1(VALU_DEP_4)
	v_mul_u64_e32 v[20:21], s[26:27], v[0:1]
	v_lshlrev_b32_e32 v7, 3, v0
	v_lshl_or_b32 v1, v2, 8, v6
	v_ashrrev_i32_e32 v23, 31, v22
	v_ashrrev_i32_e32 v15, 31, v14
	s_cmp_gt_i32 s21, 0
	v_lshl_or_b32 v13, v4, 6, v7
	v_mul_u64_e32 v[6:7], s[30:31], v[16:17]
	v_mul_u64_e32 v[8:9], s[30:31], v[22:23]
	v_add_nc_u32_e32 v4, s2, v5
	s_cselect_b32 s35, -1, 0
	v_cmp_gt_i32_e32 vcc_lo, s20, v16
	v_lshlrev_b32_e32 v35, 3, v5
	s_lshl_b64 s[12:13], s[12:13], 3
	v_add_nc_u32_e32 v10, 16, v4
	v_cmp_le_i32_e64 s2, v4, v16
	s_lshl_b64 s[4:5], s[4:5], 3
	v_add_nc_u32_e32 v34, 0x800, v13
	v_ashrrev_i32_e32 v13, 31, v12
	v_cmp_le_i32_e64 s3, v10, v16
	s_and_b32 s30, vcc_lo, s2
	v_cmp_le_i32_e64 s2, v4, v22
	v_cmp_gt_i32_e64 s0, s20, v12
	v_cmp_gt_i32_e64 s1, s20, v14
	s_and_b32 s31, vcc_lo, s3
	v_cmp_gt_i32_e32 vcc_lo, s20, v22
	v_cmp_le_i32_e64 s3, v10, v22
	v_dual_ashrrev_i32 v5, 31, v4 :: v_dual_ashrrev_i32 v11, 31, v10
	v_lshl_add_u64 v[16:17], v[18:19], 3, s[12:13]
	s_and_b32 s20, vcc_lo, s2
	s_and_b32 s33, vcc_lo, s3
	v_lshl_add_u64 v[18:19], v[20:21], 3, s[4:5]
	s_and_b32 s34, s34, s35
	v_lshl_add_u64 v[12:13], v[12:13], 3, v[16:17]
	s_lshl_b64 s[2:3], s[24:25], 6
	s_lshl_b64 s[4:5], s[26:27], 6
	v_lshl_add_u64 v[14:15], v[14:15], 3, v[18:19]
	s_lshl_b64 s[12:13], s[28:29], 3
	s_branch .LBB344_6
.LBB344_5:                              ;   in Loop: Header=BB344_6 Depth=1
	s_wait_xcnt 0x0
	s_or_b32 exec_lo, exec_lo, s24
	s_add_co_i32 s22, s22, 0x10000
	s_delay_alu instid0(SALU_CYCLE_1)
	s_cmp_lt_u32 s22, s19
	s_cbranch_scc0 .LBB344_33
.LBB344_6:                              ; =>This Loop Header: Depth=1
                                        ;     Child Loop BB344_9 Depth 2
	v_mov_b32_e32 v16, s22
	v_mov_b64_e32 v[24:25], 0
	v_mov_b64_e32 v[20:21], 0
	;; [unrolled: 1-line block ×3, first 2 shown]
	s_and_not1_b32 vcc_lo, exec_lo, s34
	global_load_b64 v[22:23], v16, s[16:17] scale_offset
	s_wait_xcnt 0x0
	v_mov_b64_e32 v[16:17], 0
	s_cbranch_vccnz .LBB344_13
; %bb.7:                                ;   in Loop: Header=BB344_6 Depth=1
	s_lshl_b64 s[24:25], s[22:23], 3
	v_mov_b64_e32 v[16:17], 0
	s_add_nc_u64 s[26:27], s[10:11], s[24:25]
	s_add_nc_u64 s[24:25], s[14:15], s[24:25]
	s_clause 0x1
	global_load_b64 v[24:25], v3, s[26:27]
	global_load_b64 v[28:29], v3, s[24:25]
	v_mov_b64_e32 v[18:19], 0
	v_mov_b64_e32 v[20:21], 0
	s_wait_xcnt 0x0
	s_mov_b32 s24, 0
	s_wait_loadcnt 0x1
	v_add_nc_u64_e32 v[26:27], v[24:25], v[12:13]
	s_wait_loadcnt 0x0
	v_add_nc_u64_e32 v[28:29], v[28:29], v[14:15]
	v_mov_b64_e32 v[24:25], 0
	s_branch .LBB344_9
.LBB344_8:                              ;   in Loop: Header=BB344_9 Depth=2
	s_wait_xcnt 0x0
	s_or_b32 exec_lo, exec_lo, s25
	s_wait_loadcnt_dscnt 0x0
	ds_store_b64 v34, v[32:33]
	s_wait_dscnt 0x0
	s_barrier_signal -1
	s_barrier_wait -1
	ds_load_b128 v[30:33], v36
	ds_load_2addr_b64 v[38:41], v35 offset1:16
	ds_load_b128 v[42:45], v36 offset:1024
	ds_load_b128 v[46:49], v36 offset:16
	ds_load_b128 v[50:53], v36 offset:1040
	v_add_nc_u64_e32 v[26:27], s[2:3], v[26:27]
	v_add_nc_u64_e32 v[28:29], s[4:5], v[28:29]
	s_add_co_i32 s24, s24, 8
	s_delay_alu instid0(SALU_CYCLE_1)
	s_cmp_lt_i32 s24, s21
	s_wait_dscnt 0x3
	v_fmac_f64_e32 v[24:25], v[38:39], v[30:31]
	v_fmac_f64_e32 v[20:21], v[40:41], v[30:31]
	s_wait_dscnt 0x2
	v_fmac_f64_e32 v[18:19], v[38:39], v[42:43]
	v_fmac_f64_e32 v[16:17], v[40:41], v[42:43]
	ds_load_2addr_b64 v[38:41], v35 offset0:32 offset1:48
	s_wait_dscnt 0x0
	v_fmac_f64_e32 v[24:25], v[38:39], v[32:33]
	v_fmac_f64_e32 v[20:21], v[40:41], v[32:33]
	v_fmac_f64_e32 v[18:19], v[38:39], v[44:45]
	v_fmac_f64_e32 v[16:17], v[40:41], v[44:45]
	ds_load_2addr_b64 v[30:33], v35 offset0:64 offset1:80
	s_wait_dscnt 0x0
	v_fmac_f64_e32 v[24:25], v[30:31], v[46:47]
	v_fmac_f64_e32 v[20:21], v[32:33], v[46:47]
	v_fmac_f64_e32 v[18:19], v[30:31], v[50:51]
	v_fmac_f64_e32 v[16:17], v[32:33], v[50:51]
	ds_load_2addr_b64 v[30:33], v35 offset0:96 offset1:112
	s_wait_dscnt 0x0
	v_fmac_f64_e32 v[24:25], v[30:31], v[48:49]
	v_fmac_f64_e32 v[20:21], v[32:33], v[48:49]
	v_fmac_f64_e32 v[18:19], v[30:31], v[52:53]
	v_fmac_f64_e32 v[16:17], v[32:33], v[52:53]
	ds_load_b128 v[30:33], v36 offset:32
	ds_load_2addr_b64 v[38:41], v35 offset0:128 offset1:144
	ds_load_b128 v[42:45], v36 offset:1056
	ds_load_b128 v[46:49], v36 offset:48
	;; [unrolled: 1-line block ×3, first 2 shown]
	s_wait_dscnt 0x3
	v_fmac_f64_e32 v[24:25], v[38:39], v[30:31]
	v_fmac_f64_e32 v[20:21], v[40:41], v[30:31]
	s_wait_dscnt 0x2
	v_fmac_f64_e32 v[18:19], v[38:39], v[42:43]
	v_fmac_f64_e32 v[16:17], v[40:41], v[42:43]
	ds_load_2addr_b64 v[38:41], v35 offset0:160 offset1:176
	s_wait_dscnt 0x0
	v_fmac_f64_e32 v[24:25], v[38:39], v[32:33]
	v_fmac_f64_e32 v[20:21], v[40:41], v[32:33]
	;; [unrolled: 1-line block ×4, first 2 shown]
	ds_load_2addr_b64 v[30:33], v35 offset0:192 offset1:208
	s_wait_dscnt 0x0
	v_fmac_f64_e32 v[24:25], v[30:31], v[46:47]
	v_fmac_f64_e32 v[20:21], v[32:33], v[46:47]
	;; [unrolled: 1-line block ×4, first 2 shown]
	ds_load_2addr_b64 v[30:33], v35 offset0:224 offset1:240
	s_wait_dscnt 0x0
	s_barrier_signal -1
	s_barrier_wait -1
	v_fmac_f64_e32 v[24:25], v[30:31], v[48:49]
	v_fmac_f64_e32 v[20:21], v[32:33], v[48:49]
	;; [unrolled: 1-line block ×4, first 2 shown]
	s_cbranch_scc0 .LBB344_13
.LBB344_9:                              ;   Parent Loop BB344_6 Depth=1
                                        ; =>  This Inner Loop Header: Depth=2
	v_add_nc_u32_e32 v30, s24, v2
	s_delay_alu instid0(VALU_DEP_1) | instskip(SKIP_2) | instid1(SALU_CYCLE_1)
	v_cmp_gt_i32_e32 vcc_lo, s21, v30
	v_mov_b64_e32 v[30:31], 0
	s_and_b32 s26, s0, vcc_lo
	s_and_saveexec_b32 s25, s26
	s_cbranch_execz .LBB344_11
; %bb.10:                               ;   in Loop: Header=BB344_9 Depth=2
	flat_load_b64 v[30:31], v[26:27]
.LBB344_11:                             ;   in Loop: Header=BB344_9 Depth=2
	s_wait_xcnt 0x0
	s_or_b32 exec_lo, exec_lo, s25
	v_add_nc_u32_e32 v32, s24, v0
	s_wait_loadcnt_dscnt 0x0
	ds_store_b64 v1, v[30:31]
	v_cmp_gt_i32_e32 vcc_lo, s21, v32
	v_mov_b64_e32 v[32:33], 0
	s_and_b32 s26, vcc_lo, s1
	s_delay_alu instid0(SALU_CYCLE_1)
	s_and_saveexec_b32 s25, s26
	s_cbranch_execz .LBB344_8
; %bb.12:                               ;   in Loop: Header=BB344_9 Depth=2
	flat_load_b64 v[32:33], v[28:29]
	s_branch .LBB344_8
.LBB344_13:                             ;   in Loop: Header=BB344_6 Depth=1
	s_wait_loadcnt 0x0
	v_add_nc_u64_e32 v[22:23], s[12:13], v[22:23]
	s_delay_alu instid0(VALU_DEP_1)
	v_lshl_add_u64 v[26:27], v[6:7], 3, v[22:23]
	s_and_saveexec_b32 s24, s30
	s_cbranch_execz .LBB344_17
; %bb.14:                               ;   in Loop: Header=BB344_6 Depth=1
	v_mul_f64_e32 v[24:25], s[8:9], v[24:25]
	s_delay_alu instid0(VALU_DEP_2)
	v_lshl_add_u64 v[28:29], v[4:5], 3, v[26:27]
	s_and_b32 vcc_lo, exec_lo, s18
	s_cbranch_vccz .LBB344_28
; %bb.15:                               ;   in Loop: Header=BB344_6 Depth=1
	flat_load_b64 v[30:31], v[28:29]
	s_wait_loadcnt_dscnt 0x0
	v_fma_f64 v[30:31], s[6:7], v[30:31], v[24:25]
	flat_store_b64 v[28:29], v[30:31]
	s_cbranch_execnz .LBB344_17
.LBB344_16:                             ;   in Loop: Header=BB344_6 Depth=1
	flat_store_b64 v[28:29], v[24:25]
.LBB344_17:                             ;   in Loop: Header=BB344_6 Depth=1
	s_wait_xcnt 0x0
	s_or_b32 exec_lo, exec_lo, s24
	s_and_saveexec_b32 s24, s31
	s_cbranch_execz .LBB344_21
; %bb.18:                               ;   in Loop: Header=BB344_6 Depth=1
	v_mul_f64_e32 v[20:21], s[8:9], v[20:21]
	v_lshl_add_u64 v[24:25], v[10:11], 3, v[26:27]
	s_and_not1_b32 vcc_lo, exec_lo, s18
	s_cbranch_vccnz .LBB344_29
; %bb.19:                               ;   in Loop: Header=BB344_6 Depth=1
	flat_load_b64 v[26:27], v[24:25]
	s_wait_loadcnt_dscnt 0x0
	v_fma_f64 v[26:27], s[6:7], v[26:27], v[20:21]
	flat_store_b64 v[24:25], v[26:27]
	s_cbranch_execnz .LBB344_21
.LBB344_20:                             ;   in Loop: Header=BB344_6 Depth=1
	flat_store_b64 v[24:25], v[20:21]
.LBB344_21:                             ;   in Loop: Header=BB344_6 Depth=1
	s_wait_xcnt 0x0
	s_or_b32 exec_lo, exec_lo, s24
	v_lshl_add_u64 v[20:21], v[8:9], 3, v[22:23]
	s_and_saveexec_b32 s24, s20
	s_cbranch_execz .LBB344_25
; %bb.22:                               ;   in Loop: Header=BB344_6 Depth=1
	v_mul_f64_e32 v[18:19], s[8:9], v[18:19]
	s_delay_alu instid0(VALU_DEP_2)
	v_lshl_add_u64 v[22:23], v[4:5], 3, v[20:21]
	s_and_not1_b32 vcc_lo, exec_lo, s18
	s_cbranch_vccnz .LBB344_30
; %bb.23:                               ;   in Loop: Header=BB344_6 Depth=1
	flat_load_b64 v[24:25], v[22:23]
	s_wait_loadcnt_dscnt 0x0
	v_fma_f64 v[24:25], s[6:7], v[24:25], v[18:19]
	flat_store_b64 v[22:23], v[24:25]
	s_cbranch_execnz .LBB344_25
.LBB344_24:                             ;   in Loop: Header=BB344_6 Depth=1
	flat_store_b64 v[22:23], v[18:19]
.LBB344_25:                             ;   in Loop: Header=BB344_6 Depth=1
	s_wait_xcnt 0x0
	s_or_b32 exec_lo, exec_lo, s24
	s_and_saveexec_b32 s24, s33
	s_cbranch_execz .LBB344_5
; %bb.26:                               ;   in Loop: Header=BB344_6 Depth=1
	s_delay_alu instid0(VALU_DEP_4)
	v_mul_f64_e32 v[16:17], s[8:9], v[16:17]
	v_lshl_add_u64 v[18:19], v[10:11], 3, v[20:21]
	s_and_not1_b32 vcc_lo, exec_lo, s18
	s_cbranch_vccnz .LBB344_31
; %bb.27:                               ;   in Loop: Header=BB344_6 Depth=1
	flat_load_b64 v[20:21], v[18:19]
	s_wait_loadcnt_dscnt 0x0
	v_fma_f64 v[20:21], s[6:7], v[20:21], v[16:17]
	flat_store_b64 v[18:19], v[20:21]
	s_cbranch_execnz .LBB344_5
	s_branch .LBB344_32
.LBB344_28:                             ;   in Loop: Header=BB344_6 Depth=1
	s_branch .LBB344_16
.LBB344_29:                             ;   in Loop: Header=BB344_6 Depth=1
	s_branch .LBB344_20
.LBB344_30:                             ;   in Loop: Header=BB344_6 Depth=1
	s_branch .LBB344_24
.LBB344_31:                             ;   in Loop: Header=BB344_6 Depth=1
.LBB344_32:                             ;   in Loop: Header=BB344_6 Depth=1
	flat_store_b64 v[18:19], v[16:17]
	s_branch .LBB344_5
.LBB344_33:
	s_endpgm
	.section	.rodata,"a",@progbits
	.p2align	6, 0x0
	.amdhsa_kernel _ZL29rocblas_internal_gemmt_kernelIiLi16ELi32ELi8ELc78ELc67ELc85ELb0ELb0EddPKPKdPKPdEviT_T9_T10_S7_lS9_S7_lS8_T11_S7_li
		.amdhsa_group_segment_fixed_size 4096
		.amdhsa_private_segment_fixed_size 0
		.amdhsa_kernarg_size 100
		.amdhsa_user_sgpr_count 2
		.amdhsa_user_sgpr_dispatch_ptr 0
		.amdhsa_user_sgpr_queue_ptr 0
		.amdhsa_user_sgpr_kernarg_segment_ptr 1
		.amdhsa_user_sgpr_dispatch_id 0
		.amdhsa_user_sgpr_kernarg_preload_length 0
		.amdhsa_user_sgpr_kernarg_preload_offset 0
		.amdhsa_user_sgpr_private_segment_size 0
		.amdhsa_wavefront_size32 1
		.amdhsa_uses_dynamic_stack 0
		.amdhsa_enable_private_segment 0
		.amdhsa_system_sgpr_workgroup_id_x 1
		.amdhsa_system_sgpr_workgroup_id_y 1
		.amdhsa_system_sgpr_workgroup_id_z 1
		.amdhsa_system_sgpr_workgroup_info 0
		.amdhsa_system_vgpr_workitem_id 1
		.amdhsa_next_free_vgpr 54
		.amdhsa_next_free_sgpr 36
		.amdhsa_named_barrier_count 0
		.amdhsa_reserve_vcc 1
		.amdhsa_float_round_mode_32 0
		.amdhsa_float_round_mode_16_64 0
		.amdhsa_float_denorm_mode_32 3
		.amdhsa_float_denorm_mode_16_64 3
		.amdhsa_fp16_overflow 0
		.amdhsa_memory_ordered 1
		.amdhsa_forward_progress 1
		.amdhsa_inst_pref_size 14
		.amdhsa_round_robin_scheduling 0
		.amdhsa_exception_fp_ieee_invalid_op 0
		.amdhsa_exception_fp_denorm_src 0
		.amdhsa_exception_fp_ieee_div_zero 0
		.amdhsa_exception_fp_ieee_overflow 0
		.amdhsa_exception_fp_ieee_underflow 0
		.amdhsa_exception_fp_ieee_inexact 0
		.amdhsa_exception_int_div_zero 0
	.end_amdhsa_kernel
	.section	.text._ZL29rocblas_internal_gemmt_kernelIiLi16ELi32ELi8ELc78ELc67ELc85ELb0ELb0EddPKPKdPKPdEviT_T9_T10_S7_lS9_S7_lS8_T11_S7_li,"axG",@progbits,_ZL29rocblas_internal_gemmt_kernelIiLi16ELi32ELi8ELc78ELc67ELc85ELb0ELb0EddPKPKdPKPdEviT_T9_T10_S7_lS9_S7_lS8_T11_S7_li,comdat
.Lfunc_end344:
	.size	_ZL29rocblas_internal_gemmt_kernelIiLi16ELi32ELi8ELc78ELc67ELc85ELb0ELb0EddPKPKdPKPdEviT_T9_T10_S7_lS9_S7_lS8_T11_S7_li, .Lfunc_end344-_ZL29rocblas_internal_gemmt_kernelIiLi16ELi32ELi8ELc78ELc67ELc85ELb0ELb0EddPKPKdPKPdEviT_T9_T10_S7_lS9_S7_lS8_T11_S7_li
                                        ; -- End function
	.set _ZL29rocblas_internal_gemmt_kernelIiLi16ELi32ELi8ELc78ELc67ELc85ELb0ELb0EddPKPKdPKPdEviT_T9_T10_S7_lS9_S7_lS8_T11_S7_li.num_vgpr, 54
	.set _ZL29rocblas_internal_gemmt_kernelIiLi16ELi32ELi8ELc78ELc67ELc85ELb0ELb0EddPKPKdPKPdEviT_T9_T10_S7_lS9_S7_lS8_T11_S7_li.num_agpr, 0
	.set _ZL29rocblas_internal_gemmt_kernelIiLi16ELi32ELi8ELc78ELc67ELc85ELb0ELb0EddPKPKdPKPdEviT_T9_T10_S7_lS9_S7_lS8_T11_S7_li.numbered_sgpr, 36
	.set _ZL29rocblas_internal_gemmt_kernelIiLi16ELi32ELi8ELc78ELc67ELc85ELb0ELb0EddPKPKdPKPdEviT_T9_T10_S7_lS9_S7_lS8_T11_S7_li.num_named_barrier, 0
	.set _ZL29rocblas_internal_gemmt_kernelIiLi16ELi32ELi8ELc78ELc67ELc85ELb0ELb0EddPKPKdPKPdEviT_T9_T10_S7_lS9_S7_lS8_T11_S7_li.private_seg_size, 0
	.set _ZL29rocblas_internal_gemmt_kernelIiLi16ELi32ELi8ELc78ELc67ELc85ELb0ELb0EddPKPKdPKPdEviT_T9_T10_S7_lS9_S7_lS8_T11_S7_li.uses_vcc, 1
	.set _ZL29rocblas_internal_gemmt_kernelIiLi16ELi32ELi8ELc78ELc67ELc85ELb0ELb0EddPKPKdPKPdEviT_T9_T10_S7_lS9_S7_lS8_T11_S7_li.uses_flat_scratch, 0
	.set _ZL29rocblas_internal_gemmt_kernelIiLi16ELi32ELi8ELc78ELc67ELc85ELb0ELb0EddPKPKdPKPdEviT_T9_T10_S7_lS9_S7_lS8_T11_S7_li.has_dyn_sized_stack, 0
	.set _ZL29rocblas_internal_gemmt_kernelIiLi16ELi32ELi8ELc78ELc67ELc85ELb0ELb0EddPKPKdPKPdEviT_T9_T10_S7_lS9_S7_lS8_T11_S7_li.has_recursion, 0
	.set _ZL29rocblas_internal_gemmt_kernelIiLi16ELi32ELi8ELc78ELc67ELc85ELb0ELb0EddPKPKdPKPdEviT_T9_T10_S7_lS9_S7_lS8_T11_S7_li.has_indirect_call, 0
	.section	.AMDGPU.csdata,"",@progbits
; Kernel info:
; codeLenInByte = 1676
; TotalNumSgprs: 38
; NumVgprs: 54
; ScratchSize: 0
; MemoryBound: 0
; FloatMode: 240
; IeeeMode: 1
; LDSByteSize: 4096 bytes/workgroup (compile time only)
; SGPRBlocks: 0
; VGPRBlocks: 3
; NumSGPRsForWavesPerEU: 38
; NumVGPRsForWavesPerEU: 54
; NamedBarCnt: 0
; Occupancy: 16
; WaveLimiterHint : 1
; COMPUTE_PGM_RSRC2:SCRATCH_EN: 0
; COMPUTE_PGM_RSRC2:USER_SGPR: 2
; COMPUTE_PGM_RSRC2:TRAP_HANDLER: 0
; COMPUTE_PGM_RSRC2:TGID_X_EN: 1
; COMPUTE_PGM_RSRC2:TGID_Y_EN: 1
; COMPUTE_PGM_RSRC2:TGID_Z_EN: 1
; COMPUTE_PGM_RSRC2:TIDIG_COMP_CNT: 1
	.section	.text._ZL29rocblas_internal_gemmt_kernelIiLi16ELi32ELi8ELc84ELc78ELc85ELb0ELb0EddPKPKdPKPdEviT_T9_T10_S7_lS9_S7_lS8_T11_S7_li,"axG",@progbits,_ZL29rocblas_internal_gemmt_kernelIiLi16ELi32ELi8ELc84ELc78ELc85ELb0ELb0EddPKPKdPKPdEviT_T9_T10_S7_lS9_S7_lS8_T11_S7_li,comdat
	.globl	_ZL29rocblas_internal_gemmt_kernelIiLi16ELi32ELi8ELc84ELc78ELc85ELb0ELb0EddPKPKdPKPdEviT_T9_T10_S7_lS9_S7_lS8_T11_S7_li ; -- Begin function _ZL29rocblas_internal_gemmt_kernelIiLi16ELi32ELi8ELc84ELc78ELc85ELb0ELb0EddPKPKdPKPdEviT_T9_T10_S7_lS9_S7_lS8_T11_S7_li
	.p2align	8
	.type	_ZL29rocblas_internal_gemmt_kernelIiLi16ELi32ELi8ELc84ELc78ELc85ELb0ELb0EddPKPKdPKPdEviT_T9_T10_S7_lS9_S7_lS8_T11_S7_li,@function
_ZL29rocblas_internal_gemmt_kernelIiLi16ELi32ELi8ELc84ELc78ELc85ELb0ELb0EddPKPKdPKPdEviT_T9_T10_S7_lS9_S7_lS8_T11_S7_li: ; @_ZL29rocblas_internal_gemmt_kernelIiLi16ELi32ELi8ELc84ELc78ELc85ELb0ELb0EddPKPKdPKPdEviT_T9_T10_S7_lS9_S7_lS8_T11_S7_li
; %bb.0:
	s_clause 0x2
	s_load_b128 s[4:7], s[0:1], 0x38
	s_load_b64 s[20:21], s[0:1], 0x0
	s_load_b128 s[8:11], s[0:1], 0x8
	s_wait_kmcnt 0x0
	v_cmp_neq_f64_e64 s2, s[6:7], 1.0
	s_and_b32 vcc_lo, exec_lo, s2
	s_cbranch_vccnz .LBB345_2
; %bb.1:
	v_cmp_neq_f64_e64 s2, s[8:9], 0
	s_cmp_lg_u32 s21, 0
	s_cselect_b32 s3, -1, 0
	s_delay_alu instid0(SALU_CYCLE_1)
	s_and_b32 s2, s3, s2
.LBB345_2:
	s_delay_alu instid0(SALU_CYCLE_1)
	s_and_not1_b32 vcc_lo, exec_lo, s2
	s_cbranch_vccnz .LBB345_33
; %bb.3:
	s_load_b32 s19, s[0:1], 0x60
	s_bfe_u32 s2, ttmp6, 0x40014
	s_lshr_b32 s3, ttmp7, 16
	s_add_co_i32 s2, s2, 1
	s_bfe_u32 s12, ttmp6, 0x40008
	s_mul_i32 s2, s3, s2
	s_getreg_b32 s28, hwreg(HW_REG_IB_STS2, 6, 4)
	s_add_co_i32 s12, s12, s2
	s_cmp_eq_u32 s28, 0
	s_mov_b32 s23, 0
	s_cselect_b32 s22, s3, s12
	s_wait_kmcnt 0x0
	s_cmp_ge_u32 s22, s19
	s_cbranch_scc1 .LBB345_33
; %bb.4:
	s_clause 0x3
	s_load_b32 s26, s[0:1], 0x18
	s_load_b32 s2, s[0:1], 0x30
	s_load_b96 s[16:18], s[0:1], 0x48
	s_load_b128 s[12:15], s[0:1], 0x20
	v_and_b32_e32 v6, 0x3ff, v0
	v_bfe_u32 v2, v0, 10, 10
	s_load_b64 s[24:25], s[0:1], 0x58
	s_wait_xcnt 0x0
	s_bfe_u32 s1, ttmp6, 0x4000c
	s_bfe_u32 s3, ttmp6, 0x40010
	s_and_b32 s29, ttmp7, 0xffff
	s_add_co_i32 s1, s1, 1
	s_add_co_i32 s3, s3, 1
	v_lshl_add_u32 v3, v2, 4, v6
	s_and_b32 s0, ttmp6, 15
	s_bfe_u32 s30, ttmp6, 0x40004
	s_mul_i32 s31, ttmp9, s1
	s_mul_i32 s33, s29, s3
	s_add_co_i32 s0, s0, s31
	s_add_co_i32 s30, s30, s33
	v_dual_lshrrev_b32 v4, 3, v3 :: v_dual_bitop2_b32 v5, 31, v3 bitop3:0x40
	s_wait_kmcnt 0x0
	s_ashr_i32 s27, s26, 31
	s_ashr_i32 s3, s2, 31
	;; [unrolled: 1-line block ×3, first 2 shown]
	s_cmp_eq_u32 s28, 0
	v_dual_lshlrev_b32 v33, 3, v6 :: v_dual_lshrrev_b32 v35, 5, v3
	s_cselect_b32 s0, ttmp9, s0
	s_cselect_b32 s28, s29, s30
	s_lshl_b32 s29, s0, 5
	s_lshl_b32 s0, s28, 5
	s_delay_alu instid0(SALU_CYCLE_1) | instskip(SKIP_2) | instid1(VALU_DEP_3)
	v_dual_add_nc_u32 v12, s0, v4 :: v_dual_bitop2_b32 v10, s29, v5 bitop3:0x54
	v_dual_add_nc_u32 v14, s0, v2 :: v_dual_bitop2_b32 v32, 7, v0 bitop3:0x40
	v_cmp_neq_f64_e64 s30, s[8:9], 0
	v_dual_ashrrev_i32 v11, 31, v10 :: v_dual_ashrrev_i32 v13, 31, v12
	s_delay_alu instid0(VALU_DEP_3) | instskip(NEXT) | instid1(VALU_DEP_4)
	v_dual_mov_b32 v1, 0 :: v_dual_lshlrev_b32 v20, 3, v32
	v_dual_add_nc_u32 v22, 16, v14 :: v_dual_lshlrev_b32 v0, 3, v5
	s_delay_alu instid0(VALU_DEP_3) | instskip(NEXT) | instid1(VALU_DEP_4)
	v_mul_u64_e32 v[16:17], s[26:27], v[10:11]
	v_mul_u64_e32 v[18:19], s[2:3], v[12:13]
	s_delay_alu instid0(VALU_DEP_4) | instskip(SKIP_3) | instid1(VALU_DEP_3)
	v_lshl_or_b32 v7, v4, 6, v20
	v_dual_mov_b32 v21, v1 :: v_dual_add_nc_u32 v6, s29, v6
	v_ashrrev_i32_e32 v23, 31, v22
	s_mov_b32 s0, s18
	v_add_nc_u32_e32 v37, 0x800, v7
	s_delay_alu instid0(VALU_DEP_3)
	v_dual_add_nc_u32 v8, 16, v6 :: v_dual_ashrrev_i32 v7, 31, v6
	v_ashrrev_i32_e32 v15, 31, v14
	v_cmp_neq_f64_e64 s28, s[6:7], 0
	v_lshl_add_u32 v34, v2, 6, 0x800
	v_lshl_or_b32 v36, v35, 8, v0
	v_ashrrev_i32_e32 v9, 31, v8
	v_mul_u64_e32 v[2:3], s[0:1], v[14:15]
	v_lshlrev_b32_e32 v0, 3, v35
	v_mul_u64_e32 v[4:5], s[0:1], v[22:23]
	s_cmp_gt_i32 s21, 0
	v_cmp_gt_i32_e32 vcc_lo, s20, v14
	s_cselect_b32 s18, -1, 0
	s_lshl_b64 s[12:13], s[12:13], 3
	s_lshl_b64 s[26:27], s[4:5], 3
	v_cmp_le_i32_e64 s2, v6, v14
	v_cmp_gt_i32_e64 s0, s20, v10
	v_cmp_le_i32_e64 s3, v8, v14
	v_cmp_gt_i32_e64 s1, s20, v12
	s_and_b32 s4, vcc_lo, s2
	v_cmp_le_i32_e64 s2, v6, v22
	s_and_b32 s5, vcc_lo, s3
	v_cmp_gt_i32_e32 vcc_lo, s20, v22
	v_lshl_add_u64 v[10:11], v[16:17], 3, s[12:13]
	v_lshl_add_u64 v[12:13], v[18:19], 3, s[26:27]
	v_cmp_le_i32_e64 s3, v8, v22
	s_and_b32 s12, s30, s18
	s_and_b32 s13, vcc_lo, s2
	v_add_nc_u64_e32 v[10:11], v[10:11], v[0:1]
	v_add_nc_u64_e32 v[12:13], v[12:13], v[20:21]
	s_and_b32 s18, vcc_lo, s3
	s_lshl_b64 s[2:3], s[24:25], 3
	s_branch .LBB345_6
.LBB345_5:                              ;   in Loop: Header=BB345_6 Depth=1
	s_wait_xcnt 0x0
	s_or_b32 exec_lo, exec_lo, s20
	s_add_co_i32 s22, s22, 0x10000
	s_delay_alu instid0(SALU_CYCLE_1)
	s_cmp_lt_u32 s22, s19
	s_cbranch_scc0 .LBB345_33
.LBB345_6:                              ; =>This Loop Header: Depth=1
                                        ;     Child Loop BB345_9 Depth 2
	v_mov_b32_e32 v0, s22
	v_mov_b64_e32 v[22:23], 0
	v_mov_b64_e32 v[18:19], 0
	;; [unrolled: 1-line block ×4, first 2 shown]
	global_load_b64 v[20:21], v0, s[16:17] scale_offset
	s_and_not1_b32 vcc_lo, exec_lo, s12
	s_cbranch_vccnz .LBB345_13
; %bb.7:                                ;   in Loop: Header=BB345_6 Depth=1
	s_lshl_b64 s[24:25], s[22:23], 3
	v_mov_b64_e32 v[14:15], 0
	s_add_nc_u64 s[26:27], s[10:11], s[24:25]
	s_add_nc_u64 s[24:25], s[14:15], s[24:25]
	s_clause 0x1
	global_load_b64 v[22:23], v1, s[26:27]
	global_load_b64 v[26:27], v1, s[24:25]
	v_mov_b64_e32 v[16:17], 0
	v_mov_b64_e32 v[18:19], 0
	s_mov_b32 s20, 0
	s_wait_loadcnt 0x1
	v_add_nc_u64_e32 v[24:25], v[22:23], v[10:11]
	s_wait_loadcnt 0x0
	v_add_nc_u64_e32 v[26:27], v[26:27], v[12:13]
	v_mov_b64_e32 v[22:23], 0
	s_branch .LBB345_9
.LBB345_8:                              ;   in Loop: Header=BB345_9 Depth=2
	s_wait_xcnt 0x0
	s_or_b32 exec_lo, exec_lo, s24
	s_wait_loadcnt_dscnt 0x0
	ds_store_b64 v37, v[30:31]
	s_wait_dscnt 0x0
	s_barrier_signal -1
	s_barrier_wait -1
	ds_load_b128 v[28:31], v34
	ds_load_2addr_b64 v[38:41], v33 offset1:16
	ds_load_b128 v[42:45], v34 offset:1024
	ds_load_b128 v[46:49], v34 offset:16
	;; [unrolled: 1-line block ×3, first 2 shown]
	v_add_nc_u64_e32 v[24:25], 64, v[24:25]
	v_add_nc_u64_e32 v[26:27], 64, v[26:27]
	s_add_co_i32 s20, s20, 8
	s_delay_alu instid0(SALU_CYCLE_1)
	s_cmp_lt_i32 s20, s21
	s_wait_dscnt 0x3
	v_fmac_f64_e32 v[22:23], v[38:39], v[28:29]
	v_fmac_f64_e32 v[18:19], v[40:41], v[28:29]
	s_wait_dscnt 0x2
	v_fmac_f64_e32 v[16:17], v[38:39], v[42:43]
	v_fmac_f64_e32 v[14:15], v[40:41], v[42:43]
	ds_load_2addr_b64 v[38:41], v33 offset0:32 offset1:48
	s_wait_dscnt 0x0
	v_fmac_f64_e32 v[22:23], v[38:39], v[30:31]
	v_fmac_f64_e32 v[18:19], v[40:41], v[30:31]
	v_fmac_f64_e32 v[16:17], v[38:39], v[44:45]
	v_fmac_f64_e32 v[14:15], v[40:41], v[44:45]
	ds_load_2addr_b64 v[28:31], v33 offset0:64 offset1:80
	s_wait_dscnt 0x0
	v_fmac_f64_e32 v[22:23], v[28:29], v[46:47]
	v_fmac_f64_e32 v[18:19], v[30:31], v[46:47]
	;; [unrolled: 6-line block ×3, first 2 shown]
	v_fmac_f64_e32 v[16:17], v[28:29], v[52:53]
	v_fmac_f64_e32 v[14:15], v[30:31], v[52:53]
	ds_load_b128 v[28:31], v34 offset:32
	ds_load_2addr_b64 v[38:41], v33 offset0:128 offset1:144
	ds_load_b128 v[42:45], v34 offset:1056
	ds_load_b128 v[46:49], v34 offset:48
	;; [unrolled: 1-line block ×3, first 2 shown]
	s_wait_dscnt 0x3
	v_fmac_f64_e32 v[22:23], v[38:39], v[28:29]
	v_fmac_f64_e32 v[18:19], v[40:41], v[28:29]
	s_wait_dscnt 0x2
	v_fmac_f64_e32 v[16:17], v[38:39], v[42:43]
	v_fmac_f64_e32 v[14:15], v[40:41], v[42:43]
	ds_load_2addr_b64 v[38:41], v33 offset0:160 offset1:176
	s_wait_dscnt 0x0
	v_fmac_f64_e32 v[22:23], v[38:39], v[30:31]
	v_fmac_f64_e32 v[18:19], v[40:41], v[30:31]
	;; [unrolled: 1-line block ×4, first 2 shown]
	ds_load_2addr_b64 v[28:31], v33 offset0:192 offset1:208
	s_wait_dscnt 0x0
	v_fmac_f64_e32 v[22:23], v[28:29], v[46:47]
	v_fmac_f64_e32 v[18:19], v[30:31], v[46:47]
	;; [unrolled: 1-line block ×4, first 2 shown]
	ds_load_2addr_b64 v[28:31], v33 offset0:224 offset1:240
	s_wait_dscnt 0x0
	s_barrier_signal -1
	s_barrier_wait -1
	v_fmac_f64_e32 v[22:23], v[28:29], v[48:49]
	v_fmac_f64_e32 v[18:19], v[30:31], v[48:49]
	;; [unrolled: 1-line block ×4, first 2 shown]
	s_cbranch_scc0 .LBB345_13
.LBB345_9:                              ;   Parent Loop BB345_6 Depth=1
                                        ; =>  This Inner Loop Header: Depth=2
	s_wait_xcnt 0x2
	v_add_nc_u32_e32 v0, s20, v35
	v_mov_b64_e32 v[28:29], 0
	s_delay_alu instid0(VALU_DEP_2) | instskip(SKIP_2) | instid1(SALU_CYCLE_1)
	v_cmp_gt_i32_e32 vcc_lo, s21, v0
	s_wait_xcnt 0x0
	s_and_b32 s25, s0, vcc_lo
	s_and_saveexec_b32 s24, s25
	s_cbranch_execz .LBB345_11
; %bb.10:                               ;   in Loop: Header=BB345_9 Depth=2
	flat_load_b64 v[28:29], v[24:25]
.LBB345_11:                             ;   in Loop: Header=BB345_9 Depth=2
	s_wait_xcnt 0x0
	s_or_b32 exec_lo, exec_lo, s24
	v_add_nc_u32_e32 v0, s20, v32
	v_mov_b64_e32 v[30:31], 0
	s_wait_loadcnt_dscnt 0x0
	ds_store_b64 v36, v[28:29]
	v_cmp_gt_i32_e32 vcc_lo, s21, v0
	s_and_b32 s25, vcc_lo, s1
	s_delay_alu instid0(SALU_CYCLE_1)
	s_and_saveexec_b32 s24, s25
	s_cbranch_execz .LBB345_8
; %bb.12:                               ;   in Loop: Header=BB345_9 Depth=2
	flat_load_b64 v[30:31], v[26:27]
	s_branch .LBB345_8
.LBB345_13:                             ;   in Loop: Header=BB345_6 Depth=1
	s_wait_loadcnt 0x0
	v_add_nc_u64_e32 v[20:21], s[2:3], v[20:21]
	s_delay_alu instid0(VALU_DEP_1)
	v_lshl_add_u64 v[24:25], v[2:3], 3, v[20:21]
	s_wait_xcnt 0x0
	s_and_saveexec_b32 s20, s4
	s_cbranch_execz .LBB345_17
; %bb.14:                               ;   in Loop: Header=BB345_6 Depth=1
	v_mul_f64_e32 v[22:23], s[8:9], v[22:23]
	v_lshl_add_u64 v[26:27], v[6:7], 3, v[24:25]
	s_and_b32 vcc_lo, exec_lo, s28
	s_cbranch_vccz .LBB345_28
; %bb.15:                               ;   in Loop: Header=BB345_6 Depth=1
	flat_load_b64 v[28:29], v[26:27]
	s_wait_loadcnt_dscnt 0x0
	v_fma_f64 v[28:29], s[6:7], v[28:29], v[22:23]
	flat_store_b64 v[26:27], v[28:29]
	s_cbranch_execnz .LBB345_17
.LBB345_16:                             ;   in Loop: Header=BB345_6 Depth=1
	flat_store_b64 v[26:27], v[22:23]
.LBB345_17:                             ;   in Loop: Header=BB345_6 Depth=1
	s_wait_xcnt 0x0
	s_or_b32 exec_lo, exec_lo, s20
	s_and_saveexec_b32 s20, s5
	s_cbranch_execz .LBB345_21
; %bb.18:                               ;   in Loop: Header=BB345_6 Depth=1
	v_mul_f64_e32 v[18:19], s[8:9], v[18:19]
	v_lshl_add_u64 v[22:23], v[8:9], 3, v[24:25]
	s_and_not1_b32 vcc_lo, exec_lo, s28
	s_cbranch_vccnz .LBB345_29
; %bb.19:                               ;   in Loop: Header=BB345_6 Depth=1
	flat_load_b64 v[24:25], v[22:23]
	s_wait_loadcnt_dscnt 0x0
	v_fma_f64 v[24:25], s[6:7], v[24:25], v[18:19]
	flat_store_b64 v[22:23], v[24:25]
	s_cbranch_execnz .LBB345_21
.LBB345_20:                             ;   in Loop: Header=BB345_6 Depth=1
	flat_store_b64 v[22:23], v[18:19]
.LBB345_21:                             ;   in Loop: Header=BB345_6 Depth=1
	s_wait_xcnt 0x0
	s_or_b32 exec_lo, exec_lo, s20
	v_lshl_add_u64 v[18:19], v[4:5], 3, v[20:21]
	s_and_saveexec_b32 s20, s13
	s_cbranch_execz .LBB345_25
; %bb.22:                               ;   in Loop: Header=BB345_6 Depth=1
	v_mul_f64_e32 v[16:17], s[8:9], v[16:17]
	s_delay_alu instid0(VALU_DEP_2)
	v_lshl_add_u64 v[20:21], v[6:7], 3, v[18:19]
	s_and_not1_b32 vcc_lo, exec_lo, s28
	s_cbranch_vccnz .LBB345_30
; %bb.23:                               ;   in Loop: Header=BB345_6 Depth=1
	flat_load_b64 v[22:23], v[20:21]
	s_wait_loadcnt_dscnt 0x0
	v_fma_f64 v[22:23], s[6:7], v[22:23], v[16:17]
	flat_store_b64 v[20:21], v[22:23]
	s_cbranch_execnz .LBB345_25
.LBB345_24:                             ;   in Loop: Header=BB345_6 Depth=1
	flat_store_b64 v[20:21], v[16:17]
.LBB345_25:                             ;   in Loop: Header=BB345_6 Depth=1
	s_wait_xcnt 0x0
	s_or_b32 exec_lo, exec_lo, s20
	s_and_saveexec_b32 s20, s18
	s_cbranch_execz .LBB345_5
; %bb.26:                               ;   in Loop: Header=BB345_6 Depth=1
	s_delay_alu instid0(VALU_DEP_4)
	v_mul_f64_e32 v[14:15], s[8:9], v[14:15]
	v_lshl_add_u64 v[16:17], v[8:9], 3, v[18:19]
	s_and_not1_b32 vcc_lo, exec_lo, s28
	s_cbranch_vccnz .LBB345_31
; %bb.27:                               ;   in Loop: Header=BB345_6 Depth=1
	flat_load_b64 v[18:19], v[16:17]
	s_wait_loadcnt_dscnt 0x0
	v_fma_f64 v[18:19], s[6:7], v[18:19], v[14:15]
	flat_store_b64 v[16:17], v[18:19]
	s_cbranch_execnz .LBB345_5
	s_branch .LBB345_32
.LBB345_28:                             ;   in Loop: Header=BB345_6 Depth=1
	s_branch .LBB345_16
.LBB345_29:                             ;   in Loop: Header=BB345_6 Depth=1
	s_branch .LBB345_20
.LBB345_30:                             ;   in Loop: Header=BB345_6 Depth=1
	s_branch .LBB345_24
.LBB345_31:                             ;   in Loop: Header=BB345_6 Depth=1
.LBB345_32:                             ;   in Loop: Header=BB345_6 Depth=1
	flat_store_b64 v[16:17], v[14:15]
	s_branch .LBB345_5
.LBB345_33:
	s_endpgm
	.section	.rodata,"a",@progbits
	.p2align	6, 0x0
	.amdhsa_kernel _ZL29rocblas_internal_gemmt_kernelIiLi16ELi32ELi8ELc84ELc78ELc85ELb0ELb0EddPKPKdPKPdEviT_T9_T10_S7_lS9_S7_lS8_T11_S7_li
		.amdhsa_group_segment_fixed_size 4096
		.amdhsa_private_segment_fixed_size 0
		.amdhsa_kernarg_size 100
		.amdhsa_user_sgpr_count 2
		.amdhsa_user_sgpr_dispatch_ptr 0
		.amdhsa_user_sgpr_queue_ptr 0
		.amdhsa_user_sgpr_kernarg_segment_ptr 1
		.amdhsa_user_sgpr_dispatch_id 0
		.amdhsa_user_sgpr_kernarg_preload_length 0
		.amdhsa_user_sgpr_kernarg_preload_offset 0
		.amdhsa_user_sgpr_private_segment_size 0
		.amdhsa_wavefront_size32 1
		.amdhsa_uses_dynamic_stack 0
		.amdhsa_enable_private_segment 0
		.amdhsa_system_sgpr_workgroup_id_x 1
		.amdhsa_system_sgpr_workgroup_id_y 1
		.amdhsa_system_sgpr_workgroup_id_z 1
		.amdhsa_system_sgpr_workgroup_info 0
		.amdhsa_system_vgpr_workitem_id 1
		.amdhsa_next_free_vgpr 54
		.amdhsa_next_free_sgpr 34
		.amdhsa_named_barrier_count 0
		.amdhsa_reserve_vcc 1
		.amdhsa_float_round_mode_32 0
		.amdhsa_float_round_mode_16_64 0
		.amdhsa_float_denorm_mode_32 3
		.amdhsa_float_denorm_mode_16_64 3
		.amdhsa_fp16_overflow 0
		.amdhsa_memory_ordered 1
		.amdhsa_forward_progress 1
		.amdhsa_inst_pref_size 14
		.amdhsa_round_robin_scheduling 0
		.amdhsa_exception_fp_ieee_invalid_op 0
		.amdhsa_exception_fp_denorm_src 0
		.amdhsa_exception_fp_ieee_div_zero 0
		.amdhsa_exception_fp_ieee_overflow 0
		.amdhsa_exception_fp_ieee_underflow 0
		.amdhsa_exception_fp_ieee_inexact 0
		.amdhsa_exception_int_div_zero 0
	.end_amdhsa_kernel
	.section	.text._ZL29rocblas_internal_gemmt_kernelIiLi16ELi32ELi8ELc84ELc78ELc85ELb0ELb0EddPKPKdPKPdEviT_T9_T10_S7_lS9_S7_lS8_T11_S7_li,"axG",@progbits,_ZL29rocblas_internal_gemmt_kernelIiLi16ELi32ELi8ELc84ELc78ELc85ELb0ELb0EddPKPKdPKPdEviT_T9_T10_S7_lS9_S7_lS8_T11_S7_li,comdat
.Lfunc_end345:
	.size	_ZL29rocblas_internal_gemmt_kernelIiLi16ELi32ELi8ELc84ELc78ELc85ELb0ELb0EddPKPKdPKPdEviT_T9_T10_S7_lS9_S7_lS8_T11_S7_li, .Lfunc_end345-_ZL29rocblas_internal_gemmt_kernelIiLi16ELi32ELi8ELc84ELc78ELc85ELb0ELb0EddPKPKdPKPdEviT_T9_T10_S7_lS9_S7_lS8_T11_S7_li
                                        ; -- End function
	.set _ZL29rocblas_internal_gemmt_kernelIiLi16ELi32ELi8ELc84ELc78ELc85ELb0ELb0EddPKPKdPKPdEviT_T9_T10_S7_lS9_S7_lS8_T11_S7_li.num_vgpr, 54
	.set _ZL29rocblas_internal_gemmt_kernelIiLi16ELi32ELi8ELc84ELc78ELc85ELb0ELb0EddPKPKdPKPdEviT_T9_T10_S7_lS9_S7_lS8_T11_S7_li.num_agpr, 0
	.set _ZL29rocblas_internal_gemmt_kernelIiLi16ELi32ELi8ELc84ELc78ELc85ELb0ELb0EddPKPKdPKPdEviT_T9_T10_S7_lS9_S7_lS8_T11_S7_li.numbered_sgpr, 34
	.set _ZL29rocblas_internal_gemmt_kernelIiLi16ELi32ELi8ELc84ELc78ELc85ELb0ELb0EddPKPKdPKPdEviT_T9_T10_S7_lS9_S7_lS8_T11_S7_li.num_named_barrier, 0
	.set _ZL29rocblas_internal_gemmt_kernelIiLi16ELi32ELi8ELc84ELc78ELc85ELb0ELb0EddPKPKdPKPdEviT_T9_T10_S7_lS9_S7_lS8_T11_S7_li.private_seg_size, 0
	.set _ZL29rocblas_internal_gemmt_kernelIiLi16ELi32ELi8ELc84ELc78ELc85ELb0ELb0EddPKPKdPKPdEviT_T9_T10_S7_lS9_S7_lS8_T11_S7_li.uses_vcc, 1
	.set _ZL29rocblas_internal_gemmt_kernelIiLi16ELi32ELi8ELc84ELc78ELc85ELb0ELb0EddPKPKdPKPdEviT_T9_T10_S7_lS9_S7_lS8_T11_S7_li.uses_flat_scratch, 0
	.set _ZL29rocblas_internal_gemmt_kernelIiLi16ELi32ELi8ELc84ELc78ELc85ELb0ELb0EddPKPKdPKPdEviT_T9_T10_S7_lS9_S7_lS8_T11_S7_li.has_dyn_sized_stack, 0
	.set _ZL29rocblas_internal_gemmt_kernelIiLi16ELi32ELi8ELc84ELc78ELc85ELb0ELb0EddPKPKdPKPdEviT_T9_T10_S7_lS9_S7_lS8_T11_S7_li.has_recursion, 0
	.set _ZL29rocblas_internal_gemmt_kernelIiLi16ELi32ELi8ELc84ELc78ELc85ELb0ELb0EddPKPKdPKPdEviT_T9_T10_S7_lS9_S7_lS8_T11_S7_li.has_indirect_call, 0
	.section	.AMDGPU.csdata,"",@progbits
; Kernel info:
; codeLenInByte = 1680
; TotalNumSgprs: 36
; NumVgprs: 54
; ScratchSize: 0
; MemoryBound: 0
; FloatMode: 240
; IeeeMode: 1
; LDSByteSize: 4096 bytes/workgroup (compile time only)
; SGPRBlocks: 0
; VGPRBlocks: 3
; NumSGPRsForWavesPerEU: 36
; NumVGPRsForWavesPerEU: 54
; NamedBarCnt: 0
; Occupancy: 16
; WaveLimiterHint : 1
; COMPUTE_PGM_RSRC2:SCRATCH_EN: 0
; COMPUTE_PGM_RSRC2:USER_SGPR: 2
; COMPUTE_PGM_RSRC2:TRAP_HANDLER: 0
; COMPUTE_PGM_RSRC2:TGID_X_EN: 1
; COMPUTE_PGM_RSRC2:TGID_Y_EN: 1
; COMPUTE_PGM_RSRC2:TGID_Z_EN: 1
; COMPUTE_PGM_RSRC2:TIDIG_COMP_CNT: 1
	.section	.text._ZL29rocblas_internal_gemmt_kernelIiLi16ELi32ELi8ELc84ELc84ELc85ELb0ELb0EddPKPKdPKPdEviT_T9_T10_S7_lS9_S7_lS8_T11_S7_li,"axG",@progbits,_ZL29rocblas_internal_gemmt_kernelIiLi16ELi32ELi8ELc84ELc84ELc85ELb0ELb0EddPKPKdPKPdEviT_T9_T10_S7_lS9_S7_lS8_T11_S7_li,comdat
	.globl	_ZL29rocblas_internal_gemmt_kernelIiLi16ELi32ELi8ELc84ELc84ELc85ELb0ELb0EddPKPKdPKPdEviT_T9_T10_S7_lS9_S7_lS8_T11_S7_li ; -- Begin function _ZL29rocblas_internal_gemmt_kernelIiLi16ELi32ELi8ELc84ELc84ELc85ELb0ELb0EddPKPKdPKPdEviT_T9_T10_S7_lS9_S7_lS8_T11_S7_li
	.p2align	8
	.type	_ZL29rocblas_internal_gemmt_kernelIiLi16ELi32ELi8ELc84ELc84ELc85ELb0ELb0EddPKPKdPKPdEviT_T9_T10_S7_lS9_S7_lS8_T11_S7_li,@function
_ZL29rocblas_internal_gemmt_kernelIiLi16ELi32ELi8ELc84ELc84ELc85ELb0ELb0EddPKPKdPKPdEviT_T9_T10_S7_lS9_S7_lS8_T11_S7_li: ; @_ZL29rocblas_internal_gemmt_kernelIiLi16ELi32ELi8ELc84ELc84ELc85ELb0ELb0EddPKPKdPKPdEviT_T9_T10_S7_lS9_S7_lS8_T11_S7_li
; %bb.0:
	s_clause 0x2
	s_load_b128 s[4:7], s[0:1], 0x38
	s_load_b64 s[20:21], s[0:1], 0x0
	s_load_b128 s[8:11], s[0:1], 0x8
	s_wait_kmcnt 0x0
	v_cmp_neq_f64_e64 s2, s[6:7], 1.0
	s_and_b32 vcc_lo, exec_lo, s2
	s_cbranch_vccnz .LBB346_2
; %bb.1:
	v_cmp_neq_f64_e64 s2, s[8:9], 0
	s_cmp_lg_u32 s21, 0
	s_cselect_b32 s3, -1, 0
	s_delay_alu instid0(SALU_CYCLE_1)
	s_and_b32 s2, s3, s2
.LBB346_2:
	s_delay_alu instid0(SALU_CYCLE_1)
	s_and_not1_b32 vcc_lo, exec_lo, s2
	s_cbranch_vccnz .LBB346_33
; %bb.3:
	s_load_b32 s19, s[0:1], 0x60
	s_bfe_u32 s2, ttmp6, 0x40014
	s_lshr_b32 s3, ttmp7, 16
	s_add_co_i32 s2, s2, 1
	s_bfe_u32 s12, ttmp6, 0x40008
	s_mul_i32 s2, s3, s2
	s_getreg_b32 s28, hwreg(HW_REG_IB_STS2, 6, 4)
	s_add_co_i32 s12, s12, s2
	s_cmp_eq_u32 s28, 0
	s_mov_b32 s23, 0
	s_cselect_b32 s22, s3, s12
	s_wait_kmcnt 0x0
	s_cmp_ge_u32 s22, s19
	s_cbranch_scc1 .LBB346_33
; %bb.4:
	s_clause 0x3
	s_load_b32 s2, s[0:1], 0x18
	s_load_b32 s24, s[0:1], 0x30
	s_load_b96 s[16:18], s[0:1], 0x48
	s_load_b128 s[12:15], s[0:1], 0x20
	v_and_b32_e32 v2, 0x3ff, v0
	v_bfe_u32 v11, v0, 10, 10
	s_load_b64 s[26:27], s[0:1], 0x58
	s_wait_xcnt 0x0
	s_bfe_u32 s1, ttmp6, 0x4000c
	s_bfe_u32 s3, ttmp6, 0x40010
	s_and_b32 s30, ttmp7, 0xffff
	s_add_co_i32 s1, s1, 1
	s_add_co_i32 s3, s3, 1
	v_lshl_add_u32 v1, v11, 4, v2
	s_and_b32 s0, ttmp6, 15
	s_bfe_u32 s31, ttmp6, 0x40004
	s_mul_i32 s1, ttmp9, s1
	s_mul_i32 s33, s30, s3
	s_add_co_i32 s0, s0, s1
	s_add_co_i32 s31, s31, s33
	v_dual_lshrrev_b32 v34, 5, v1 :: v_dual_bitop2_b32 v6, 31, v1 bitop3:0x40
	s_wait_kmcnt 0x0
	s_ashr_i32 s3, s2, 31
	s_ashr_i32 s25, s24, 31
	;; [unrolled: 1-line block ×3, first 2 shown]
	s_cmp_eq_u32 s28, 0
	v_dual_mov_b32 v3, 0 :: v_dual_bitop2_b32 v0, 7, v0 bitop3:0x40
	s_cselect_b32 s0, ttmp9, s0
	s_cselect_b32 s1, s30, s31
	s_lshl_b32 s30, s0, 5
	s_delay_alu instid0(SALU_CYCLE_1) | instskip(SKIP_1) | instid1(SALU_CYCLE_1)
	v_dual_lshrrev_b32 v7, 3, v1 :: v_dual_bitop2_b32 v4, s30, v6 bitop3:0x54
	s_lshl_b32 s0, s1, 5
	v_dual_mov_b32 v1, v3 :: v_dual_add_nc_u32 v12, s0, v11
	s_delay_alu instid0(VALU_DEP_2) | instskip(SKIP_1) | instid1(VALU_DEP_3)
	v_dual_add_nc_u32 v14, s0, v7 :: v_dual_ashrrev_i32 v5, 31, v4
	v_cmp_gt_i32_e64 s0, s20, v4
	v_mul_u64_e32 v[18:19], s[24:25], v[0:1]
	s_delay_alu instid0(VALU_DEP_4) | instskip(SKIP_3) | instid1(VALU_DEP_4)
	v_add_nc_u32_e32 v20, 16, v12
	v_lshlrev_b32_e32 v1, 3, v0
	v_mul_u64_e32 v[16:17], s[2:3], v[4:5]
	v_dual_lshlrev_b32 v5, 3, v6 :: v_dual_ashrrev_i32 v13, 31, v12
	v_dual_ashrrev_i32 v21, 31, v20 :: v_dual_lshlrev_b32 v36, 3, v2
	v_add_nc_u32_e32 v4, s30, v2
	v_lshl_or_b32 v15, v7, 6, v1
	s_mov_b32 s28, s18
	v_cmp_neq_f64_e64 s31, s[8:9], 0
	v_cmp_neq_f64_e64 s18, s[6:7], 0
	v_mul_u64_e32 v[8:9], s[28:29], v[20:21]
	v_add_nc_u32_e32 v35, 0x800, v15
	v_ashrrev_i32_e32 v15, 31, v14
	v_mul_u64_e32 v[6:7], s[28:29], v[12:13]
	v_add_nc_u32_e32 v10, 16, v4
	v_lshl_or_b32 v1, v34, 8, v5
	v_cmp_gt_i32_e32 vcc_lo, s20, v12
	v_cmp_le_i32_e64 s2, v4, v12
	v_ashrrev_i32_e32 v5, 31, v4
	v_cmp_le_i32_e64 s3, v10, v12
	s_cmp_gt_i32 s21, 0
	v_lshlrev_b32_e32 v2, 3, v34
	s_cselect_b32 s33, -1, 0
	s_lshl_b64 s[12:13], s[12:13], 3
	s_and_b32 s28, vcc_lo, s2
	s_and_b32 s29, vcc_lo, s3
	v_cmp_gt_i32_e32 vcc_lo, s20, v20
	v_cmp_le_i32_e64 s2, v4, v20
	s_lshl_b64 s[4:5], s[4:5], 3
	v_cmp_gt_i32_e64 s1, s20, v14
	v_lshl_add_u32 v37, v11, 6, 0x800
	v_ashrrev_i32_e32 v11, 31, v10
	v_lshl_add_u64 v[12:13], v[16:17], 3, s[12:13]
	v_lshl_add_u64 v[16:17], v[18:19], 3, s[4:5]
	s_and_b32 s12, vcc_lo, s2
	v_cmp_le_i32_e64 s2, v10, v20
	s_lshl_b64 s[4:5], s[26:27], 3
	v_add_nc_u64_e32 v[12:13], v[12:13], v[2:3]
	v_lshl_add_u64 v[14:15], v[14:15], 3, v[16:17]
	s_and_b32 s13, s31, s33
	s_and_b32 s20, vcc_lo, s2
	s_lshl_b64 s[2:3], s[24:25], 6
	s_branch .LBB346_6
.LBB346_5:                              ;   in Loop: Header=BB346_6 Depth=1
	s_wait_xcnt 0x0
	s_or_b32 exec_lo, exec_lo, s24
	s_add_co_i32 s22, s22, 0x10000
	s_delay_alu instid0(SALU_CYCLE_1)
	s_cmp_lt_u32 s22, s19
	s_cbranch_scc0 .LBB346_33
.LBB346_6:                              ; =>This Loop Header: Depth=1
                                        ;     Child Loop BB346_9 Depth 2
	v_mov_b32_e32 v2, s22
	v_mov_b64_e32 v[24:25], 0
	v_mov_b64_e32 v[20:21], 0
	;; [unrolled: 1-line block ×4, first 2 shown]
	global_load_b64 v[22:23], v2, s[16:17] scale_offset
	s_and_not1_b32 vcc_lo, exec_lo, s13
	s_cbranch_vccnz .LBB346_13
; %bb.7:                                ;   in Loop: Header=BB346_6 Depth=1
	s_lshl_b64 s[24:25], s[22:23], 3
	v_mov_b64_e32 v[16:17], 0
	s_add_nc_u64 s[26:27], s[10:11], s[24:25]
	s_add_nc_u64 s[24:25], s[14:15], s[24:25]
	s_clause 0x1
	global_load_b64 v[24:25], v3, s[26:27]
	global_load_b64 v[28:29], v3, s[24:25]
	v_mov_b64_e32 v[18:19], 0
	v_mov_b64_e32 v[20:21], 0
	s_wait_xcnt 0x0
	s_mov_b32 s24, 0
	s_wait_loadcnt 0x1
	v_add_nc_u64_e32 v[26:27], v[24:25], v[12:13]
	s_wait_loadcnt 0x0
	v_add_nc_u64_e32 v[28:29], v[28:29], v[14:15]
	v_mov_b64_e32 v[24:25], 0
	s_branch .LBB346_9
.LBB346_8:                              ;   in Loop: Header=BB346_9 Depth=2
	s_wait_xcnt 0x0
	s_or_b32 exec_lo, exec_lo, s25
	s_wait_loadcnt_dscnt 0x0
	ds_store_b64 v35, v[32:33]
	s_wait_dscnt 0x0
	s_barrier_signal -1
	s_barrier_wait -1
	ds_load_b128 v[30:33], v37
	ds_load_2addr_b64 v[38:41], v36 offset1:16
	ds_load_b128 v[42:45], v37 offset:1024
	ds_load_b128 v[46:49], v37 offset:16
	ds_load_b128 v[50:53], v37 offset:1040
	v_add_nc_u64_e32 v[26:27], 64, v[26:27]
	v_add_nc_u64_e32 v[28:29], s[2:3], v[28:29]
	s_add_co_i32 s24, s24, 8
	s_delay_alu instid0(SALU_CYCLE_1)
	s_cmp_lt_i32 s24, s21
	s_wait_dscnt 0x3
	v_fmac_f64_e32 v[24:25], v[38:39], v[30:31]
	v_fmac_f64_e32 v[20:21], v[40:41], v[30:31]
	s_wait_dscnt 0x2
	v_fmac_f64_e32 v[18:19], v[38:39], v[42:43]
	v_fmac_f64_e32 v[16:17], v[40:41], v[42:43]
	ds_load_2addr_b64 v[38:41], v36 offset0:32 offset1:48
	s_wait_dscnt 0x0
	v_fmac_f64_e32 v[24:25], v[38:39], v[32:33]
	v_fmac_f64_e32 v[20:21], v[40:41], v[32:33]
	v_fmac_f64_e32 v[18:19], v[38:39], v[44:45]
	v_fmac_f64_e32 v[16:17], v[40:41], v[44:45]
	ds_load_2addr_b64 v[30:33], v36 offset0:64 offset1:80
	s_wait_dscnt 0x0
	v_fmac_f64_e32 v[24:25], v[30:31], v[46:47]
	v_fmac_f64_e32 v[20:21], v[32:33], v[46:47]
	;; [unrolled: 6-line block ×3, first 2 shown]
	v_fmac_f64_e32 v[18:19], v[30:31], v[52:53]
	v_fmac_f64_e32 v[16:17], v[32:33], v[52:53]
	ds_load_b128 v[30:33], v37 offset:32
	ds_load_2addr_b64 v[38:41], v36 offset0:128 offset1:144
	ds_load_b128 v[42:45], v37 offset:1056
	ds_load_b128 v[46:49], v37 offset:48
	;; [unrolled: 1-line block ×3, first 2 shown]
	s_wait_dscnt 0x3
	v_fmac_f64_e32 v[24:25], v[38:39], v[30:31]
	v_fmac_f64_e32 v[20:21], v[40:41], v[30:31]
	s_wait_dscnt 0x2
	v_fmac_f64_e32 v[18:19], v[38:39], v[42:43]
	v_fmac_f64_e32 v[16:17], v[40:41], v[42:43]
	ds_load_2addr_b64 v[38:41], v36 offset0:160 offset1:176
	s_wait_dscnt 0x0
	v_fmac_f64_e32 v[24:25], v[38:39], v[32:33]
	v_fmac_f64_e32 v[20:21], v[40:41], v[32:33]
	;; [unrolled: 1-line block ×4, first 2 shown]
	ds_load_2addr_b64 v[30:33], v36 offset0:192 offset1:208
	s_wait_dscnt 0x0
	v_fmac_f64_e32 v[24:25], v[30:31], v[46:47]
	v_fmac_f64_e32 v[20:21], v[32:33], v[46:47]
	;; [unrolled: 1-line block ×4, first 2 shown]
	ds_load_2addr_b64 v[30:33], v36 offset0:224 offset1:240
	s_wait_dscnt 0x0
	s_barrier_signal -1
	s_barrier_wait -1
	v_fmac_f64_e32 v[24:25], v[30:31], v[48:49]
	v_fmac_f64_e32 v[20:21], v[32:33], v[48:49]
	;; [unrolled: 1-line block ×4, first 2 shown]
	s_cbranch_scc0 .LBB346_13
.LBB346_9:                              ;   Parent Loop BB346_6 Depth=1
                                        ; =>  This Inner Loop Header: Depth=2
	v_add_nc_u32_e32 v2, s24, v34
	v_mov_b64_e32 v[30:31], 0
	s_delay_alu instid0(VALU_DEP_2) | instskip(SKIP_1) | instid1(SALU_CYCLE_1)
	v_cmp_gt_i32_e32 vcc_lo, s21, v2
	s_and_b32 s26, s0, vcc_lo
	s_and_saveexec_b32 s25, s26
	s_cbranch_execz .LBB346_11
; %bb.10:                               ;   in Loop: Header=BB346_9 Depth=2
	flat_load_b64 v[30:31], v[26:27]
.LBB346_11:                             ;   in Loop: Header=BB346_9 Depth=2
	s_wait_xcnt 0x0
	s_or_b32 exec_lo, exec_lo, s25
	v_add_nc_u32_e32 v2, s24, v0
	v_mov_b64_e32 v[32:33], 0
	s_wait_loadcnt_dscnt 0x0
	ds_store_b64 v1, v[30:31]
	v_cmp_gt_i32_e32 vcc_lo, s21, v2
	s_and_b32 s26, vcc_lo, s1
	s_delay_alu instid0(SALU_CYCLE_1)
	s_and_saveexec_b32 s25, s26
	s_cbranch_execz .LBB346_8
; %bb.12:                               ;   in Loop: Header=BB346_9 Depth=2
	flat_load_b64 v[32:33], v[28:29]
	s_branch .LBB346_8
.LBB346_13:                             ;   in Loop: Header=BB346_6 Depth=1
	s_wait_loadcnt 0x0
	v_add_nc_u64_e32 v[22:23], s[4:5], v[22:23]
	s_delay_alu instid0(VALU_DEP_1)
	v_lshl_add_u64 v[26:27], v[6:7], 3, v[22:23]
	s_wait_xcnt 0x0
	s_and_saveexec_b32 s24, s28
	s_cbranch_execz .LBB346_17
; %bb.14:                               ;   in Loop: Header=BB346_6 Depth=1
	v_mul_f64_e32 v[24:25], s[8:9], v[24:25]
	v_lshl_add_u64 v[28:29], v[4:5], 3, v[26:27]
	s_and_b32 vcc_lo, exec_lo, s18
	s_cbranch_vccz .LBB346_28
; %bb.15:                               ;   in Loop: Header=BB346_6 Depth=1
	flat_load_b64 v[30:31], v[28:29]
	s_wait_loadcnt_dscnt 0x0
	v_fma_f64 v[30:31], s[6:7], v[30:31], v[24:25]
	flat_store_b64 v[28:29], v[30:31]
	s_cbranch_execnz .LBB346_17
.LBB346_16:                             ;   in Loop: Header=BB346_6 Depth=1
	flat_store_b64 v[28:29], v[24:25]
.LBB346_17:                             ;   in Loop: Header=BB346_6 Depth=1
	s_wait_xcnt 0x0
	s_or_b32 exec_lo, exec_lo, s24
	s_and_saveexec_b32 s24, s29
	s_cbranch_execz .LBB346_21
; %bb.18:                               ;   in Loop: Header=BB346_6 Depth=1
	v_mul_f64_e32 v[20:21], s[8:9], v[20:21]
	v_lshl_add_u64 v[24:25], v[10:11], 3, v[26:27]
	s_and_not1_b32 vcc_lo, exec_lo, s18
	s_cbranch_vccnz .LBB346_29
; %bb.19:                               ;   in Loop: Header=BB346_6 Depth=1
	flat_load_b64 v[26:27], v[24:25]
	s_wait_loadcnt_dscnt 0x0
	v_fma_f64 v[26:27], s[6:7], v[26:27], v[20:21]
	flat_store_b64 v[24:25], v[26:27]
	s_cbranch_execnz .LBB346_21
.LBB346_20:                             ;   in Loop: Header=BB346_6 Depth=1
	flat_store_b64 v[24:25], v[20:21]
.LBB346_21:                             ;   in Loop: Header=BB346_6 Depth=1
	s_wait_xcnt 0x0
	s_or_b32 exec_lo, exec_lo, s24
	v_lshl_add_u64 v[20:21], v[8:9], 3, v[22:23]
	s_and_saveexec_b32 s24, s12
	s_cbranch_execz .LBB346_25
; %bb.22:                               ;   in Loop: Header=BB346_6 Depth=1
	v_mul_f64_e32 v[18:19], s[8:9], v[18:19]
	s_delay_alu instid0(VALU_DEP_2)
	v_lshl_add_u64 v[22:23], v[4:5], 3, v[20:21]
	s_and_not1_b32 vcc_lo, exec_lo, s18
	s_cbranch_vccnz .LBB346_30
; %bb.23:                               ;   in Loop: Header=BB346_6 Depth=1
	flat_load_b64 v[24:25], v[22:23]
	s_wait_loadcnt_dscnt 0x0
	v_fma_f64 v[24:25], s[6:7], v[24:25], v[18:19]
	flat_store_b64 v[22:23], v[24:25]
	s_cbranch_execnz .LBB346_25
.LBB346_24:                             ;   in Loop: Header=BB346_6 Depth=1
	flat_store_b64 v[22:23], v[18:19]
.LBB346_25:                             ;   in Loop: Header=BB346_6 Depth=1
	s_wait_xcnt 0x0
	s_or_b32 exec_lo, exec_lo, s24
	s_and_saveexec_b32 s24, s20
	s_cbranch_execz .LBB346_5
; %bb.26:                               ;   in Loop: Header=BB346_6 Depth=1
	s_delay_alu instid0(VALU_DEP_4)
	v_mul_f64_e32 v[16:17], s[8:9], v[16:17]
	v_lshl_add_u64 v[18:19], v[10:11], 3, v[20:21]
	s_and_not1_b32 vcc_lo, exec_lo, s18
	s_cbranch_vccnz .LBB346_31
; %bb.27:                               ;   in Loop: Header=BB346_6 Depth=1
	flat_load_b64 v[20:21], v[18:19]
	s_wait_loadcnt_dscnt 0x0
	v_fma_f64 v[20:21], s[6:7], v[20:21], v[16:17]
	flat_store_b64 v[18:19], v[20:21]
	s_cbranch_execnz .LBB346_5
	s_branch .LBB346_32
.LBB346_28:                             ;   in Loop: Header=BB346_6 Depth=1
	s_branch .LBB346_16
.LBB346_29:                             ;   in Loop: Header=BB346_6 Depth=1
	s_branch .LBB346_20
.LBB346_30:                             ;   in Loop: Header=BB346_6 Depth=1
	s_branch .LBB346_24
.LBB346_31:                             ;   in Loop: Header=BB346_6 Depth=1
.LBB346_32:                             ;   in Loop: Header=BB346_6 Depth=1
	flat_store_b64 v[18:19], v[16:17]
	s_branch .LBB346_5
.LBB346_33:
	s_endpgm
	.section	.rodata,"a",@progbits
	.p2align	6, 0x0
	.amdhsa_kernel _ZL29rocblas_internal_gemmt_kernelIiLi16ELi32ELi8ELc84ELc84ELc85ELb0ELb0EddPKPKdPKPdEviT_T9_T10_S7_lS9_S7_lS8_T11_S7_li
		.amdhsa_group_segment_fixed_size 4096
		.amdhsa_private_segment_fixed_size 0
		.amdhsa_kernarg_size 100
		.amdhsa_user_sgpr_count 2
		.amdhsa_user_sgpr_dispatch_ptr 0
		.amdhsa_user_sgpr_queue_ptr 0
		.amdhsa_user_sgpr_kernarg_segment_ptr 1
		.amdhsa_user_sgpr_dispatch_id 0
		.amdhsa_user_sgpr_kernarg_preload_length 0
		.amdhsa_user_sgpr_kernarg_preload_offset 0
		.amdhsa_user_sgpr_private_segment_size 0
		.amdhsa_wavefront_size32 1
		.amdhsa_uses_dynamic_stack 0
		.amdhsa_enable_private_segment 0
		.amdhsa_system_sgpr_workgroup_id_x 1
		.amdhsa_system_sgpr_workgroup_id_y 1
		.amdhsa_system_sgpr_workgroup_id_z 1
		.amdhsa_system_sgpr_workgroup_info 0
		.amdhsa_system_vgpr_workitem_id 1
		.amdhsa_next_free_vgpr 54
		.amdhsa_next_free_sgpr 34
		.amdhsa_named_barrier_count 0
		.amdhsa_reserve_vcc 1
		.amdhsa_float_round_mode_32 0
		.amdhsa_float_round_mode_16_64 0
		.amdhsa_float_denorm_mode_32 3
		.amdhsa_float_denorm_mode_16_64 3
		.amdhsa_fp16_overflow 0
		.amdhsa_memory_ordered 1
		.amdhsa_forward_progress 1
		.amdhsa_inst_pref_size 14
		.amdhsa_round_robin_scheduling 0
		.amdhsa_exception_fp_ieee_invalid_op 0
		.amdhsa_exception_fp_denorm_src 0
		.amdhsa_exception_fp_ieee_div_zero 0
		.amdhsa_exception_fp_ieee_overflow 0
		.amdhsa_exception_fp_ieee_underflow 0
		.amdhsa_exception_fp_ieee_inexact 0
		.amdhsa_exception_int_div_zero 0
	.end_amdhsa_kernel
	.section	.text._ZL29rocblas_internal_gemmt_kernelIiLi16ELi32ELi8ELc84ELc84ELc85ELb0ELb0EddPKPKdPKPdEviT_T9_T10_S7_lS9_S7_lS8_T11_S7_li,"axG",@progbits,_ZL29rocblas_internal_gemmt_kernelIiLi16ELi32ELi8ELc84ELc84ELc85ELb0ELb0EddPKPKdPKPdEviT_T9_T10_S7_lS9_S7_lS8_T11_S7_li,comdat
.Lfunc_end346:
	.size	_ZL29rocblas_internal_gemmt_kernelIiLi16ELi32ELi8ELc84ELc84ELc85ELb0ELb0EddPKPKdPKPdEviT_T9_T10_S7_lS9_S7_lS8_T11_S7_li, .Lfunc_end346-_ZL29rocblas_internal_gemmt_kernelIiLi16ELi32ELi8ELc84ELc84ELc85ELb0ELb0EddPKPKdPKPdEviT_T9_T10_S7_lS9_S7_lS8_T11_S7_li
                                        ; -- End function
	.set _ZL29rocblas_internal_gemmt_kernelIiLi16ELi32ELi8ELc84ELc84ELc85ELb0ELb0EddPKPKdPKPdEviT_T9_T10_S7_lS9_S7_lS8_T11_S7_li.num_vgpr, 54
	.set _ZL29rocblas_internal_gemmt_kernelIiLi16ELi32ELi8ELc84ELc84ELc85ELb0ELb0EddPKPKdPKPdEviT_T9_T10_S7_lS9_S7_lS8_T11_S7_li.num_agpr, 0
	.set _ZL29rocblas_internal_gemmt_kernelIiLi16ELi32ELi8ELc84ELc84ELc85ELb0ELb0EddPKPKdPKPdEviT_T9_T10_S7_lS9_S7_lS8_T11_S7_li.numbered_sgpr, 34
	.set _ZL29rocblas_internal_gemmt_kernelIiLi16ELi32ELi8ELc84ELc84ELc85ELb0ELb0EddPKPKdPKPdEviT_T9_T10_S7_lS9_S7_lS8_T11_S7_li.num_named_barrier, 0
	.set _ZL29rocblas_internal_gemmt_kernelIiLi16ELi32ELi8ELc84ELc84ELc85ELb0ELb0EddPKPKdPKPdEviT_T9_T10_S7_lS9_S7_lS8_T11_S7_li.private_seg_size, 0
	.set _ZL29rocblas_internal_gemmt_kernelIiLi16ELi32ELi8ELc84ELc84ELc85ELb0ELb0EddPKPKdPKPdEviT_T9_T10_S7_lS9_S7_lS8_T11_S7_li.uses_vcc, 1
	.set _ZL29rocblas_internal_gemmt_kernelIiLi16ELi32ELi8ELc84ELc84ELc85ELb0ELb0EddPKPKdPKPdEviT_T9_T10_S7_lS9_S7_lS8_T11_S7_li.uses_flat_scratch, 0
	.set _ZL29rocblas_internal_gemmt_kernelIiLi16ELi32ELi8ELc84ELc84ELc85ELb0ELb0EddPKPKdPKPdEviT_T9_T10_S7_lS9_S7_lS8_T11_S7_li.has_dyn_sized_stack, 0
	.set _ZL29rocblas_internal_gemmt_kernelIiLi16ELi32ELi8ELc84ELc84ELc85ELb0ELb0EddPKPKdPKPdEviT_T9_T10_S7_lS9_S7_lS8_T11_S7_li.has_recursion, 0
	.set _ZL29rocblas_internal_gemmt_kernelIiLi16ELi32ELi8ELc84ELc84ELc85ELb0ELb0EddPKPKdPKPdEviT_T9_T10_S7_lS9_S7_lS8_T11_S7_li.has_indirect_call, 0
	.section	.AMDGPU.csdata,"",@progbits
; Kernel info:
; codeLenInByte = 1672
; TotalNumSgprs: 36
; NumVgprs: 54
; ScratchSize: 0
; MemoryBound: 0
; FloatMode: 240
; IeeeMode: 1
; LDSByteSize: 4096 bytes/workgroup (compile time only)
; SGPRBlocks: 0
; VGPRBlocks: 3
; NumSGPRsForWavesPerEU: 36
; NumVGPRsForWavesPerEU: 54
; NamedBarCnt: 0
; Occupancy: 16
; WaveLimiterHint : 1
; COMPUTE_PGM_RSRC2:SCRATCH_EN: 0
; COMPUTE_PGM_RSRC2:USER_SGPR: 2
; COMPUTE_PGM_RSRC2:TRAP_HANDLER: 0
; COMPUTE_PGM_RSRC2:TGID_X_EN: 1
; COMPUTE_PGM_RSRC2:TGID_Y_EN: 1
; COMPUTE_PGM_RSRC2:TGID_Z_EN: 1
; COMPUTE_PGM_RSRC2:TIDIG_COMP_CNT: 1
	.section	.text._ZL29rocblas_internal_gemmt_kernelIiLi16ELi32ELi8ELc84ELc67ELc85ELb0ELb0EddPKPKdPKPdEviT_T9_T10_S7_lS9_S7_lS8_T11_S7_li,"axG",@progbits,_ZL29rocblas_internal_gemmt_kernelIiLi16ELi32ELi8ELc84ELc67ELc85ELb0ELb0EddPKPKdPKPdEviT_T9_T10_S7_lS9_S7_lS8_T11_S7_li,comdat
	.globl	_ZL29rocblas_internal_gemmt_kernelIiLi16ELi32ELi8ELc84ELc67ELc85ELb0ELb0EddPKPKdPKPdEviT_T9_T10_S7_lS9_S7_lS8_T11_S7_li ; -- Begin function _ZL29rocblas_internal_gemmt_kernelIiLi16ELi32ELi8ELc84ELc67ELc85ELb0ELb0EddPKPKdPKPdEviT_T9_T10_S7_lS9_S7_lS8_T11_S7_li
	.p2align	8
	.type	_ZL29rocblas_internal_gemmt_kernelIiLi16ELi32ELi8ELc84ELc67ELc85ELb0ELb0EddPKPKdPKPdEviT_T9_T10_S7_lS9_S7_lS8_T11_S7_li,@function
_ZL29rocblas_internal_gemmt_kernelIiLi16ELi32ELi8ELc84ELc67ELc85ELb0ELb0EddPKPKdPKPdEviT_T9_T10_S7_lS9_S7_lS8_T11_S7_li: ; @_ZL29rocblas_internal_gemmt_kernelIiLi16ELi32ELi8ELc84ELc67ELc85ELb0ELb0EddPKPKdPKPdEviT_T9_T10_S7_lS9_S7_lS8_T11_S7_li
; %bb.0:
	s_clause 0x2
	s_load_b128 s[4:7], s[0:1], 0x38
	s_load_b64 s[20:21], s[0:1], 0x0
	s_load_b128 s[8:11], s[0:1], 0x8
	s_wait_kmcnt 0x0
	v_cmp_neq_f64_e64 s2, s[6:7], 1.0
	s_and_b32 vcc_lo, exec_lo, s2
	s_cbranch_vccnz .LBB347_2
; %bb.1:
	v_cmp_neq_f64_e64 s2, s[8:9], 0
	s_cmp_lg_u32 s21, 0
	s_cselect_b32 s3, -1, 0
	s_delay_alu instid0(SALU_CYCLE_1)
	s_and_b32 s2, s3, s2
.LBB347_2:
	s_delay_alu instid0(SALU_CYCLE_1)
	s_and_not1_b32 vcc_lo, exec_lo, s2
	s_cbranch_vccnz .LBB347_33
; %bb.3:
	s_load_b32 s19, s[0:1], 0x60
	s_bfe_u32 s2, ttmp6, 0x40014
	s_lshr_b32 s3, ttmp7, 16
	s_add_co_i32 s2, s2, 1
	s_bfe_u32 s12, ttmp6, 0x40008
	s_mul_i32 s2, s3, s2
	s_getreg_b32 s28, hwreg(HW_REG_IB_STS2, 6, 4)
	s_add_co_i32 s12, s12, s2
	s_cmp_eq_u32 s28, 0
	s_mov_b32 s23, 0
	s_cselect_b32 s22, s3, s12
	s_wait_kmcnt 0x0
	s_cmp_ge_u32 s22, s19
	s_cbranch_scc1 .LBB347_33
; %bb.4:
	s_clause 0x3
	s_load_b32 s2, s[0:1], 0x18
	s_load_b32 s24, s[0:1], 0x30
	s_load_b96 s[16:18], s[0:1], 0x48
	s_load_b128 s[12:15], s[0:1], 0x20
	v_and_b32_e32 v2, 0x3ff, v0
	v_bfe_u32 v11, v0, 10, 10
	s_load_b64 s[26:27], s[0:1], 0x58
	s_wait_xcnt 0x0
	s_bfe_u32 s1, ttmp6, 0x4000c
	s_bfe_u32 s3, ttmp6, 0x40010
	s_and_b32 s30, ttmp7, 0xffff
	s_add_co_i32 s1, s1, 1
	s_add_co_i32 s3, s3, 1
	v_lshl_add_u32 v1, v11, 4, v2
	s_and_b32 s0, ttmp6, 15
	s_bfe_u32 s31, ttmp6, 0x40004
	s_mul_i32 s1, ttmp9, s1
	s_mul_i32 s33, s30, s3
	s_add_co_i32 s0, s0, s1
	s_add_co_i32 s31, s31, s33
	v_dual_lshrrev_b32 v34, 5, v1 :: v_dual_bitop2_b32 v6, 31, v1 bitop3:0x40
	s_wait_kmcnt 0x0
	s_ashr_i32 s3, s2, 31
	s_ashr_i32 s25, s24, 31
	;; [unrolled: 1-line block ×3, first 2 shown]
	s_cmp_eq_u32 s28, 0
	v_dual_mov_b32 v3, 0 :: v_dual_bitop2_b32 v0, 7, v0 bitop3:0x40
	s_cselect_b32 s0, ttmp9, s0
	s_cselect_b32 s1, s30, s31
	s_lshl_b32 s30, s0, 5
	s_delay_alu instid0(SALU_CYCLE_1) | instskip(SKIP_1) | instid1(SALU_CYCLE_1)
	v_dual_lshrrev_b32 v7, 3, v1 :: v_dual_bitop2_b32 v4, s30, v6 bitop3:0x54
	s_lshl_b32 s0, s1, 5
	v_dual_mov_b32 v1, v3 :: v_dual_add_nc_u32 v12, s0, v11
	s_delay_alu instid0(VALU_DEP_2) | instskip(SKIP_1) | instid1(VALU_DEP_3)
	v_dual_add_nc_u32 v14, s0, v7 :: v_dual_ashrrev_i32 v5, 31, v4
	v_cmp_gt_i32_e64 s0, s20, v4
	v_mul_u64_e32 v[18:19], s[24:25], v[0:1]
	s_delay_alu instid0(VALU_DEP_4) | instskip(SKIP_3) | instid1(VALU_DEP_4)
	v_add_nc_u32_e32 v20, 16, v12
	v_lshlrev_b32_e32 v1, 3, v0
	v_mul_u64_e32 v[16:17], s[2:3], v[4:5]
	v_dual_lshlrev_b32 v5, 3, v6 :: v_dual_ashrrev_i32 v13, 31, v12
	v_dual_ashrrev_i32 v21, 31, v20 :: v_dual_lshlrev_b32 v36, 3, v2
	v_add_nc_u32_e32 v4, s30, v2
	v_lshl_or_b32 v15, v7, 6, v1
	s_mov_b32 s28, s18
	v_cmp_neq_f64_e64 s31, s[8:9], 0
	v_cmp_neq_f64_e64 s18, s[6:7], 0
	v_mul_u64_e32 v[8:9], s[28:29], v[20:21]
	v_add_nc_u32_e32 v35, 0x800, v15
	v_ashrrev_i32_e32 v15, 31, v14
	v_mul_u64_e32 v[6:7], s[28:29], v[12:13]
	v_add_nc_u32_e32 v10, 16, v4
	v_lshl_or_b32 v1, v34, 8, v5
	v_cmp_gt_i32_e32 vcc_lo, s20, v12
	v_cmp_le_i32_e64 s2, v4, v12
	v_ashrrev_i32_e32 v5, 31, v4
	v_cmp_le_i32_e64 s3, v10, v12
	s_cmp_gt_i32 s21, 0
	v_lshlrev_b32_e32 v2, 3, v34
	s_cselect_b32 s33, -1, 0
	s_lshl_b64 s[12:13], s[12:13], 3
	s_and_b32 s28, vcc_lo, s2
	s_and_b32 s29, vcc_lo, s3
	v_cmp_gt_i32_e32 vcc_lo, s20, v20
	v_cmp_le_i32_e64 s2, v4, v20
	s_lshl_b64 s[4:5], s[4:5], 3
	v_cmp_gt_i32_e64 s1, s20, v14
	v_lshl_add_u32 v37, v11, 6, 0x800
	v_ashrrev_i32_e32 v11, 31, v10
	v_lshl_add_u64 v[12:13], v[16:17], 3, s[12:13]
	v_lshl_add_u64 v[16:17], v[18:19], 3, s[4:5]
	s_and_b32 s12, vcc_lo, s2
	v_cmp_le_i32_e64 s2, v10, v20
	s_lshl_b64 s[4:5], s[26:27], 3
	v_add_nc_u64_e32 v[12:13], v[12:13], v[2:3]
	v_lshl_add_u64 v[14:15], v[14:15], 3, v[16:17]
	s_and_b32 s13, s31, s33
	s_and_b32 s20, vcc_lo, s2
	s_lshl_b64 s[2:3], s[24:25], 6
	s_branch .LBB347_6
.LBB347_5:                              ;   in Loop: Header=BB347_6 Depth=1
	s_wait_xcnt 0x0
	s_or_b32 exec_lo, exec_lo, s24
	s_add_co_i32 s22, s22, 0x10000
	s_delay_alu instid0(SALU_CYCLE_1)
	s_cmp_lt_u32 s22, s19
	s_cbranch_scc0 .LBB347_33
.LBB347_6:                              ; =>This Loop Header: Depth=1
                                        ;     Child Loop BB347_9 Depth 2
	v_mov_b32_e32 v2, s22
	v_mov_b64_e32 v[24:25], 0
	v_mov_b64_e32 v[20:21], 0
	;; [unrolled: 1-line block ×4, first 2 shown]
	global_load_b64 v[22:23], v2, s[16:17] scale_offset
	s_and_not1_b32 vcc_lo, exec_lo, s13
	s_cbranch_vccnz .LBB347_13
; %bb.7:                                ;   in Loop: Header=BB347_6 Depth=1
	s_lshl_b64 s[24:25], s[22:23], 3
	v_mov_b64_e32 v[16:17], 0
	s_add_nc_u64 s[26:27], s[10:11], s[24:25]
	s_add_nc_u64 s[24:25], s[14:15], s[24:25]
	s_clause 0x1
	global_load_b64 v[24:25], v3, s[26:27]
	global_load_b64 v[28:29], v3, s[24:25]
	v_mov_b64_e32 v[18:19], 0
	v_mov_b64_e32 v[20:21], 0
	s_wait_xcnt 0x0
	s_mov_b32 s24, 0
	s_wait_loadcnt 0x1
	v_add_nc_u64_e32 v[26:27], v[24:25], v[12:13]
	s_wait_loadcnt 0x0
	v_add_nc_u64_e32 v[28:29], v[28:29], v[14:15]
	v_mov_b64_e32 v[24:25], 0
	s_branch .LBB347_9
.LBB347_8:                              ;   in Loop: Header=BB347_9 Depth=2
	s_wait_xcnt 0x0
	s_or_b32 exec_lo, exec_lo, s25
	s_wait_loadcnt_dscnt 0x0
	ds_store_b64 v35, v[32:33]
	s_wait_dscnt 0x0
	s_barrier_signal -1
	s_barrier_wait -1
	ds_load_b128 v[30:33], v37
	ds_load_2addr_b64 v[38:41], v36 offset1:16
	ds_load_b128 v[42:45], v37 offset:1024
	ds_load_b128 v[46:49], v37 offset:16
	;; [unrolled: 1-line block ×3, first 2 shown]
	v_add_nc_u64_e32 v[26:27], 64, v[26:27]
	v_add_nc_u64_e32 v[28:29], s[2:3], v[28:29]
	s_add_co_i32 s24, s24, 8
	s_delay_alu instid0(SALU_CYCLE_1)
	s_cmp_lt_i32 s24, s21
	s_wait_dscnt 0x3
	v_fmac_f64_e32 v[24:25], v[38:39], v[30:31]
	v_fmac_f64_e32 v[20:21], v[40:41], v[30:31]
	s_wait_dscnt 0x2
	v_fmac_f64_e32 v[18:19], v[38:39], v[42:43]
	v_fmac_f64_e32 v[16:17], v[40:41], v[42:43]
	ds_load_2addr_b64 v[38:41], v36 offset0:32 offset1:48
	s_wait_dscnt 0x0
	v_fmac_f64_e32 v[24:25], v[38:39], v[32:33]
	v_fmac_f64_e32 v[20:21], v[40:41], v[32:33]
	v_fmac_f64_e32 v[18:19], v[38:39], v[44:45]
	v_fmac_f64_e32 v[16:17], v[40:41], v[44:45]
	ds_load_2addr_b64 v[30:33], v36 offset0:64 offset1:80
	s_wait_dscnt 0x0
	v_fmac_f64_e32 v[24:25], v[30:31], v[46:47]
	v_fmac_f64_e32 v[20:21], v[32:33], v[46:47]
	;; [unrolled: 6-line block ×3, first 2 shown]
	v_fmac_f64_e32 v[18:19], v[30:31], v[52:53]
	v_fmac_f64_e32 v[16:17], v[32:33], v[52:53]
	ds_load_b128 v[30:33], v37 offset:32
	ds_load_2addr_b64 v[38:41], v36 offset0:128 offset1:144
	ds_load_b128 v[42:45], v37 offset:1056
	ds_load_b128 v[46:49], v37 offset:48
	;; [unrolled: 1-line block ×3, first 2 shown]
	s_wait_dscnt 0x3
	v_fmac_f64_e32 v[24:25], v[38:39], v[30:31]
	v_fmac_f64_e32 v[20:21], v[40:41], v[30:31]
	s_wait_dscnt 0x2
	v_fmac_f64_e32 v[18:19], v[38:39], v[42:43]
	v_fmac_f64_e32 v[16:17], v[40:41], v[42:43]
	ds_load_2addr_b64 v[38:41], v36 offset0:160 offset1:176
	s_wait_dscnt 0x0
	v_fmac_f64_e32 v[24:25], v[38:39], v[32:33]
	v_fmac_f64_e32 v[20:21], v[40:41], v[32:33]
	;; [unrolled: 1-line block ×4, first 2 shown]
	ds_load_2addr_b64 v[30:33], v36 offset0:192 offset1:208
	s_wait_dscnt 0x0
	v_fmac_f64_e32 v[24:25], v[30:31], v[46:47]
	v_fmac_f64_e32 v[20:21], v[32:33], v[46:47]
	;; [unrolled: 1-line block ×4, first 2 shown]
	ds_load_2addr_b64 v[30:33], v36 offset0:224 offset1:240
	s_wait_dscnt 0x0
	s_barrier_signal -1
	s_barrier_wait -1
	v_fmac_f64_e32 v[24:25], v[30:31], v[48:49]
	v_fmac_f64_e32 v[20:21], v[32:33], v[48:49]
	;; [unrolled: 1-line block ×4, first 2 shown]
	s_cbranch_scc0 .LBB347_13
.LBB347_9:                              ;   Parent Loop BB347_6 Depth=1
                                        ; =>  This Inner Loop Header: Depth=2
	v_add_nc_u32_e32 v2, s24, v34
	v_mov_b64_e32 v[30:31], 0
	s_delay_alu instid0(VALU_DEP_2) | instskip(SKIP_1) | instid1(SALU_CYCLE_1)
	v_cmp_gt_i32_e32 vcc_lo, s21, v2
	s_and_b32 s26, s0, vcc_lo
	s_and_saveexec_b32 s25, s26
	s_cbranch_execz .LBB347_11
; %bb.10:                               ;   in Loop: Header=BB347_9 Depth=2
	flat_load_b64 v[30:31], v[26:27]
.LBB347_11:                             ;   in Loop: Header=BB347_9 Depth=2
	s_wait_xcnt 0x0
	s_or_b32 exec_lo, exec_lo, s25
	v_add_nc_u32_e32 v2, s24, v0
	v_mov_b64_e32 v[32:33], 0
	s_wait_loadcnt_dscnt 0x0
	ds_store_b64 v1, v[30:31]
	v_cmp_gt_i32_e32 vcc_lo, s21, v2
	s_and_b32 s26, vcc_lo, s1
	s_delay_alu instid0(SALU_CYCLE_1)
	s_and_saveexec_b32 s25, s26
	s_cbranch_execz .LBB347_8
; %bb.12:                               ;   in Loop: Header=BB347_9 Depth=2
	flat_load_b64 v[32:33], v[28:29]
	s_branch .LBB347_8
.LBB347_13:                             ;   in Loop: Header=BB347_6 Depth=1
	s_wait_loadcnt 0x0
	v_add_nc_u64_e32 v[22:23], s[4:5], v[22:23]
	s_delay_alu instid0(VALU_DEP_1)
	v_lshl_add_u64 v[26:27], v[6:7], 3, v[22:23]
	s_wait_xcnt 0x0
	s_and_saveexec_b32 s24, s28
	s_cbranch_execz .LBB347_17
; %bb.14:                               ;   in Loop: Header=BB347_6 Depth=1
	v_mul_f64_e32 v[24:25], s[8:9], v[24:25]
	v_lshl_add_u64 v[28:29], v[4:5], 3, v[26:27]
	s_and_b32 vcc_lo, exec_lo, s18
	s_cbranch_vccz .LBB347_28
; %bb.15:                               ;   in Loop: Header=BB347_6 Depth=1
	flat_load_b64 v[30:31], v[28:29]
	s_wait_loadcnt_dscnt 0x0
	v_fma_f64 v[30:31], s[6:7], v[30:31], v[24:25]
	flat_store_b64 v[28:29], v[30:31]
	s_cbranch_execnz .LBB347_17
.LBB347_16:                             ;   in Loop: Header=BB347_6 Depth=1
	flat_store_b64 v[28:29], v[24:25]
.LBB347_17:                             ;   in Loop: Header=BB347_6 Depth=1
	s_wait_xcnt 0x0
	s_or_b32 exec_lo, exec_lo, s24
	s_and_saveexec_b32 s24, s29
	s_cbranch_execz .LBB347_21
; %bb.18:                               ;   in Loop: Header=BB347_6 Depth=1
	v_mul_f64_e32 v[20:21], s[8:9], v[20:21]
	v_lshl_add_u64 v[24:25], v[10:11], 3, v[26:27]
	s_and_not1_b32 vcc_lo, exec_lo, s18
	s_cbranch_vccnz .LBB347_29
; %bb.19:                               ;   in Loop: Header=BB347_6 Depth=1
	flat_load_b64 v[26:27], v[24:25]
	s_wait_loadcnt_dscnt 0x0
	v_fma_f64 v[26:27], s[6:7], v[26:27], v[20:21]
	flat_store_b64 v[24:25], v[26:27]
	s_cbranch_execnz .LBB347_21
.LBB347_20:                             ;   in Loop: Header=BB347_6 Depth=1
	flat_store_b64 v[24:25], v[20:21]
.LBB347_21:                             ;   in Loop: Header=BB347_6 Depth=1
	s_wait_xcnt 0x0
	s_or_b32 exec_lo, exec_lo, s24
	v_lshl_add_u64 v[20:21], v[8:9], 3, v[22:23]
	s_and_saveexec_b32 s24, s12
	s_cbranch_execz .LBB347_25
; %bb.22:                               ;   in Loop: Header=BB347_6 Depth=1
	v_mul_f64_e32 v[18:19], s[8:9], v[18:19]
	s_delay_alu instid0(VALU_DEP_2)
	v_lshl_add_u64 v[22:23], v[4:5], 3, v[20:21]
	s_and_not1_b32 vcc_lo, exec_lo, s18
	s_cbranch_vccnz .LBB347_30
; %bb.23:                               ;   in Loop: Header=BB347_6 Depth=1
	flat_load_b64 v[24:25], v[22:23]
	s_wait_loadcnt_dscnt 0x0
	v_fma_f64 v[24:25], s[6:7], v[24:25], v[18:19]
	flat_store_b64 v[22:23], v[24:25]
	s_cbranch_execnz .LBB347_25
.LBB347_24:                             ;   in Loop: Header=BB347_6 Depth=1
	flat_store_b64 v[22:23], v[18:19]
.LBB347_25:                             ;   in Loop: Header=BB347_6 Depth=1
	s_wait_xcnt 0x0
	s_or_b32 exec_lo, exec_lo, s24
	s_and_saveexec_b32 s24, s20
	s_cbranch_execz .LBB347_5
; %bb.26:                               ;   in Loop: Header=BB347_6 Depth=1
	s_delay_alu instid0(VALU_DEP_4)
	v_mul_f64_e32 v[16:17], s[8:9], v[16:17]
	v_lshl_add_u64 v[18:19], v[10:11], 3, v[20:21]
	s_and_not1_b32 vcc_lo, exec_lo, s18
	s_cbranch_vccnz .LBB347_31
; %bb.27:                               ;   in Loop: Header=BB347_6 Depth=1
	flat_load_b64 v[20:21], v[18:19]
	s_wait_loadcnt_dscnt 0x0
	v_fma_f64 v[20:21], s[6:7], v[20:21], v[16:17]
	flat_store_b64 v[18:19], v[20:21]
	s_cbranch_execnz .LBB347_5
	s_branch .LBB347_32
.LBB347_28:                             ;   in Loop: Header=BB347_6 Depth=1
	s_branch .LBB347_16
.LBB347_29:                             ;   in Loop: Header=BB347_6 Depth=1
	s_branch .LBB347_20
.LBB347_30:                             ;   in Loop: Header=BB347_6 Depth=1
	s_branch .LBB347_24
.LBB347_31:                             ;   in Loop: Header=BB347_6 Depth=1
.LBB347_32:                             ;   in Loop: Header=BB347_6 Depth=1
	flat_store_b64 v[18:19], v[16:17]
	s_branch .LBB347_5
.LBB347_33:
	s_endpgm
	.section	.rodata,"a",@progbits
	.p2align	6, 0x0
	.amdhsa_kernel _ZL29rocblas_internal_gemmt_kernelIiLi16ELi32ELi8ELc84ELc67ELc85ELb0ELb0EddPKPKdPKPdEviT_T9_T10_S7_lS9_S7_lS8_T11_S7_li
		.amdhsa_group_segment_fixed_size 4096
		.amdhsa_private_segment_fixed_size 0
		.amdhsa_kernarg_size 100
		.amdhsa_user_sgpr_count 2
		.amdhsa_user_sgpr_dispatch_ptr 0
		.amdhsa_user_sgpr_queue_ptr 0
		.amdhsa_user_sgpr_kernarg_segment_ptr 1
		.amdhsa_user_sgpr_dispatch_id 0
		.amdhsa_user_sgpr_kernarg_preload_length 0
		.amdhsa_user_sgpr_kernarg_preload_offset 0
		.amdhsa_user_sgpr_private_segment_size 0
		.amdhsa_wavefront_size32 1
		.amdhsa_uses_dynamic_stack 0
		.amdhsa_enable_private_segment 0
		.amdhsa_system_sgpr_workgroup_id_x 1
		.amdhsa_system_sgpr_workgroup_id_y 1
		.amdhsa_system_sgpr_workgroup_id_z 1
		.amdhsa_system_sgpr_workgroup_info 0
		.amdhsa_system_vgpr_workitem_id 1
		.amdhsa_next_free_vgpr 54
		.amdhsa_next_free_sgpr 34
		.amdhsa_named_barrier_count 0
		.amdhsa_reserve_vcc 1
		.amdhsa_float_round_mode_32 0
		.amdhsa_float_round_mode_16_64 0
		.amdhsa_float_denorm_mode_32 3
		.amdhsa_float_denorm_mode_16_64 3
		.amdhsa_fp16_overflow 0
		.amdhsa_memory_ordered 1
		.amdhsa_forward_progress 1
		.amdhsa_inst_pref_size 14
		.amdhsa_round_robin_scheduling 0
		.amdhsa_exception_fp_ieee_invalid_op 0
		.amdhsa_exception_fp_denorm_src 0
		.amdhsa_exception_fp_ieee_div_zero 0
		.amdhsa_exception_fp_ieee_overflow 0
		.amdhsa_exception_fp_ieee_underflow 0
		.amdhsa_exception_fp_ieee_inexact 0
		.amdhsa_exception_int_div_zero 0
	.end_amdhsa_kernel
	.section	.text._ZL29rocblas_internal_gemmt_kernelIiLi16ELi32ELi8ELc84ELc67ELc85ELb0ELb0EddPKPKdPKPdEviT_T9_T10_S7_lS9_S7_lS8_T11_S7_li,"axG",@progbits,_ZL29rocblas_internal_gemmt_kernelIiLi16ELi32ELi8ELc84ELc67ELc85ELb0ELb0EddPKPKdPKPdEviT_T9_T10_S7_lS9_S7_lS8_T11_S7_li,comdat
.Lfunc_end347:
	.size	_ZL29rocblas_internal_gemmt_kernelIiLi16ELi32ELi8ELc84ELc67ELc85ELb0ELb0EddPKPKdPKPdEviT_T9_T10_S7_lS9_S7_lS8_T11_S7_li, .Lfunc_end347-_ZL29rocblas_internal_gemmt_kernelIiLi16ELi32ELi8ELc84ELc67ELc85ELb0ELb0EddPKPKdPKPdEviT_T9_T10_S7_lS9_S7_lS8_T11_S7_li
                                        ; -- End function
	.set _ZL29rocblas_internal_gemmt_kernelIiLi16ELi32ELi8ELc84ELc67ELc85ELb0ELb0EddPKPKdPKPdEviT_T9_T10_S7_lS9_S7_lS8_T11_S7_li.num_vgpr, 54
	.set _ZL29rocblas_internal_gemmt_kernelIiLi16ELi32ELi8ELc84ELc67ELc85ELb0ELb0EddPKPKdPKPdEviT_T9_T10_S7_lS9_S7_lS8_T11_S7_li.num_agpr, 0
	.set _ZL29rocblas_internal_gemmt_kernelIiLi16ELi32ELi8ELc84ELc67ELc85ELb0ELb0EddPKPKdPKPdEviT_T9_T10_S7_lS9_S7_lS8_T11_S7_li.numbered_sgpr, 34
	.set _ZL29rocblas_internal_gemmt_kernelIiLi16ELi32ELi8ELc84ELc67ELc85ELb0ELb0EddPKPKdPKPdEviT_T9_T10_S7_lS9_S7_lS8_T11_S7_li.num_named_barrier, 0
	.set _ZL29rocblas_internal_gemmt_kernelIiLi16ELi32ELi8ELc84ELc67ELc85ELb0ELb0EddPKPKdPKPdEviT_T9_T10_S7_lS9_S7_lS8_T11_S7_li.private_seg_size, 0
	.set _ZL29rocblas_internal_gemmt_kernelIiLi16ELi32ELi8ELc84ELc67ELc85ELb0ELb0EddPKPKdPKPdEviT_T9_T10_S7_lS9_S7_lS8_T11_S7_li.uses_vcc, 1
	.set _ZL29rocblas_internal_gemmt_kernelIiLi16ELi32ELi8ELc84ELc67ELc85ELb0ELb0EddPKPKdPKPdEviT_T9_T10_S7_lS9_S7_lS8_T11_S7_li.uses_flat_scratch, 0
	.set _ZL29rocblas_internal_gemmt_kernelIiLi16ELi32ELi8ELc84ELc67ELc85ELb0ELb0EddPKPKdPKPdEviT_T9_T10_S7_lS9_S7_lS8_T11_S7_li.has_dyn_sized_stack, 0
	.set _ZL29rocblas_internal_gemmt_kernelIiLi16ELi32ELi8ELc84ELc67ELc85ELb0ELb0EddPKPKdPKPdEviT_T9_T10_S7_lS9_S7_lS8_T11_S7_li.has_recursion, 0
	.set _ZL29rocblas_internal_gemmt_kernelIiLi16ELi32ELi8ELc84ELc67ELc85ELb0ELb0EddPKPKdPKPdEviT_T9_T10_S7_lS9_S7_lS8_T11_S7_li.has_indirect_call, 0
	.section	.AMDGPU.csdata,"",@progbits
; Kernel info:
; codeLenInByte = 1672
; TotalNumSgprs: 36
; NumVgprs: 54
; ScratchSize: 0
; MemoryBound: 0
; FloatMode: 240
; IeeeMode: 1
; LDSByteSize: 4096 bytes/workgroup (compile time only)
; SGPRBlocks: 0
; VGPRBlocks: 3
; NumSGPRsForWavesPerEU: 36
; NumVGPRsForWavesPerEU: 54
; NamedBarCnt: 0
; Occupancy: 16
; WaveLimiterHint : 1
; COMPUTE_PGM_RSRC2:SCRATCH_EN: 0
; COMPUTE_PGM_RSRC2:USER_SGPR: 2
; COMPUTE_PGM_RSRC2:TRAP_HANDLER: 0
; COMPUTE_PGM_RSRC2:TGID_X_EN: 1
; COMPUTE_PGM_RSRC2:TGID_Y_EN: 1
; COMPUTE_PGM_RSRC2:TGID_Z_EN: 1
; COMPUTE_PGM_RSRC2:TIDIG_COMP_CNT: 1
	.section	.text._ZL29rocblas_internal_gemmt_kernelIiLi16ELi32ELi8ELc67ELc78ELc85ELb0ELb0EddPKPKdPKPdEviT_T9_T10_S7_lS9_S7_lS8_T11_S7_li,"axG",@progbits,_ZL29rocblas_internal_gemmt_kernelIiLi16ELi32ELi8ELc67ELc78ELc85ELb0ELb0EddPKPKdPKPdEviT_T9_T10_S7_lS9_S7_lS8_T11_S7_li,comdat
	.globl	_ZL29rocblas_internal_gemmt_kernelIiLi16ELi32ELi8ELc67ELc78ELc85ELb0ELb0EddPKPKdPKPdEviT_T9_T10_S7_lS9_S7_lS8_T11_S7_li ; -- Begin function _ZL29rocblas_internal_gemmt_kernelIiLi16ELi32ELi8ELc67ELc78ELc85ELb0ELb0EddPKPKdPKPdEviT_T9_T10_S7_lS9_S7_lS8_T11_S7_li
	.p2align	8
	.type	_ZL29rocblas_internal_gemmt_kernelIiLi16ELi32ELi8ELc67ELc78ELc85ELb0ELb0EddPKPKdPKPdEviT_T9_T10_S7_lS9_S7_lS8_T11_S7_li,@function
_ZL29rocblas_internal_gemmt_kernelIiLi16ELi32ELi8ELc67ELc78ELc85ELb0ELb0EddPKPKdPKPdEviT_T9_T10_S7_lS9_S7_lS8_T11_S7_li: ; @_ZL29rocblas_internal_gemmt_kernelIiLi16ELi32ELi8ELc67ELc78ELc85ELb0ELb0EddPKPKdPKPdEviT_T9_T10_S7_lS9_S7_lS8_T11_S7_li
; %bb.0:
	s_clause 0x2
	s_load_b128 s[4:7], s[0:1], 0x38
	s_load_b64 s[20:21], s[0:1], 0x0
	s_load_b128 s[8:11], s[0:1], 0x8
	s_wait_kmcnt 0x0
	v_cmp_neq_f64_e64 s2, s[6:7], 1.0
	s_and_b32 vcc_lo, exec_lo, s2
	s_cbranch_vccnz .LBB348_2
; %bb.1:
	v_cmp_neq_f64_e64 s2, s[8:9], 0
	s_cmp_lg_u32 s21, 0
	s_cselect_b32 s3, -1, 0
	s_delay_alu instid0(SALU_CYCLE_1)
	s_and_b32 s2, s3, s2
.LBB348_2:
	s_delay_alu instid0(SALU_CYCLE_1)
	s_and_not1_b32 vcc_lo, exec_lo, s2
	s_cbranch_vccnz .LBB348_33
; %bb.3:
	s_load_b32 s19, s[0:1], 0x60
	s_bfe_u32 s2, ttmp6, 0x40014
	s_lshr_b32 s3, ttmp7, 16
	s_add_co_i32 s2, s2, 1
	s_bfe_u32 s12, ttmp6, 0x40008
	s_mul_i32 s2, s3, s2
	s_getreg_b32 s28, hwreg(HW_REG_IB_STS2, 6, 4)
	s_add_co_i32 s12, s12, s2
	s_cmp_eq_u32 s28, 0
	s_mov_b32 s23, 0
	s_cselect_b32 s22, s3, s12
	s_wait_kmcnt 0x0
	s_cmp_ge_u32 s22, s19
	s_cbranch_scc1 .LBB348_33
; %bb.4:
	s_clause 0x3
	s_load_b32 s26, s[0:1], 0x18
	s_load_b32 s2, s[0:1], 0x30
	s_load_b96 s[16:18], s[0:1], 0x48
	s_load_b128 s[12:15], s[0:1], 0x20
	v_and_b32_e32 v6, 0x3ff, v0
	v_bfe_u32 v2, v0, 10, 10
	s_load_b64 s[24:25], s[0:1], 0x58
	s_wait_xcnt 0x0
	s_bfe_u32 s1, ttmp6, 0x4000c
	s_bfe_u32 s3, ttmp6, 0x40010
	s_and_b32 s29, ttmp7, 0xffff
	s_add_co_i32 s1, s1, 1
	s_add_co_i32 s3, s3, 1
	v_lshl_add_u32 v3, v2, 4, v6
	s_and_b32 s0, ttmp6, 15
	s_bfe_u32 s30, ttmp6, 0x40004
	s_mul_i32 s31, ttmp9, s1
	s_mul_i32 s33, s29, s3
	s_add_co_i32 s0, s0, s31
	s_add_co_i32 s30, s30, s33
	v_dual_lshrrev_b32 v4, 3, v3 :: v_dual_bitop2_b32 v5, 31, v3 bitop3:0x40
	s_wait_kmcnt 0x0
	s_ashr_i32 s27, s26, 31
	s_ashr_i32 s3, s2, 31
	;; [unrolled: 1-line block ×3, first 2 shown]
	s_cmp_eq_u32 s28, 0
	v_dual_lshlrev_b32 v33, 3, v6 :: v_dual_lshrrev_b32 v35, 5, v3
	s_cselect_b32 s0, ttmp9, s0
	s_cselect_b32 s28, s29, s30
	s_lshl_b32 s29, s0, 5
	s_lshl_b32 s0, s28, 5
	s_delay_alu instid0(SALU_CYCLE_1) | instskip(SKIP_2) | instid1(VALU_DEP_3)
	v_dual_add_nc_u32 v12, s0, v4 :: v_dual_bitop2_b32 v10, s29, v5 bitop3:0x54
	v_dual_add_nc_u32 v14, s0, v2 :: v_dual_bitop2_b32 v32, 7, v0 bitop3:0x40
	v_cmp_neq_f64_e64 s30, s[8:9], 0
	v_dual_ashrrev_i32 v11, 31, v10 :: v_dual_ashrrev_i32 v13, 31, v12
	s_delay_alu instid0(VALU_DEP_3) | instskip(NEXT) | instid1(VALU_DEP_4)
	v_dual_mov_b32 v1, 0 :: v_dual_lshlrev_b32 v20, 3, v32
	v_dual_add_nc_u32 v22, 16, v14 :: v_dual_lshlrev_b32 v0, 3, v5
	s_delay_alu instid0(VALU_DEP_3) | instskip(NEXT) | instid1(VALU_DEP_4)
	v_mul_u64_e32 v[16:17], s[26:27], v[10:11]
	v_mul_u64_e32 v[18:19], s[2:3], v[12:13]
	s_delay_alu instid0(VALU_DEP_4) | instskip(SKIP_3) | instid1(VALU_DEP_3)
	v_lshl_or_b32 v7, v4, 6, v20
	v_dual_mov_b32 v21, v1 :: v_dual_add_nc_u32 v6, s29, v6
	v_ashrrev_i32_e32 v23, 31, v22
	s_mov_b32 s0, s18
	v_add_nc_u32_e32 v37, 0x800, v7
	s_delay_alu instid0(VALU_DEP_3)
	v_dual_add_nc_u32 v8, 16, v6 :: v_dual_ashrrev_i32 v7, 31, v6
	v_ashrrev_i32_e32 v15, 31, v14
	v_cmp_neq_f64_e64 s28, s[6:7], 0
	v_lshl_add_u32 v34, v2, 6, 0x800
	v_lshl_or_b32 v36, v35, 8, v0
	v_ashrrev_i32_e32 v9, 31, v8
	v_mul_u64_e32 v[2:3], s[0:1], v[14:15]
	v_lshlrev_b32_e32 v0, 3, v35
	v_mul_u64_e32 v[4:5], s[0:1], v[22:23]
	s_cmp_gt_i32 s21, 0
	v_cmp_gt_i32_e32 vcc_lo, s20, v14
	s_cselect_b32 s18, -1, 0
	s_lshl_b64 s[12:13], s[12:13], 3
	s_lshl_b64 s[26:27], s[4:5], 3
	v_cmp_le_i32_e64 s2, v6, v14
	v_cmp_gt_i32_e64 s0, s20, v10
	v_cmp_le_i32_e64 s3, v8, v14
	v_cmp_gt_i32_e64 s1, s20, v12
	s_and_b32 s4, vcc_lo, s2
	v_cmp_le_i32_e64 s2, v6, v22
	s_and_b32 s5, vcc_lo, s3
	v_cmp_gt_i32_e32 vcc_lo, s20, v22
	v_lshl_add_u64 v[10:11], v[16:17], 3, s[12:13]
	v_lshl_add_u64 v[12:13], v[18:19], 3, s[26:27]
	v_cmp_le_i32_e64 s3, v8, v22
	s_and_b32 s12, s30, s18
	s_and_b32 s13, vcc_lo, s2
	v_add_nc_u64_e32 v[10:11], v[10:11], v[0:1]
	v_add_nc_u64_e32 v[12:13], v[12:13], v[20:21]
	s_and_b32 s18, vcc_lo, s3
	s_lshl_b64 s[2:3], s[24:25], 3
	s_branch .LBB348_6
.LBB348_5:                              ;   in Loop: Header=BB348_6 Depth=1
	s_wait_xcnt 0x0
	s_or_b32 exec_lo, exec_lo, s20
	s_add_co_i32 s22, s22, 0x10000
	s_delay_alu instid0(SALU_CYCLE_1)
	s_cmp_lt_u32 s22, s19
	s_cbranch_scc0 .LBB348_33
.LBB348_6:                              ; =>This Loop Header: Depth=1
                                        ;     Child Loop BB348_9 Depth 2
	v_mov_b32_e32 v0, s22
	v_mov_b64_e32 v[22:23], 0
	v_mov_b64_e32 v[18:19], 0
	;; [unrolled: 1-line block ×4, first 2 shown]
	global_load_b64 v[20:21], v0, s[16:17] scale_offset
	s_and_not1_b32 vcc_lo, exec_lo, s12
	s_cbranch_vccnz .LBB348_13
; %bb.7:                                ;   in Loop: Header=BB348_6 Depth=1
	s_lshl_b64 s[24:25], s[22:23], 3
	v_mov_b64_e32 v[14:15], 0
	s_add_nc_u64 s[26:27], s[10:11], s[24:25]
	s_add_nc_u64 s[24:25], s[14:15], s[24:25]
	s_clause 0x1
	global_load_b64 v[22:23], v1, s[26:27]
	global_load_b64 v[26:27], v1, s[24:25]
	v_mov_b64_e32 v[16:17], 0
	v_mov_b64_e32 v[18:19], 0
	s_mov_b32 s20, 0
	s_wait_loadcnt 0x1
	v_add_nc_u64_e32 v[24:25], v[22:23], v[10:11]
	s_wait_loadcnt 0x0
	v_add_nc_u64_e32 v[26:27], v[26:27], v[12:13]
	v_mov_b64_e32 v[22:23], 0
	s_branch .LBB348_9
.LBB348_8:                              ;   in Loop: Header=BB348_9 Depth=2
	s_wait_xcnt 0x0
	s_or_b32 exec_lo, exec_lo, s24
	s_wait_loadcnt_dscnt 0x0
	ds_store_b64 v37, v[30:31]
	s_wait_dscnt 0x0
	s_barrier_signal -1
	s_barrier_wait -1
	ds_load_b128 v[28:31], v34
	ds_load_2addr_b64 v[38:41], v33 offset1:16
	ds_load_b128 v[42:45], v34 offset:1024
	ds_load_b128 v[46:49], v34 offset:16
	;; [unrolled: 1-line block ×3, first 2 shown]
	v_add_nc_u64_e32 v[24:25], 64, v[24:25]
	v_add_nc_u64_e32 v[26:27], 64, v[26:27]
	s_add_co_i32 s20, s20, 8
	s_delay_alu instid0(SALU_CYCLE_1)
	s_cmp_lt_i32 s20, s21
	s_wait_dscnt 0x3
	v_fmac_f64_e32 v[22:23], v[38:39], v[28:29]
	v_fmac_f64_e32 v[18:19], v[40:41], v[28:29]
	s_wait_dscnt 0x2
	v_fmac_f64_e32 v[16:17], v[38:39], v[42:43]
	v_fmac_f64_e32 v[14:15], v[40:41], v[42:43]
	ds_load_2addr_b64 v[38:41], v33 offset0:32 offset1:48
	s_wait_dscnt 0x0
	v_fmac_f64_e32 v[22:23], v[38:39], v[30:31]
	v_fmac_f64_e32 v[18:19], v[40:41], v[30:31]
	v_fmac_f64_e32 v[16:17], v[38:39], v[44:45]
	v_fmac_f64_e32 v[14:15], v[40:41], v[44:45]
	ds_load_2addr_b64 v[28:31], v33 offset0:64 offset1:80
	s_wait_dscnt 0x0
	v_fmac_f64_e32 v[22:23], v[28:29], v[46:47]
	v_fmac_f64_e32 v[18:19], v[30:31], v[46:47]
	;; [unrolled: 6-line block ×3, first 2 shown]
	v_fmac_f64_e32 v[16:17], v[28:29], v[52:53]
	v_fmac_f64_e32 v[14:15], v[30:31], v[52:53]
	ds_load_b128 v[28:31], v34 offset:32
	ds_load_2addr_b64 v[38:41], v33 offset0:128 offset1:144
	ds_load_b128 v[42:45], v34 offset:1056
	ds_load_b128 v[46:49], v34 offset:48
	;; [unrolled: 1-line block ×3, first 2 shown]
	s_wait_dscnt 0x3
	v_fmac_f64_e32 v[22:23], v[38:39], v[28:29]
	v_fmac_f64_e32 v[18:19], v[40:41], v[28:29]
	s_wait_dscnt 0x2
	v_fmac_f64_e32 v[16:17], v[38:39], v[42:43]
	v_fmac_f64_e32 v[14:15], v[40:41], v[42:43]
	ds_load_2addr_b64 v[38:41], v33 offset0:160 offset1:176
	s_wait_dscnt 0x0
	v_fmac_f64_e32 v[22:23], v[38:39], v[30:31]
	v_fmac_f64_e32 v[18:19], v[40:41], v[30:31]
	;; [unrolled: 1-line block ×4, first 2 shown]
	ds_load_2addr_b64 v[28:31], v33 offset0:192 offset1:208
	s_wait_dscnt 0x0
	v_fmac_f64_e32 v[22:23], v[28:29], v[46:47]
	v_fmac_f64_e32 v[18:19], v[30:31], v[46:47]
	;; [unrolled: 1-line block ×4, first 2 shown]
	ds_load_2addr_b64 v[28:31], v33 offset0:224 offset1:240
	s_wait_dscnt 0x0
	s_barrier_signal -1
	s_barrier_wait -1
	v_fmac_f64_e32 v[22:23], v[28:29], v[48:49]
	v_fmac_f64_e32 v[18:19], v[30:31], v[48:49]
	;; [unrolled: 1-line block ×4, first 2 shown]
	s_cbranch_scc0 .LBB348_13
.LBB348_9:                              ;   Parent Loop BB348_6 Depth=1
                                        ; =>  This Inner Loop Header: Depth=2
	s_wait_xcnt 0x2
	v_add_nc_u32_e32 v0, s20, v35
	v_mov_b64_e32 v[28:29], 0
	s_delay_alu instid0(VALU_DEP_2) | instskip(SKIP_2) | instid1(SALU_CYCLE_1)
	v_cmp_gt_i32_e32 vcc_lo, s21, v0
	s_wait_xcnt 0x0
	s_and_b32 s25, s0, vcc_lo
	s_and_saveexec_b32 s24, s25
	s_cbranch_execz .LBB348_11
; %bb.10:                               ;   in Loop: Header=BB348_9 Depth=2
	flat_load_b64 v[28:29], v[24:25]
.LBB348_11:                             ;   in Loop: Header=BB348_9 Depth=2
	s_wait_xcnt 0x0
	s_or_b32 exec_lo, exec_lo, s24
	v_add_nc_u32_e32 v0, s20, v32
	v_mov_b64_e32 v[30:31], 0
	s_wait_loadcnt_dscnt 0x0
	ds_store_b64 v36, v[28:29]
	v_cmp_gt_i32_e32 vcc_lo, s21, v0
	s_and_b32 s25, vcc_lo, s1
	s_delay_alu instid0(SALU_CYCLE_1)
	s_and_saveexec_b32 s24, s25
	s_cbranch_execz .LBB348_8
; %bb.12:                               ;   in Loop: Header=BB348_9 Depth=2
	flat_load_b64 v[30:31], v[26:27]
	s_branch .LBB348_8
.LBB348_13:                             ;   in Loop: Header=BB348_6 Depth=1
	s_wait_loadcnt 0x0
	v_add_nc_u64_e32 v[20:21], s[2:3], v[20:21]
	s_delay_alu instid0(VALU_DEP_1)
	v_lshl_add_u64 v[24:25], v[2:3], 3, v[20:21]
	s_wait_xcnt 0x0
	s_and_saveexec_b32 s20, s4
	s_cbranch_execz .LBB348_17
; %bb.14:                               ;   in Loop: Header=BB348_6 Depth=1
	v_mul_f64_e32 v[22:23], s[8:9], v[22:23]
	v_lshl_add_u64 v[26:27], v[6:7], 3, v[24:25]
	s_and_b32 vcc_lo, exec_lo, s28
	s_cbranch_vccz .LBB348_28
; %bb.15:                               ;   in Loop: Header=BB348_6 Depth=1
	flat_load_b64 v[28:29], v[26:27]
	s_wait_loadcnt_dscnt 0x0
	v_fma_f64 v[28:29], s[6:7], v[28:29], v[22:23]
	flat_store_b64 v[26:27], v[28:29]
	s_cbranch_execnz .LBB348_17
.LBB348_16:                             ;   in Loop: Header=BB348_6 Depth=1
	flat_store_b64 v[26:27], v[22:23]
.LBB348_17:                             ;   in Loop: Header=BB348_6 Depth=1
	s_wait_xcnt 0x0
	s_or_b32 exec_lo, exec_lo, s20
	s_and_saveexec_b32 s20, s5
	s_cbranch_execz .LBB348_21
; %bb.18:                               ;   in Loop: Header=BB348_6 Depth=1
	v_mul_f64_e32 v[18:19], s[8:9], v[18:19]
	v_lshl_add_u64 v[22:23], v[8:9], 3, v[24:25]
	s_and_not1_b32 vcc_lo, exec_lo, s28
	s_cbranch_vccnz .LBB348_29
; %bb.19:                               ;   in Loop: Header=BB348_6 Depth=1
	flat_load_b64 v[24:25], v[22:23]
	s_wait_loadcnt_dscnt 0x0
	v_fma_f64 v[24:25], s[6:7], v[24:25], v[18:19]
	flat_store_b64 v[22:23], v[24:25]
	s_cbranch_execnz .LBB348_21
.LBB348_20:                             ;   in Loop: Header=BB348_6 Depth=1
	flat_store_b64 v[22:23], v[18:19]
.LBB348_21:                             ;   in Loop: Header=BB348_6 Depth=1
	s_wait_xcnt 0x0
	s_or_b32 exec_lo, exec_lo, s20
	v_lshl_add_u64 v[18:19], v[4:5], 3, v[20:21]
	s_and_saveexec_b32 s20, s13
	s_cbranch_execz .LBB348_25
; %bb.22:                               ;   in Loop: Header=BB348_6 Depth=1
	v_mul_f64_e32 v[16:17], s[8:9], v[16:17]
	s_delay_alu instid0(VALU_DEP_2)
	v_lshl_add_u64 v[20:21], v[6:7], 3, v[18:19]
	s_and_not1_b32 vcc_lo, exec_lo, s28
	s_cbranch_vccnz .LBB348_30
; %bb.23:                               ;   in Loop: Header=BB348_6 Depth=1
	flat_load_b64 v[22:23], v[20:21]
	s_wait_loadcnt_dscnt 0x0
	v_fma_f64 v[22:23], s[6:7], v[22:23], v[16:17]
	flat_store_b64 v[20:21], v[22:23]
	s_cbranch_execnz .LBB348_25
.LBB348_24:                             ;   in Loop: Header=BB348_6 Depth=1
	flat_store_b64 v[20:21], v[16:17]
.LBB348_25:                             ;   in Loop: Header=BB348_6 Depth=1
	s_wait_xcnt 0x0
	s_or_b32 exec_lo, exec_lo, s20
	s_and_saveexec_b32 s20, s18
	s_cbranch_execz .LBB348_5
; %bb.26:                               ;   in Loop: Header=BB348_6 Depth=1
	s_delay_alu instid0(VALU_DEP_4)
	v_mul_f64_e32 v[14:15], s[8:9], v[14:15]
	v_lshl_add_u64 v[16:17], v[8:9], 3, v[18:19]
	s_and_not1_b32 vcc_lo, exec_lo, s28
	s_cbranch_vccnz .LBB348_31
; %bb.27:                               ;   in Loop: Header=BB348_6 Depth=1
	flat_load_b64 v[18:19], v[16:17]
	s_wait_loadcnt_dscnt 0x0
	v_fma_f64 v[18:19], s[6:7], v[18:19], v[14:15]
	flat_store_b64 v[16:17], v[18:19]
	s_cbranch_execnz .LBB348_5
	s_branch .LBB348_32
.LBB348_28:                             ;   in Loop: Header=BB348_6 Depth=1
	s_branch .LBB348_16
.LBB348_29:                             ;   in Loop: Header=BB348_6 Depth=1
	s_branch .LBB348_20
.LBB348_30:                             ;   in Loop: Header=BB348_6 Depth=1
	s_branch .LBB348_24
.LBB348_31:                             ;   in Loop: Header=BB348_6 Depth=1
.LBB348_32:                             ;   in Loop: Header=BB348_6 Depth=1
	flat_store_b64 v[16:17], v[14:15]
	s_branch .LBB348_5
.LBB348_33:
	s_endpgm
	.section	.rodata,"a",@progbits
	.p2align	6, 0x0
	.amdhsa_kernel _ZL29rocblas_internal_gemmt_kernelIiLi16ELi32ELi8ELc67ELc78ELc85ELb0ELb0EddPKPKdPKPdEviT_T9_T10_S7_lS9_S7_lS8_T11_S7_li
		.amdhsa_group_segment_fixed_size 4096
		.amdhsa_private_segment_fixed_size 0
		.amdhsa_kernarg_size 100
		.amdhsa_user_sgpr_count 2
		.amdhsa_user_sgpr_dispatch_ptr 0
		.amdhsa_user_sgpr_queue_ptr 0
		.amdhsa_user_sgpr_kernarg_segment_ptr 1
		.amdhsa_user_sgpr_dispatch_id 0
		.amdhsa_user_sgpr_kernarg_preload_length 0
		.amdhsa_user_sgpr_kernarg_preload_offset 0
		.amdhsa_user_sgpr_private_segment_size 0
		.amdhsa_wavefront_size32 1
		.amdhsa_uses_dynamic_stack 0
		.amdhsa_enable_private_segment 0
		.amdhsa_system_sgpr_workgroup_id_x 1
		.amdhsa_system_sgpr_workgroup_id_y 1
		.amdhsa_system_sgpr_workgroup_id_z 1
		.amdhsa_system_sgpr_workgroup_info 0
		.amdhsa_system_vgpr_workitem_id 1
		.amdhsa_next_free_vgpr 54
		.amdhsa_next_free_sgpr 34
		.amdhsa_named_barrier_count 0
		.amdhsa_reserve_vcc 1
		.amdhsa_float_round_mode_32 0
		.amdhsa_float_round_mode_16_64 0
		.amdhsa_float_denorm_mode_32 3
		.amdhsa_float_denorm_mode_16_64 3
		.amdhsa_fp16_overflow 0
		.amdhsa_memory_ordered 1
		.amdhsa_forward_progress 1
		.amdhsa_inst_pref_size 14
		.amdhsa_round_robin_scheduling 0
		.amdhsa_exception_fp_ieee_invalid_op 0
		.amdhsa_exception_fp_denorm_src 0
		.amdhsa_exception_fp_ieee_div_zero 0
		.amdhsa_exception_fp_ieee_overflow 0
		.amdhsa_exception_fp_ieee_underflow 0
		.amdhsa_exception_fp_ieee_inexact 0
		.amdhsa_exception_int_div_zero 0
	.end_amdhsa_kernel
	.section	.text._ZL29rocblas_internal_gemmt_kernelIiLi16ELi32ELi8ELc67ELc78ELc85ELb0ELb0EddPKPKdPKPdEviT_T9_T10_S7_lS9_S7_lS8_T11_S7_li,"axG",@progbits,_ZL29rocblas_internal_gemmt_kernelIiLi16ELi32ELi8ELc67ELc78ELc85ELb0ELb0EddPKPKdPKPdEviT_T9_T10_S7_lS9_S7_lS8_T11_S7_li,comdat
.Lfunc_end348:
	.size	_ZL29rocblas_internal_gemmt_kernelIiLi16ELi32ELi8ELc67ELc78ELc85ELb0ELb0EddPKPKdPKPdEviT_T9_T10_S7_lS9_S7_lS8_T11_S7_li, .Lfunc_end348-_ZL29rocblas_internal_gemmt_kernelIiLi16ELi32ELi8ELc67ELc78ELc85ELb0ELb0EddPKPKdPKPdEviT_T9_T10_S7_lS9_S7_lS8_T11_S7_li
                                        ; -- End function
	.set _ZL29rocblas_internal_gemmt_kernelIiLi16ELi32ELi8ELc67ELc78ELc85ELb0ELb0EddPKPKdPKPdEviT_T9_T10_S7_lS9_S7_lS8_T11_S7_li.num_vgpr, 54
	.set _ZL29rocblas_internal_gemmt_kernelIiLi16ELi32ELi8ELc67ELc78ELc85ELb0ELb0EddPKPKdPKPdEviT_T9_T10_S7_lS9_S7_lS8_T11_S7_li.num_agpr, 0
	.set _ZL29rocblas_internal_gemmt_kernelIiLi16ELi32ELi8ELc67ELc78ELc85ELb0ELb0EddPKPKdPKPdEviT_T9_T10_S7_lS9_S7_lS8_T11_S7_li.numbered_sgpr, 34
	.set _ZL29rocblas_internal_gemmt_kernelIiLi16ELi32ELi8ELc67ELc78ELc85ELb0ELb0EddPKPKdPKPdEviT_T9_T10_S7_lS9_S7_lS8_T11_S7_li.num_named_barrier, 0
	.set _ZL29rocblas_internal_gemmt_kernelIiLi16ELi32ELi8ELc67ELc78ELc85ELb0ELb0EddPKPKdPKPdEviT_T9_T10_S7_lS9_S7_lS8_T11_S7_li.private_seg_size, 0
	.set _ZL29rocblas_internal_gemmt_kernelIiLi16ELi32ELi8ELc67ELc78ELc85ELb0ELb0EddPKPKdPKPdEviT_T9_T10_S7_lS9_S7_lS8_T11_S7_li.uses_vcc, 1
	.set _ZL29rocblas_internal_gemmt_kernelIiLi16ELi32ELi8ELc67ELc78ELc85ELb0ELb0EddPKPKdPKPdEviT_T9_T10_S7_lS9_S7_lS8_T11_S7_li.uses_flat_scratch, 0
	.set _ZL29rocblas_internal_gemmt_kernelIiLi16ELi32ELi8ELc67ELc78ELc85ELb0ELb0EddPKPKdPKPdEviT_T9_T10_S7_lS9_S7_lS8_T11_S7_li.has_dyn_sized_stack, 0
	.set _ZL29rocblas_internal_gemmt_kernelIiLi16ELi32ELi8ELc67ELc78ELc85ELb0ELb0EddPKPKdPKPdEviT_T9_T10_S7_lS9_S7_lS8_T11_S7_li.has_recursion, 0
	.set _ZL29rocblas_internal_gemmt_kernelIiLi16ELi32ELi8ELc67ELc78ELc85ELb0ELb0EddPKPKdPKPdEviT_T9_T10_S7_lS9_S7_lS8_T11_S7_li.has_indirect_call, 0
	.section	.AMDGPU.csdata,"",@progbits
; Kernel info:
; codeLenInByte = 1680
; TotalNumSgprs: 36
; NumVgprs: 54
; ScratchSize: 0
; MemoryBound: 0
; FloatMode: 240
; IeeeMode: 1
; LDSByteSize: 4096 bytes/workgroup (compile time only)
; SGPRBlocks: 0
; VGPRBlocks: 3
; NumSGPRsForWavesPerEU: 36
; NumVGPRsForWavesPerEU: 54
; NamedBarCnt: 0
; Occupancy: 16
; WaveLimiterHint : 1
; COMPUTE_PGM_RSRC2:SCRATCH_EN: 0
; COMPUTE_PGM_RSRC2:USER_SGPR: 2
; COMPUTE_PGM_RSRC2:TRAP_HANDLER: 0
; COMPUTE_PGM_RSRC2:TGID_X_EN: 1
; COMPUTE_PGM_RSRC2:TGID_Y_EN: 1
; COMPUTE_PGM_RSRC2:TGID_Z_EN: 1
; COMPUTE_PGM_RSRC2:TIDIG_COMP_CNT: 1
	.section	.text._ZL29rocblas_internal_gemmt_kernelIiLi16ELi32ELi8ELc67ELc84ELc85ELb0ELb0EddPKPKdPKPdEviT_T9_T10_S7_lS9_S7_lS8_T11_S7_li,"axG",@progbits,_ZL29rocblas_internal_gemmt_kernelIiLi16ELi32ELi8ELc67ELc84ELc85ELb0ELb0EddPKPKdPKPdEviT_T9_T10_S7_lS9_S7_lS8_T11_S7_li,comdat
	.globl	_ZL29rocblas_internal_gemmt_kernelIiLi16ELi32ELi8ELc67ELc84ELc85ELb0ELb0EddPKPKdPKPdEviT_T9_T10_S7_lS9_S7_lS8_T11_S7_li ; -- Begin function _ZL29rocblas_internal_gemmt_kernelIiLi16ELi32ELi8ELc67ELc84ELc85ELb0ELb0EddPKPKdPKPdEviT_T9_T10_S7_lS9_S7_lS8_T11_S7_li
	.p2align	8
	.type	_ZL29rocblas_internal_gemmt_kernelIiLi16ELi32ELi8ELc67ELc84ELc85ELb0ELb0EddPKPKdPKPdEviT_T9_T10_S7_lS9_S7_lS8_T11_S7_li,@function
_ZL29rocblas_internal_gemmt_kernelIiLi16ELi32ELi8ELc67ELc84ELc85ELb0ELb0EddPKPKdPKPdEviT_T9_T10_S7_lS9_S7_lS8_T11_S7_li: ; @_ZL29rocblas_internal_gemmt_kernelIiLi16ELi32ELi8ELc67ELc84ELc85ELb0ELb0EddPKPKdPKPdEviT_T9_T10_S7_lS9_S7_lS8_T11_S7_li
; %bb.0:
	s_clause 0x2
	s_load_b128 s[4:7], s[0:1], 0x38
	s_load_b64 s[20:21], s[0:1], 0x0
	s_load_b128 s[8:11], s[0:1], 0x8
	s_wait_kmcnt 0x0
	v_cmp_neq_f64_e64 s2, s[6:7], 1.0
	s_and_b32 vcc_lo, exec_lo, s2
	s_cbranch_vccnz .LBB349_2
; %bb.1:
	v_cmp_neq_f64_e64 s2, s[8:9], 0
	s_cmp_lg_u32 s21, 0
	s_cselect_b32 s3, -1, 0
	s_delay_alu instid0(SALU_CYCLE_1)
	s_and_b32 s2, s3, s2
.LBB349_2:
	s_delay_alu instid0(SALU_CYCLE_1)
	s_and_not1_b32 vcc_lo, exec_lo, s2
	s_cbranch_vccnz .LBB349_33
; %bb.3:
	s_load_b32 s19, s[0:1], 0x60
	s_bfe_u32 s2, ttmp6, 0x40014
	s_lshr_b32 s3, ttmp7, 16
	s_add_co_i32 s2, s2, 1
	s_bfe_u32 s12, ttmp6, 0x40008
	s_mul_i32 s2, s3, s2
	s_getreg_b32 s28, hwreg(HW_REG_IB_STS2, 6, 4)
	s_add_co_i32 s12, s12, s2
	s_cmp_eq_u32 s28, 0
	s_mov_b32 s23, 0
	s_cselect_b32 s22, s3, s12
	s_wait_kmcnt 0x0
	s_cmp_ge_u32 s22, s19
	s_cbranch_scc1 .LBB349_33
; %bb.4:
	s_clause 0x3
	s_load_b32 s2, s[0:1], 0x18
	s_load_b32 s24, s[0:1], 0x30
	s_load_b96 s[16:18], s[0:1], 0x48
	s_load_b128 s[12:15], s[0:1], 0x20
	v_and_b32_e32 v2, 0x3ff, v0
	v_bfe_u32 v11, v0, 10, 10
	s_load_b64 s[26:27], s[0:1], 0x58
	s_wait_xcnt 0x0
	s_bfe_u32 s1, ttmp6, 0x4000c
	s_bfe_u32 s3, ttmp6, 0x40010
	s_and_b32 s30, ttmp7, 0xffff
	s_add_co_i32 s1, s1, 1
	s_add_co_i32 s3, s3, 1
	v_lshl_add_u32 v1, v11, 4, v2
	s_and_b32 s0, ttmp6, 15
	s_bfe_u32 s31, ttmp6, 0x40004
	s_mul_i32 s1, ttmp9, s1
	s_mul_i32 s33, s30, s3
	s_add_co_i32 s0, s0, s1
	s_add_co_i32 s31, s31, s33
	v_dual_lshrrev_b32 v34, 5, v1 :: v_dual_bitop2_b32 v6, 31, v1 bitop3:0x40
	s_wait_kmcnt 0x0
	s_ashr_i32 s3, s2, 31
	s_ashr_i32 s25, s24, 31
	;; [unrolled: 1-line block ×3, first 2 shown]
	s_cmp_eq_u32 s28, 0
	v_dual_mov_b32 v3, 0 :: v_dual_bitop2_b32 v0, 7, v0 bitop3:0x40
	s_cselect_b32 s0, ttmp9, s0
	s_cselect_b32 s1, s30, s31
	s_lshl_b32 s30, s0, 5
	s_delay_alu instid0(SALU_CYCLE_1) | instskip(SKIP_1) | instid1(SALU_CYCLE_1)
	v_dual_lshrrev_b32 v7, 3, v1 :: v_dual_bitop2_b32 v4, s30, v6 bitop3:0x54
	s_lshl_b32 s0, s1, 5
	v_dual_mov_b32 v1, v3 :: v_dual_add_nc_u32 v12, s0, v11
	s_delay_alu instid0(VALU_DEP_2) | instskip(SKIP_1) | instid1(VALU_DEP_3)
	v_dual_add_nc_u32 v14, s0, v7 :: v_dual_ashrrev_i32 v5, 31, v4
	v_cmp_gt_i32_e64 s0, s20, v4
	v_mul_u64_e32 v[18:19], s[24:25], v[0:1]
	s_delay_alu instid0(VALU_DEP_4) | instskip(SKIP_3) | instid1(VALU_DEP_4)
	v_add_nc_u32_e32 v20, 16, v12
	v_lshlrev_b32_e32 v1, 3, v0
	v_mul_u64_e32 v[16:17], s[2:3], v[4:5]
	v_dual_lshlrev_b32 v5, 3, v6 :: v_dual_ashrrev_i32 v13, 31, v12
	v_dual_ashrrev_i32 v21, 31, v20 :: v_dual_lshlrev_b32 v36, 3, v2
	v_add_nc_u32_e32 v4, s30, v2
	v_lshl_or_b32 v15, v7, 6, v1
	s_mov_b32 s28, s18
	v_cmp_neq_f64_e64 s31, s[8:9], 0
	v_cmp_neq_f64_e64 s18, s[6:7], 0
	v_mul_u64_e32 v[8:9], s[28:29], v[20:21]
	v_add_nc_u32_e32 v35, 0x800, v15
	v_ashrrev_i32_e32 v15, 31, v14
	v_mul_u64_e32 v[6:7], s[28:29], v[12:13]
	v_add_nc_u32_e32 v10, 16, v4
	v_lshl_or_b32 v1, v34, 8, v5
	v_cmp_gt_i32_e32 vcc_lo, s20, v12
	v_cmp_le_i32_e64 s2, v4, v12
	v_ashrrev_i32_e32 v5, 31, v4
	v_cmp_le_i32_e64 s3, v10, v12
	s_cmp_gt_i32 s21, 0
	v_lshlrev_b32_e32 v2, 3, v34
	s_cselect_b32 s33, -1, 0
	s_lshl_b64 s[12:13], s[12:13], 3
	s_and_b32 s28, vcc_lo, s2
	s_and_b32 s29, vcc_lo, s3
	v_cmp_gt_i32_e32 vcc_lo, s20, v20
	v_cmp_le_i32_e64 s2, v4, v20
	s_lshl_b64 s[4:5], s[4:5], 3
	v_cmp_gt_i32_e64 s1, s20, v14
	v_lshl_add_u32 v37, v11, 6, 0x800
	v_ashrrev_i32_e32 v11, 31, v10
	v_lshl_add_u64 v[12:13], v[16:17], 3, s[12:13]
	v_lshl_add_u64 v[16:17], v[18:19], 3, s[4:5]
	s_and_b32 s12, vcc_lo, s2
	v_cmp_le_i32_e64 s2, v10, v20
	s_lshl_b64 s[4:5], s[26:27], 3
	v_add_nc_u64_e32 v[12:13], v[12:13], v[2:3]
	v_lshl_add_u64 v[14:15], v[14:15], 3, v[16:17]
	s_and_b32 s13, s31, s33
	s_and_b32 s20, vcc_lo, s2
	s_lshl_b64 s[2:3], s[24:25], 6
	s_branch .LBB349_6
.LBB349_5:                              ;   in Loop: Header=BB349_6 Depth=1
	s_wait_xcnt 0x0
	s_or_b32 exec_lo, exec_lo, s24
	s_add_co_i32 s22, s22, 0x10000
	s_delay_alu instid0(SALU_CYCLE_1)
	s_cmp_lt_u32 s22, s19
	s_cbranch_scc0 .LBB349_33
.LBB349_6:                              ; =>This Loop Header: Depth=1
                                        ;     Child Loop BB349_9 Depth 2
	v_mov_b32_e32 v2, s22
	v_mov_b64_e32 v[24:25], 0
	v_mov_b64_e32 v[20:21], 0
	;; [unrolled: 1-line block ×4, first 2 shown]
	global_load_b64 v[22:23], v2, s[16:17] scale_offset
	s_and_not1_b32 vcc_lo, exec_lo, s13
	s_cbranch_vccnz .LBB349_13
; %bb.7:                                ;   in Loop: Header=BB349_6 Depth=1
	s_lshl_b64 s[24:25], s[22:23], 3
	v_mov_b64_e32 v[16:17], 0
	s_add_nc_u64 s[26:27], s[10:11], s[24:25]
	s_add_nc_u64 s[24:25], s[14:15], s[24:25]
	s_clause 0x1
	global_load_b64 v[24:25], v3, s[26:27]
	global_load_b64 v[28:29], v3, s[24:25]
	v_mov_b64_e32 v[18:19], 0
	v_mov_b64_e32 v[20:21], 0
	s_wait_xcnt 0x0
	s_mov_b32 s24, 0
	s_wait_loadcnt 0x1
	v_add_nc_u64_e32 v[26:27], v[24:25], v[12:13]
	s_wait_loadcnt 0x0
	v_add_nc_u64_e32 v[28:29], v[28:29], v[14:15]
	v_mov_b64_e32 v[24:25], 0
	s_branch .LBB349_9
.LBB349_8:                              ;   in Loop: Header=BB349_9 Depth=2
	s_wait_xcnt 0x0
	s_or_b32 exec_lo, exec_lo, s25
	s_wait_loadcnt_dscnt 0x0
	ds_store_b64 v35, v[32:33]
	s_wait_dscnt 0x0
	s_barrier_signal -1
	s_barrier_wait -1
	ds_load_b128 v[30:33], v37
	ds_load_2addr_b64 v[38:41], v36 offset1:16
	ds_load_b128 v[42:45], v37 offset:1024
	ds_load_b128 v[46:49], v37 offset:16
	;; [unrolled: 1-line block ×3, first 2 shown]
	v_add_nc_u64_e32 v[26:27], 64, v[26:27]
	v_add_nc_u64_e32 v[28:29], s[2:3], v[28:29]
	s_add_co_i32 s24, s24, 8
	s_delay_alu instid0(SALU_CYCLE_1)
	s_cmp_lt_i32 s24, s21
	s_wait_dscnt 0x3
	v_fmac_f64_e32 v[24:25], v[38:39], v[30:31]
	v_fmac_f64_e32 v[20:21], v[40:41], v[30:31]
	s_wait_dscnt 0x2
	v_fmac_f64_e32 v[18:19], v[38:39], v[42:43]
	v_fmac_f64_e32 v[16:17], v[40:41], v[42:43]
	ds_load_2addr_b64 v[38:41], v36 offset0:32 offset1:48
	s_wait_dscnt 0x0
	v_fmac_f64_e32 v[24:25], v[38:39], v[32:33]
	v_fmac_f64_e32 v[20:21], v[40:41], v[32:33]
	v_fmac_f64_e32 v[18:19], v[38:39], v[44:45]
	v_fmac_f64_e32 v[16:17], v[40:41], v[44:45]
	ds_load_2addr_b64 v[30:33], v36 offset0:64 offset1:80
	s_wait_dscnt 0x0
	v_fmac_f64_e32 v[24:25], v[30:31], v[46:47]
	v_fmac_f64_e32 v[20:21], v[32:33], v[46:47]
	;; [unrolled: 6-line block ×3, first 2 shown]
	v_fmac_f64_e32 v[18:19], v[30:31], v[52:53]
	v_fmac_f64_e32 v[16:17], v[32:33], v[52:53]
	ds_load_b128 v[30:33], v37 offset:32
	ds_load_2addr_b64 v[38:41], v36 offset0:128 offset1:144
	ds_load_b128 v[42:45], v37 offset:1056
	ds_load_b128 v[46:49], v37 offset:48
	;; [unrolled: 1-line block ×3, first 2 shown]
	s_wait_dscnt 0x3
	v_fmac_f64_e32 v[24:25], v[38:39], v[30:31]
	v_fmac_f64_e32 v[20:21], v[40:41], v[30:31]
	s_wait_dscnt 0x2
	v_fmac_f64_e32 v[18:19], v[38:39], v[42:43]
	v_fmac_f64_e32 v[16:17], v[40:41], v[42:43]
	ds_load_2addr_b64 v[38:41], v36 offset0:160 offset1:176
	s_wait_dscnt 0x0
	v_fmac_f64_e32 v[24:25], v[38:39], v[32:33]
	v_fmac_f64_e32 v[20:21], v[40:41], v[32:33]
	;; [unrolled: 1-line block ×4, first 2 shown]
	ds_load_2addr_b64 v[30:33], v36 offset0:192 offset1:208
	s_wait_dscnt 0x0
	v_fmac_f64_e32 v[24:25], v[30:31], v[46:47]
	v_fmac_f64_e32 v[20:21], v[32:33], v[46:47]
	;; [unrolled: 1-line block ×4, first 2 shown]
	ds_load_2addr_b64 v[30:33], v36 offset0:224 offset1:240
	s_wait_dscnt 0x0
	s_barrier_signal -1
	s_barrier_wait -1
	v_fmac_f64_e32 v[24:25], v[30:31], v[48:49]
	v_fmac_f64_e32 v[20:21], v[32:33], v[48:49]
	;; [unrolled: 1-line block ×4, first 2 shown]
	s_cbranch_scc0 .LBB349_13
.LBB349_9:                              ;   Parent Loop BB349_6 Depth=1
                                        ; =>  This Inner Loop Header: Depth=2
	v_add_nc_u32_e32 v2, s24, v34
	v_mov_b64_e32 v[30:31], 0
	s_delay_alu instid0(VALU_DEP_2) | instskip(SKIP_1) | instid1(SALU_CYCLE_1)
	v_cmp_gt_i32_e32 vcc_lo, s21, v2
	s_and_b32 s26, s0, vcc_lo
	s_and_saveexec_b32 s25, s26
	s_cbranch_execz .LBB349_11
; %bb.10:                               ;   in Loop: Header=BB349_9 Depth=2
	flat_load_b64 v[30:31], v[26:27]
.LBB349_11:                             ;   in Loop: Header=BB349_9 Depth=2
	s_wait_xcnt 0x0
	s_or_b32 exec_lo, exec_lo, s25
	v_add_nc_u32_e32 v2, s24, v0
	v_mov_b64_e32 v[32:33], 0
	s_wait_loadcnt_dscnt 0x0
	ds_store_b64 v1, v[30:31]
	v_cmp_gt_i32_e32 vcc_lo, s21, v2
	s_and_b32 s26, vcc_lo, s1
	s_delay_alu instid0(SALU_CYCLE_1)
	s_and_saveexec_b32 s25, s26
	s_cbranch_execz .LBB349_8
; %bb.12:                               ;   in Loop: Header=BB349_9 Depth=2
	flat_load_b64 v[32:33], v[28:29]
	s_branch .LBB349_8
.LBB349_13:                             ;   in Loop: Header=BB349_6 Depth=1
	s_wait_loadcnt 0x0
	v_add_nc_u64_e32 v[22:23], s[4:5], v[22:23]
	s_delay_alu instid0(VALU_DEP_1)
	v_lshl_add_u64 v[26:27], v[6:7], 3, v[22:23]
	s_wait_xcnt 0x0
	s_and_saveexec_b32 s24, s28
	s_cbranch_execz .LBB349_17
; %bb.14:                               ;   in Loop: Header=BB349_6 Depth=1
	v_mul_f64_e32 v[24:25], s[8:9], v[24:25]
	v_lshl_add_u64 v[28:29], v[4:5], 3, v[26:27]
	s_and_b32 vcc_lo, exec_lo, s18
	s_cbranch_vccz .LBB349_28
; %bb.15:                               ;   in Loop: Header=BB349_6 Depth=1
	flat_load_b64 v[30:31], v[28:29]
	s_wait_loadcnt_dscnt 0x0
	v_fma_f64 v[30:31], s[6:7], v[30:31], v[24:25]
	flat_store_b64 v[28:29], v[30:31]
	s_cbranch_execnz .LBB349_17
.LBB349_16:                             ;   in Loop: Header=BB349_6 Depth=1
	flat_store_b64 v[28:29], v[24:25]
.LBB349_17:                             ;   in Loop: Header=BB349_6 Depth=1
	s_wait_xcnt 0x0
	s_or_b32 exec_lo, exec_lo, s24
	s_and_saveexec_b32 s24, s29
	s_cbranch_execz .LBB349_21
; %bb.18:                               ;   in Loop: Header=BB349_6 Depth=1
	v_mul_f64_e32 v[20:21], s[8:9], v[20:21]
	v_lshl_add_u64 v[24:25], v[10:11], 3, v[26:27]
	s_and_not1_b32 vcc_lo, exec_lo, s18
	s_cbranch_vccnz .LBB349_29
; %bb.19:                               ;   in Loop: Header=BB349_6 Depth=1
	flat_load_b64 v[26:27], v[24:25]
	s_wait_loadcnt_dscnt 0x0
	v_fma_f64 v[26:27], s[6:7], v[26:27], v[20:21]
	flat_store_b64 v[24:25], v[26:27]
	s_cbranch_execnz .LBB349_21
.LBB349_20:                             ;   in Loop: Header=BB349_6 Depth=1
	flat_store_b64 v[24:25], v[20:21]
.LBB349_21:                             ;   in Loop: Header=BB349_6 Depth=1
	s_wait_xcnt 0x0
	s_or_b32 exec_lo, exec_lo, s24
	v_lshl_add_u64 v[20:21], v[8:9], 3, v[22:23]
	s_and_saveexec_b32 s24, s12
	s_cbranch_execz .LBB349_25
; %bb.22:                               ;   in Loop: Header=BB349_6 Depth=1
	v_mul_f64_e32 v[18:19], s[8:9], v[18:19]
	s_delay_alu instid0(VALU_DEP_2)
	v_lshl_add_u64 v[22:23], v[4:5], 3, v[20:21]
	s_and_not1_b32 vcc_lo, exec_lo, s18
	s_cbranch_vccnz .LBB349_30
; %bb.23:                               ;   in Loop: Header=BB349_6 Depth=1
	flat_load_b64 v[24:25], v[22:23]
	s_wait_loadcnt_dscnt 0x0
	v_fma_f64 v[24:25], s[6:7], v[24:25], v[18:19]
	flat_store_b64 v[22:23], v[24:25]
	s_cbranch_execnz .LBB349_25
.LBB349_24:                             ;   in Loop: Header=BB349_6 Depth=1
	flat_store_b64 v[22:23], v[18:19]
.LBB349_25:                             ;   in Loop: Header=BB349_6 Depth=1
	s_wait_xcnt 0x0
	s_or_b32 exec_lo, exec_lo, s24
	s_and_saveexec_b32 s24, s20
	s_cbranch_execz .LBB349_5
; %bb.26:                               ;   in Loop: Header=BB349_6 Depth=1
	s_delay_alu instid0(VALU_DEP_4)
	v_mul_f64_e32 v[16:17], s[8:9], v[16:17]
	v_lshl_add_u64 v[18:19], v[10:11], 3, v[20:21]
	s_and_not1_b32 vcc_lo, exec_lo, s18
	s_cbranch_vccnz .LBB349_31
; %bb.27:                               ;   in Loop: Header=BB349_6 Depth=1
	flat_load_b64 v[20:21], v[18:19]
	s_wait_loadcnt_dscnt 0x0
	v_fma_f64 v[20:21], s[6:7], v[20:21], v[16:17]
	flat_store_b64 v[18:19], v[20:21]
	s_cbranch_execnz .LBB349_5
	s_branch .LBB349_32
.LBB349_28:                             ;   in Loop: Header=BB349_6 Depth=1
	s_branch .LBB349_16
.LBB349_29:                             ;   in Loop: Header=BB349_6 Depth=1
	s_branch .LBB349_20
.LBB349_30:                             ;   in Loop: Header=BB349_6 Depth=1
	s_branch .LBB349_24
.LBB349_31:                             ;   in Loop: Header=BB349_6 Depth=1
.LBB349_32:                             ;   in Loop: Header=BB349_6 Depth=1
	flat_store_b64 v[18:19], v[16:17]
	s_branch .LBB349_5
.LBB349_33:
	s_endpgm
	.section	.rodata,"a",@progbits
	.p2align	6, 0x0
	.amdhsa_kernel _ZL29rocblas_internal_gemmt_kernelIiLi16ELi32ELi8ELc67ELc84ELc85ELb0ELb0EddPKPKdPKPdEviT_T9_T10_S7_lS9_S7_lS8_T11_S7_li
		.amdhsa_group_segment_fixed_size 4096
		.amdhsa_private_segment_fixed_size 0
		.amdhsa_kernarg_size 100
		.amdhsa_user_sgpr_count 2
		.amdhsa_user_sgpr_dispatch_ptr 0
		.amdhsa_user_sgpr_queue_ptr 0
		.amdhsa_user_sgpr_kernarg_segment_ptr 1
		.amdhsa_user_sgpr_dispatch_id 0
		.amdhsa_user_sgpr_kernarg_preload_length 0
		.amdhsa_user_sgpr_kernarg_preload_offset 0
		.amdhsa_user_sgpr_private_segment_size 0
		.amdhsa_wavefront_size32 1
		.amdhsa_uses_dynamic_stack 0
		.amdhsa_enable_private_segment 0
		.amdhsa_system_sgpr_workgroup_id_x 1
		.amdhsa_system_sgpr_workgroup_id_y 1
		.amdhsa_system_sgpr_workgroup_id_z 1
		.amdhsa_system_sgpr_workgroup_info 0
		.amdhsa_system_vgpr_workitem_id 1
		.amdhsa_next_free_vgpr 54
		.amdhsa_next_free_sgpr 34
		.amdhsa_named_barrier_count 0
		.amdhsa_reserve_vcc 1
		.amdhsa_float_round_mode_32 0
		.amdhsa_float_round_mode_16_64 0
		.amdhsa_float_denorm_mode_32 3
		.amdhsa_float_denorm_mode_16_64 3
		.amdhsa_fp16_overflow 0
		.amdhsa_memory_ordered 1
		.amdhsa_forward_progress 1
		.amdhsa_inst_pref_size 14
		.amdhsa_round_robin_scheduling 0
		.amdhsa_exception_fp_ieee_invalid_op 0
		.amdhsa_exception_fp_denorm_src 0
		.amdhsa_exception_fp_ieee_div_zero 0
		.amdhsa_exception_fp_ieee_overflow 0
		.amdhsa_exception_fp_ieee_underflow 0
		.amdhsa_exception_fp_ieee_inexact 0
		.amdhsa_exception_int_div_zero 0
	.end_amdhsa_kernel
	.section	.text._ZL29rocblas_internal_gemmt_kernelIiLi16ELi32ELi8ELc67ELc84ELc85ELb0ELb0EddPKPKdPKPdEviT_T9_T10_S7_lS9_S7_lS8_T11_S7_li,"axG",@progbits,_ZL29rocblas_internal_gemmt_kernelIiLi16ELi32ELi8ELc67ELc84ELc85ELb0ELb0EddPKPKdPKPdEviT_T9_T10_S7_lS9_S7_lS8_T11_S7_li,comdat
.Lfunc_end349:
	.size	_ZL29rocblas_internal_gemmt_kernelIiLi16ELi32ELi8ELc67ELc84ELc85ELb0ELb0EddPKPKdPKPdEviT_T9_T10_S7_lS9_S7_lS8_T11_S7_li, .Lfunc_end349-_ZL29rocblas_internal_gemmt_kernelIiLi16ELi32ELi8ELc67ELc84ELc85ELb0ELb0EddPKPKdPKPdEviT_T9_T10_S7_lS9_S7_lS8_T11_S7_li
                                        ; -- End function
	.set _ZL29rocblas_internal_gemmt_kernelIiLi16ELi32ELi8ELc67ELc84ELc85ELb0ELb0EddPKPKdPKPdEviT_T9_T10_S7_lS9_S7_lS8_T11_S7_li.num_vgpr, 54
	.set _ZL29rocblas_internal_gemmt_kernelIiLi16ELi32ELi8ELc67ELc84ELc85ELb0ELb0EddPKPKdPKPdEviT_T9_T10_S7_lS9_S7_lS8_T11_S7_li.num_agpr, 0
	.set _ZL29rocblas_internal_gemmt_kernelIiLi16ELi32ELi8ELc67ELc84ELc85ELb0ELb0EddPKPKdPKPdEviT_T9_T10_S7_lS9_S7_lS8_T11_S7_li.numbered_sgpr, 34
	.set _ZL29rocblas_internal_gemmt_kernelIiLi16ELi32ELi8ELc67ELc84ELc85ELb0ELb0EddPKPKdPKPdEviT_T9_T10_S7_lS9_S7_lS8_T11_S7_li.num_named_barrier, 0
	.set _ZL29rocblas_internal_gemmt_kernelIiLi16ELi32ELi8ELc67ELc84ELc85ELb0ELb0EddPKPKdPKPdEviT_T9_T10_S7_lS9_S7_lS8_T11_S7_li.private_seg_size, 0
	.set _ZL29rocblas_internal_gemmt_kernelIiLi16ELi32ELi8ELc67ELc84ELc85ELb0ELb0EddPKPKdPKPdEviT_T9_T10_S7_lS9_S7_lS8_T11_S7_li.uses_vcc, 1
	.set _ZL29rocblas_internal_gemmt_kernelIiLi16ELi32ELi8ELc67ELc84ELc85ELb0ELb0EddPKPKdPKPdEviT_T9_T10_S7_lS9_S7_lS8_T11_S7_li.uses_flat_scratch, 0
	.set _ZL29rocblas_internal_gemmt_kernelIiLi16ELi32ELi8ELc67ELc84ELc85ELb0ELb0EddPKPKdPKPdEviT_T9_T10_S7_lS9_S7_lS8_T11_S7_li.has_dyn_sized_stack, 0
	.set _ZL29rocblas_internal_gemmt_kernelIiLi16ELi32ELi8ELc67ELc84ELc85ELb0ELb0EddPKPKdPKPdEviT_T9_T10_S7_lS9_S7_lS8_T11_S7_li.has_recursion, 0
	.set _ZL29rocblas_internal_gemmt_kernelIiLi16ELi32ELi8ELc67ELc84ELc85ELb0ELb0EddPKPKdPKPdEviT_T9_T10_S7_lS9_S7_lS8_T11_S7_li.has_indirect_call, 0
	.section	.AMDGPU.csdata,"",@progbits
; Kernel info:
; codeLenInByte = 1672
; TotalNumSgprs: 36
; NumVgprs: 54
; ScratchSize: 0
; MemoryBound: 0
; FloatMode: 240
; IeeeMode: 1
; LDSByteSize: 4096 bytes/workgroup (compile time only)
; SGPRBlocks: 0
; VGPRBlocks: 3
; NumSGPRsForWavesPerEU: 36
; NumVGPRsForWavesPerEU: 54
; NamedBarCnt: 0
; Occupancy: 16
; WaveLimiterHint : 1
; COMPUTE_PGM_RSRC2:SCRATCH_EN: 0
; COMPUTE_PGM_RSRC2:USER_SGPR: 2
; COMPUTE_PGM_RSRC2:TRAP_HANDLER: 0
; COMPUTE_PGM_RSRC2:TGID_X_EN: 1
; COMPUTE_PGM_RSRC2:TGID_Y_EN: 1
; COMPUTE_PGM_RSRC2:TGID_Z_EN: 1
; COMPUTE_PGM_RSRC2:TIDIG_COMP_CNT: 1
	.section	.text._ZL29rocblas_internal_gemmt_kernelIiLi16ELi32ELi8ELc67ELc67ELc85ELb0ELb0EddPKPKdPKPdEviT_T9_T10_S7_lS9_S7_lS8_T11_S7_li,"axG",@progbits,_ZL29rocblas_internal_gemmt_kernelIiLi16ELi32ELi8ELc67ELc67ELc85ELb0ELb0EddPKPKdPKPdEviT_T9_T10_S7_lS9_S7_lS8_T11_S7_li,comdat
	.globl	_ZL29rocblas_internal_gemmt_kernelIiLi16ELi32ELi8ELc67ELc67ELc85ELb0ELb0EddPKPKdPKPdEviT_T9_T10_S7_lS9_S7_lS8_T11_S7_li ; -- Begin function _ZL29rocblas_internal_gemmt_kernelIiLi16ELi32ELi8ELc67ELc67ELc85ELb0ELb0EddPKPKdPKPdEviT_T9_T10_S7_lS9_S7_lS8_T11_S7_li
	.p2align	8
	.type	_ZL29rocblas_internal_gemmt_kernelIiLi16ELi32ELi8ELc67ELc67ELc85ELb0ELb0EddPKPKdPKPdEviT_T9_T10_S7_lS9_S7_lS8_T11_S7_li,@function
_ZL29rocblas_internal_gemmt_kernelIiLi16ELi32ELi8ELc67ELc67ELc85ELb0ELb0EddPKPKdPKPdEviT_T9_T10_S7_lS9_S7_lS8_T11_S7_li: ; @_ZL29rocblas_internal_gemmt_kernelIiLi16ELi32ELi8ELc67ELc67ELc85ELb0ELb0EddPKPKdPKPdEviT_T9_T10_S7_lS9_S7_lS8_T11_S7_li
; %bb.0:
	s_clause 0x2
	s_load_b128 s[4:7], s[0:1], 0x38
	s_load_b64 s[20:21], s[0:1], 0x0
	s_load_b128 s[8:11], s[0:1], 0x8
	s_wait_kmcnt 0x0
	v_cmp_neq_f64_e64 s2, s[6:7], 1.0
	s_and_b32 vcc_lo, exec_lo, s2
	s_cbranch_vccnz .LBB350_2
; %bb.1:
	v_cmp_neq_f64_e64 s2, s[8:9], 0
	s_cmp_lg_u32 s21, 0
	s_cselect_b32 s3, -1, 0
	s_delay_alu instid0(SALU_CYCLE_1)
	s_and_b32 s2, s3, s2
.LBB350_2:
	s_delay_alu instid0(SALU_CYCLE_1)
	s_and_not1_b32 vcc_lo, exec_lo, s2
	s_cbranch_vccnz .LBB350_33
; %bb.3:
	s_load_b32 s19, s[0:1], 0x60
	s_bfe_u32 s2, ttmp6, 0x40014
	s_lshr_b32 s3, ttmp7, 16
	s_add_co_i32 s2, s2, 1
	s_bfe_u32 s12, ttmp6, 0x40008
	s_mul_i32 s2, s3, s2
	s_getreg_b32 s28, hwreg(HW_REG_IB_STS2, 6, 4)
	s_add_co_i32 s12, s12, s2
	s_cmp_eq_u32 s28, 0
	s_mov_b32 s23, 0
	s_cselect_b32 s22, s3, s12
	s_wait_kmcnt 0x0
	s_cmp_ge_u32 s22, s19
	s_cbranch_scc1 .LBB350_33
; %bb.4:
	s_clause 0x3
	s_load_b32 s2, s[0:1], 0x18
	s_load_b32 s24, s[0:1], 0x30
	s_load_b96 s[16:18], s[0:1], 0x48
	s_load_b128 s[12:15], s[0:1], 0x20
	v_and_b32_e32 v2, 0x3ff, v0
	v_bfe_u32 v11, v0, 10, 10
	s_load_b64 s[26:27], s[0:1], 0x58
	s_wait_xcnt 0x0
	s_bfe_u32 s1, ttmp6, 0x4000c
	s_bfe_u32 s3, ttmp6, 0x40010
	s_and_b32 s30, ttmp7, 0xffff
	s_add_co_i32 s1, s1, 1
	s_add_co_i32 s3, s3, 1
	v_lshl_add_u32 v1, v11, 4, v2
	s_and_b32 s0, ttmp6, 15
	s_bfe_u32 s31, ttmp6, 0x40004
	s_mul_i32 s1, ttmp9, s1
	s_mul_i32 s33, s30, s3
	s_add_co_i32 s0, s0, s1
	s_add_co_i32 s31, s31, s33
	v_dual_lshrrev_b32 v34, 5, v1 :: v_dual_bitop2_b32 v6, 31, v1 bitop3:0x40
	s_wait_kmcnt 0x0
	s_ashr_i32 s3, s2, 31
	s_ashr_i32 s25, s24, 31
	;; [unrolled: 1-line block ×3, first 2 shown]
	s_cmp_eq_u32 s28, 0
	v_dual_mov_b32 v3, 0 :: v_dual_bitop2_b32 v0, 7, v0 bitop3:0x40
	s_cselect_b32 s0, ttmp9, s0
	s_cselect_b32 s1, s30, s31
	s_lshl_b32 s30, s0, 5
	s_delay_alu instid0(SALU_CYCLE_1) | instskip(SKIP_1) | instid1(SALU_CYCLE_1)
	v_dual_lshrrev_b32 v7, 3, v1 :: v_dual_bitop2_b32 v4, s30, v6 bitop3:0x54
	s_lshl_b32 s0, s1, 5
	v_dual_mov_b32 v1, v3 :: v_dual_add_nc_u32 v12, s0, v11
	s_delay_alu instid0(VALU_DEP_2) | instskip(SKIP_1) | instid1(VALU_DEP_3)
	v_dual_add_nc_u32 v14, s0, v7 :: v_dual_ashrrev_i32 v5, 31, v4
	v_cmp_gt_i32_e64 s0, s20, v4
	v_mul_u64_e32 v[18:19], s[24:25], v[0:1]
	s_delay_alu instid0(VALU_DEP_4) | instskip(SKIP_3) | instid1(VALU_DEP_4)
	v_add_nc_u32_e32 v20, 16, v12
	v_lshlrev_b32_e32 v1, 3, v0
	v_mul_u64_e32 v[16:17], s[2:3], v[4:5]
	v_dual_lshlrev_b32 v5, 3, v6 :: v_dual_ashrrev_i32 v13, 31, v12
	v_dual_ashrrev_i32 v21, 31, v20 :: v_dual_lshlrev_b32 v36, 3, v2
	v_add_nc_u32_e32 v4, s30, v2
	v_lshl_or_b32 v15, v7, 6, v1
	s_mov_b32 s28, s18
	v_cmp_neq_f64_e64 s31, s[8:9], 0
	v_cmp_neq_f64_e64 s18, s[6:7], 0
	v_mul_u64_e32 v[8:9], s[28:29], v[20:21]
	v_add_nc_u32_e32 v35, 0x800, v15
	v_ashrrev_i32_e32 v15, 31, v14
	v_mul_u64_e32 v[6:7], s[28:29], v[12:13]
	v_add_nc_u32_e32 v10, 16, v4
	v_lshl_or_b32 v1, v34, 8, v5
	v_cmp_gt_i32_e32 vcc_lo, s20, v12
	v_cmp_le_i32_e64 s2, v4, v12
	v_ashrrev_i32_e32 v5, 31, v4
	v_cmp_le_i32_e64 s3, v10, v12
	s_cmp_gt_i32 s21, 0
	v_lshlrev_b32_e32 v2, 3, v34
	s_cselect_b32 s33, -1, 0
	s_lshl_b64 s[12:13], s[12:13], 3
	s_and_b32 s28, vcc_lo, s2
	s_and_b32 s29, vcc_lo, s3
	v_cmp_gt_i32_e32 vcc_lo, s20, v20
	v_cmp_le_i32_e64 s2, v4, v20
	s_lshl_b64 s[4:5], s[4:5], 3
	v_cmp_gt_i32_e64 s1, s20, v14
	v_lshl_add_u32 v37, v11, 6, 0x800
	v_ashrrev_i32_e32 v11, 31, v10
	v_lshl_add_u64 v[12:13], v[16:17], 3, s[12:13]
	v_lshl_add_u64 v[16:17], v[18:19], 3, s[4:5]
	s_and_b32 s12, vcc_lo, s2
	v_cmp_le_i32_e64 s2, v10, v20
	s_lshl_b64 s[4:5], s[26:27], 3
	v_add_nc_u64_e32 v[12:13], v[12:13], v[2:3]
	v_lshl_add_u64 v[14:15], v[14:15], 3, v[16:17]
	s_and_b32 s13, s31, s33
	s_and_b32 s20, vcc_lo, s2
	s_lshl_b64 s[2:3], s[24:25], 6
	s_branch .LBB350_6
.LBB350_5:                              ;   in Loop: Header=BB350_6 Depth=1
	s_wait_xcnt 0x0
	s_or_b32 exec_lo, exec_lo, s24
	s_add_co_i32 s22, s22, 0x10000
	s_delay_alu instid0(SALU_CYCLE_1)
	s_cmp_lt_u32 s22, s19
	s_cbranch_scc0 .LBB350_33
.LBB350_6:                              ; =>This Loop Header: Depth=1
                                        ;     Child Loop BB350_9 Depth 2
	v_mov_b32_e32 v2, s22
	v_mov_b64_e32 v[24:25], 0
	v_mov_b64_e32 v[20:21], 0
	;; [unrolled: 1-line block ×4, first 2 shown]
	global_load_b64 v[22:23], v2, s[16:17] scale_offset
	s_and_not1_b32 vcc_lo, exec_lo, s13
	s_cbranch_vccnz .LBB350_13
; %bb.7:                                ;   in Loop: Header=BB350_6 Depth=1
	s_lshl_b64 s[24:25], s[22:23], 3
	v_mov_b64_e32 v[16:17], 0
	s_add_nc_u64 s[26:27], s[10:11], s[24:25]
	s_add_nc_u64 s[24:25], s[14:15], s[24:25]
	s_clause 0x1
	global_load_b64 v[24:25], v3, s[26:27]
	global_load_b64 v[28:29], v3, s[24:25]
	v_mov_b64_e32 v[18:19], 0
	v_mov_b64_e32 v[20:21], 0
	s_wait_xcnt 0x0
	s_mov_b32 s24, 0
	s_wait_loadcnt 0x1
	v_add_nc_u64_e32 v[26:27], v[24:25], v[12:13]
	s_wait_loadcnt 0x0
	v_add_nc_u64_e32 v[28:29], v[28:29], v[14:15]
	v_mov_b64_e32 v[24:25], 0
	s_branch .LBB350_9
.LBB350_8:                              ;   in Loop: Header=BB350_9 Depth=2
	s_wait_xcnt 0x0
	s_or_b32 exec_lo, exec_lo, s25
	s_wait_loadcnt_dscnt 0x0
	ds_store_b64 v35, v[32:33]
	s_wait_dscnt 0x0
	s_barrier_signal -1
	s_barrier_wait -1
	ds_load_b128 v[30:33], v37
	ds_load_2addr_b64 v[38:41], v36 offset1:16
	ds_load_b128 v[42:45], v37 offset:1024
	ds_load_b128 v[46:49], v37 offset:16
	;; [unrolled: 1-line block ×3, first 2 shown]
	v_add_nc_u64_e32 v[26:27], 64, v[26:27]
	v_add_nc_u64_e32 v[28:29], s[2:3], v[28:29]
	s_add_co_i32 s24, s24, 8
	s_delay_alu instid0(SALU_CYCLE_1)
	s_cmp_lt_i32 s24, s21
	s_wait_dscnt 0x3
	v_fmac_f64_e32 v[24:25], v[38:39], v[30:31]
	v_fmac_f64_e32 v[20:21], v[40:41], v[30:31]
	s_wait_dscnt 0x2
	v_fmac_f64_e32 v[18:19], v[38:39], v[42:43]
	v_fmac_f64_e32 v[16:17], v[40:41], v[42:43]
	ds_load_2addr_b64 v[38:41], v36 offset0:32 offset1:48
	s_wait_dscnt 0x0
	v_fmac_f64_e32 v[24:25], v[38:39], v[32:33]
	v_fmac_f64_e32 v[20:21], v[40:41], v[32:33]
	v_fmac_f64_e32 v[18:19], v[38:39], v[44:45]
	v_fmac_f64_e32 v[16:17], v[40:41], v[44:45]
	ds_load_2addr_b64 v[30:33], v36 offset0:64 offset1:80
	s_wait_dscnt 0x0
	v_fmac_f64_e32 v[24:25], v[30:31], v[46:47]
	v_fmac_f64_e32 v[20:21], v[32:33], v[46:47]
	;; [unrolled: 6-line block ×3, first 2 shown]
	v_fmac_f64_e32 v[18:19], v[30:31], v[52:53]
	v_fmac_f64_e32 v[16:17], v[32:33], v[52:53]
	ds_load_b128 v[30:33], v37 offset:32
	ds_load_2addr_b64 v[38:41], v36 offset0:128 offset1:144
	ds_load_b128 v[42:45], v37 offset:1056
	ds_load_b128 v[46:49], v37 offset:48
	;; [unrolled: 1-line block ×3, first 2 shown]
	s_wait_dscnt 0x3
	v_fmac_f64_e32 v[24:25], v[38:39], v[30:31]
	v_fmac_f64_e32 v[20:21], v[40:41], v[30:31]
	s_wait_dscnt 0x2
	v_fmac_f64_e32 v[18:19], v[38:39], v[42:43]
	v_fmac_f64_e32 v[16:17], v[40:41], v[42:43]
	ds_load_2addr_b64 v[38:41], v36 offset0:160 offset1:176
	s_wait_dscnt 0x0
	v_fmac_f64_e32 v[24:25], v[38:39], v[32:33]
	v_fmac_f64_e32 v[20:21], v[40:41], v[32:33]
	;; [unrolled: 1-line block ×4, first 2 shown]
	ds_load_2addr_b64 v[30:33], v36 offset0:192 offset1:208
	s_wait_dscnt 0x0
	v_fmac_f64_e32 v[24:25], v[30:31], v[46:47]
	v_fmac_f64_e32 v[20:21], v[32:33], v[46:47]
	;; [unrolled: 1-line block ×4, first 2 shown]
	ds_load_2addr_b64 v[30:33], v36 offset0:224 offset1:240
	s_wait_dscnt 0x0
	s_barrier_signal -1
	s_barrier_wait -1
	v_fmac_f64_e32 v[24:25], v[30:31], v[48:49]
	v_fmac_f64_e32 v[20:21], v[32:33], v[48:49]
	;; [unrolled: 1-line block ×4, first 2 shown]
	s_cbranch_scc0 .LBB350_13
.LBB350_9:                              ;   Parent Loop BB350_6 Depth=1
                                        ; =>  This Inner Loop Header: Depth=2
	v_add_nc_u32_e32 v2, s24, v34
	v_mov_b64_e32 v[30:31], 0
	s_delay_alu instid0(VALU_DEP_2) | instskip(SKIP_1) | instid1(SALU_CYCLE_1)
	v_cmp_gt_i32_e32 vcc_lo, s21, v2
	s_and_b32 s26, s0, vcc_lo
	s_and_saveexec_b32 s25, s26
	s_cbranch_execz .LBB350_11
; %bb.10:                               ;   in Loop: Header=BB350_9 Depth=2
	flat_load_b64 v[30:31], v[26:27]
.LBB350_11:                             ;   in Loop: Header=BB350_9 Depth=2
	s_wait_xcnt 0x0
	s_or_b32 exec_lo, exec_lo, s25
	v_add_nc_u32_e32 v2, s24, v0
	v_mov_b64_e32 v[32:33], 0
	s_wait_loadcnt_dscnt 0x0
	ds_store_b64 v1, v[30:31]
	v_cmp_gt_i32_e32 vcc_lo, s21, v2
	s_and_b32 s26, vcc_lo, s1
	s_delay_alu instid0(SALU_CYCLE_1)
	s_and_saveexec_b32 s25, s26
	s_cbranch_execz .LBB350_8
; %bb.12:                               ;   in Loop: Header=BB350_9 Depth=2
	flat_load_b64 v[32:33], v[28:29]
	s_branch .LBB350_8
.LBB350_13:                             ;   in Loop: Header=BB350_6 Depth=1
	s_wait_loadcnt 0x0
	v_add_nc_u64_e32 v[22:23], s[4:5], v[22:23]
	s_delay_alu instid0(VALU_DEP_1)
	v_lshl_add_u64 v[26:27], v[6:7], 3, v[22:23]
	s_wait_xcnt 0x0
	s_and_saveexec_b32 s24, s28
	s_cbranch_execz .LBB350_17
; %bb.14:                               ;   in Loop: Header=BB350_6 Depth=1
	v_mul_f64_e32 v[24:25], s[8:9], v[24:25]
	v_lshl_add_u64 v[28:29], v[4:5], 3, v[26:27]
	s_and_b32 vcc_lo, exec_lo, s18
	s_cbranch_vccz .LBB350_28
; %bb.15:                               ;   in Loop: Header=BB350_6 Depth=1
	flat_load_b64 v[30:31], v[28:29]
	s_wait_loadcnt_dscnt 0x0
	v_fma_f64 v[30:31], s[6:7], v[30:31], v[24:25]
	flat_store_b64 v[28:29], v[30:31]
	s_cbranch_execnz .LBB350_17
.LBB350_16:                             ;   in Loop: Header=BB350_6 Depth=1
	flat_store_b64 v[28:29], v[24:25]
.LBB350_17:                             ;   in Loop: Header=BB350_6 Depth=1
	s_wait_xcnt 0x0
	s_or_b32 exec_lo, exec_lo, s24
	s_and_saveexec_b32 s24, s29
	s_cbranch_execz .LBB350_21
; %bb.18:                               ;   in Loop: Header=BB350_6 Depth=1
	v_mul_f64_e32 v[20:21], s[8:9], v[20:21]
	v_lshl_add_u64 v[24:25], v[10:11], 3, v[26:27]
	s_and_not1_b32 vcc_lo, exec_lo, s18
	s_cbranch_vccnz .LBB350_29
; %bb.19:                               ;   in Loop: Header=BB350_6 Depth=1
	flat_load_b64 v[26:27], v[24:25]
	s_wait_loadcnt_dscnt 0x0
	v_fma_f64 v[26:27], s[6:7], v[26:27], v[20:21]
	flat_store_b64 v[24:25], v[26:27]
	s_cbranch_execnz .LBB350_21
.LBB350_20:                             ;   in Loop: Header=BB350_6 Depth=1
	flat_store_b64 v[24:25], v[20:21]
.LBB350_21:                             ;   in Loop: Header=BB350_6 Depth=1
	s_wait_xcnt 0x0
	s_or_b32 exec_lo, exec_lo, s24
	v_lshl_add_u64 v[20:21], v[8:9], 3, v[22:23]
	s_and_saveexec_b32 s24, s12
	s_cbranch_execz .LBB350_25
; %bb.22:                               ;   in Loop: Header=BB350_6 Depth=1
	v_mul_f64_e32 v[18:19], s[8:9], v[18:19]
	s_delay_alu instid0(VALU_DEP_2)
	v_lshl_add_u64 v[22:23], v[4:5], 3, v[20:21]
	s_and_not1_b32 vcc_lo, exec_lo, s18
	s_cbranch_vccnz .LBB350_30
; %bb.23:                               ;   in Loop: Header=BB350_6 Depth=1
	flat_load_b64 v[24:25], v[22:23]
	s_wait_loadcnt_dscnt 0x0
	v_fma_f64 v[24:25], s[6:7], v[24:25], v[18:19]
	flat_store_b64 v[22:23], v[24:25]
	s_cbranch_execnz .LBB350_25
.LBB350_24:                             ;   in Loop: Header=BB350_6 Depth=1
	flat_store_b64 v[22:23], v[18:19]
.LBB350_25:                             ;   in Loop: Header=BB350_6 Depth=1
	s_wait_xcnt 0x0
	s_or_b32 exec_lo, exec_lo, s24
	s_and_saveexec_b32 s24, s20
	s_cbranch_execz .LBB350_5
; %bb.26:                               ;   in Loop: Header=BB350_6 Depth=1
	s_delay_alu instid0(VALU_DEP_4)
	v_mul_f64_e32 v[16:17], s[8:9], v[16:17]
	v_lshl_add_u64 v[18:19], v[10:11], 3, v[20:21]
	s_and_not1_b32 vcc_lo, exec_lo, s18
	s_cbranch_vccnz .LBB350_31
; %bb.27:                               ;   in Loop: Header=BB350_6 Depth=1
	flat_load_b64 v[20:21], v[18:19]
	s_wait_loadcnt_dscnt 0x0
	v_fma_f64 v[20:21], s[6:7], v[20:21], v[16:17]
	flat_store_b64 v[18:19], v[20:21]
	s_cbranch_execnz .LBB350_5
	s_branch .LBB350_32
.LBB350_28:                             ;   in Loop: Header=BB350_6 Depth=1
	s_branch .LBB350_16
.LBB350_29:                             ;   in Loop: Header=BB350_6 Depth=1
	s_branch .LBB350_20
.LBB350_30:                             ;   in Loop: Header=BB350_6 Depth=1
	s_branch .LBB350_24
.LBB350_31:                             ;   in Loop: Header=BB350_6 Depth=1
.LBB350_32:                             ;   in Loop: Header=BB350_6 Depth=1
	flat_store_b64 v[18:19], v[16:17]
	s_branch .LBB350_5
.LBB350_33:
	s_endpgm
	.section	.rodata,"a",@progbits
	.p2align	6, 0x0
	.amdhsa_kernel _ZL29rocblas_internal_gemmt_kernelIiLi16ELi32ELi8ELc67ELc67ELc85ELb0ELb0EddPKPKdPKPdEviT_T9_T10_S7_lS9_S7_lS8_T11_S7_li
		.amdhsa_group_segment_fixed_size 4096
		.amdhsa_private_segment_fixed_size 0
		.amdhsa_kernarg_size 100
		.amdhsa_user_sgpr_count 2
		.amdhsa_user_sgpr_dispatch_ptr 0
		.amdhsa_user_sgpr_queue_ptr 0
		.amdhsa_user_sgpr_kernarg_segment_ptr 1
		.amdhsa_user_sgpr_dispatch_id 0
		.amdhsa_user_sgpr_kernarg_preload_length 0
		.amdhsa_user_sgpr_kernarg_preload_offset 0
		.amdhsa_user_sgpr_private_segment_size 0
		.amdhsa_wavefront_size32 1
		.amdhsa_uses_dynamic_stack 0
		.amdhsa_enable_private_segment 0
		.amdhsa_system_sgpr_workgroup_id_x 1
		.amdhsa_system_sgpr_workgroup_id_y 1
		.amdhsa_system_sgpr_workgroup_id_z 1
		.amdhsa_system_sgpr_workgroup_info 0
		.amdhsa_system_vgpr_workitem_id 1
		.amdhsa_next_free_vgpr 54
		.amdhsa_next_free_sgpr 34
		.amdhsa_named_barrier_count 0
		.amdhsa_reserve_vcc 1
		.amdhsa_float_round_mode_32 0
		.amdhsa_float_round_mode_16_64 0
		.amdhsa_float_denorm_mode_32 3
		.amdhsa_float_denorm_mode_16_64 3
		.amdhsa_fp16_overflow 0
		.amdhsa_memory_ordered 1
		.amdhsa_forward_progress 1
		.amdhsa_inst_pref_size 14
		.amdhsa_round_robin_scheduling 0
		.amdhsa_exception_fp_ieee_invalid_op 0
		.amdhsa_exception_fp_denorm_src 0
		.amdhsa_exception_fp_ieee_div_zero 0
		.amdhsa_exception_fp_ieee_overflow 0
		.amdhsa_exception_fp_ieee_underflow 0
		.amdhsa_exception_fp_ieee_inexact 0
		.amdhsa_exception_int_div_zero 0
	.end_amdhsa_kernel
	.section	.text._ZL29rocblas_internal_gemmt_kernelIiLi16ELi32ELi8ELc67ELc67ELc85ELb0ELb0EddPKPKdPKPdEviT_T9_T10_S7_lS9_S7_lS8_T11_S7_li,"axG",@progbits,_ZL29rocblas_internal_gemmt_kernelIiLi16ELi32ELi8ELc67ELc67ELc85ELb0ELb0EddPKPKdPKPdEviT_T9_T10_S7_lS9_S7_lS8_T11_S7_li,comdat
.Lfunc_end350:
	.size	_ZL29rocblas_internal_gemmt_kernelIiLi16ELi32ELi8ELc67ELc67ELc85ELb0ELb0EddPKPKdPKPdEviT_T9_T10_S7_lS9_S7_lS8_T11_S7_li, .Lfunc_end350-_ZL29rocblas_internal_gemmt_kernelIiLi16ELi32ELi8ELc67ELc67ELc85ELb0ELb0EddPKPKdPKPdEviT_T9_T10_S7_lS9_S7_lS8_T11_S7_li
                                        ; -- End function
	.set _ZL29rocblas_internal_gemmt_kernelIiLi16ELi32ELi8ELc67ELc67ELc85ELb0ELb0EddPKPKdPKPdEviT_T9_T10_S7_lS9_S7_lS8_T11_S7_li.num_vgpr, 54
	.set _ZL29rocblas_internal_gemmt_kernelIiLi16ELi32ELi8ELc67ELc67ELc85ELb0ELb0EddPKPKdPKPdEviT_T9_T10_S7_lS9_S7_lS8_T11_S7_li.num_agpr, 0
	.set _ZL29rocblas_internal_gemmt_kernelIiLi16ELi32ELi8ELc67ELc67ELc85ELb0ELb0EddPKPKdPKPdEviT_T9_T10_S7_lS9_S7_lS8_T11_S7_li.numbered_sgpr, 34
	.set _ZL29rocblas_internal_gemmt_kernelIiLi16ELi32ELi8ELc67ELc67ELc85ELb0ELb0EddPKPKdPKPdEviT_T9_T10_S7_lS9_S7_lS8_T11_S7_li.num_named_barrier, 0
	.set _ZL29rocblas_internal_gemmt_kernelIiLi16ELi32ELi8ELc67ELc67ELc85ELb0ELb0EddPKPKdPKPdEviT_T9_T10_S7_lS9_S7_lS8_T11_S7_li.private_seg_size, 0
	.set _ZL29rocblas_internal_gemmt_kernelIiLi16ELi32ELi8ELc67ELc67ELc85ELb0ELb0EddPKPKdPKPdEviT_T9_T10_S7_lS9_S7_lS8_T11_S7_li.uses_vcc, 1
	.set _ZL29rocblas_internal_gemmt_kernelIiLi16ELi32ELi8ELc67ELc67ELc85ELb0ELb0EddPKPKdPKPdEviT_T9_T10_S7_lS9_S7_lS8_T11_S7_li.uses_flat_scratch, 0
	.set _ZL29rocblas_internal_gemmt_kernelIiLi16ELi32ELi8ELc67ELc67ELc85ELb0ELb0EddPKPKdPKPdEviT_T9_T10_S7_lS9_S7_lS8_T11_S7_li.has_dyn_sized_stack, 0
	.set _ZL29rocblas_internal_gemmt_kernelIiLi16ELi32ELi8ELc67ELc67ELc85ELb0ELb0EddPKPKdPKPdEviT_T9_T10_S7_lS9_S7_lS8_T11_S7_li.has_recursion, 0
	.set _ZL29rocblas_internal_gemmt_kernelIiLi16ELi32ELi8ELc67ELc67ELc85ELb0ELb0EddPKPKdPKPdEviT_T9_T10_S7_lS9_S7_lS8_T11_S7_li.has_indirect_call, 0
	.section	.AMDGPU.csdata,"",@progbits
; Kernel info:
; codeLenInByte = 1672
; TotalNumSgprs: 36
; NumVgprs: 54
; ScratchSize: 0
; MemoryBound: 0
; FloatMode: 240
; IeeeMode: 1
; LDSByteSize: 4096 bytes/workgroup (compile time only)
; SGPRBlocks: 0
; VGPRBlocks: 3
; NumSGPRsForWavesPerEU: 36
; NumVGPRsForWavesPerEU: 54
; NamedBarCnt: 0
; Occupancy: 16
; WaveLimiterHint : 1
; COMPUTE_PGM_RSRC2:SCRATCH_EN: 0
; COMPUTE_PGM_RSRC2:USER_SGPR: 2
; COMPUTE_PGM_RSRC2:TRAP_HANDLER: 0
; COMPUTE_PGM_RSRC2:TGID_X_EN: 1
; COMPUTE_PGM_RSRC2:TGID_Y_EN: 1
; COMPUTE_PGM_RSRC2:TGID_Z_EN: 1
; COMPUTE_PGM_RSRC2:TIDIG_COMP_CNT: 1
	.section	.text._ZL29rocblas_internal_gemmt_kernelIiLi16ELi32ELi8ELc78ELc78ELc76ELb0ELb0EddPKPKdPKPdEviT_T9_T10_S7_lS9_S7_lS8_T11_S7_li,"axG",@progbits,_ZL29rocblas_internal_gemmt_kernelIiLi16ELi32ELi8ELc78ELc78ELc76ELb0ELb0EddPKPKdPKPdEviT_T9_T10_S7_lS9_S7_lS8_T11_S7_li,comdat
	.globl	_ZL29rocblas_internal_gemmt_kernelIiLi16ELi32ELi8ELc78ELc78ELc76ELb0ELb0EddPKPKdPKPdEviT_T9_T10_S7_lS9_S7_lS8_T11_S7_li ; -- Begin function _ZL29rocblas_internal_gemmt_kernelIiLi16ELi32ELi8ELc78ELc78ELc76ELb0ELb0EddPKPKdPKPdEviT_T9_T10_S7_lS9_S7_lS8_T11_S7_li
	.p2align	8
	.type	_ZL29rocblas_internal_gemmt_kernelIiLi16ELi32ELi8ELc78ELc78ELc76ELb0ELb0EddPKPKdPKPdEviT_T9_T10_S7_lS9_S7_lS8_T11_S7_li,@function
_ZL29rocblas_internal_gemmt_kernelIiLi16ELi32ELi8ELc78ELc78ELc76ELb0ELb0EddPKPKdPKPdEviT_T9_T10_S7_lS9_S7_lS8_T11_S7_li: ; @_ZL29rocblas_internal_gemmt_kernelIiLi16ELi32ELi8ELc78ELc78ELc76ELb0ELb0EddPKPKdPKPdEviT_T9_T10_S7_lS9_S7_lS8_T11_S7_li
; %bb.0:
	s_clause 0x2
	s_load_b128 s[8:11], s[0:1], 0x38
	s_load_b64 s[4:5], s[0:1], 0x0
	s_load_b128 s[12:15], s[0:1], 0x8
	s_wait_kmcnt 0x0
	v_cmp_neq_f64_e64 s2, s[10:11], 1.0
	s_and_b32 vcc_lo, exec_lo, s2
	s_cbranch_vccnz .LBB351_2
; %bb.1:
	v_cmp_neq_f64_e64 s2, s[12:13], 0
	s_cmp_lg_u32 s5, 0
	s_cselect_b32 s3, -1, 0
	s_delay_alu instid0(SALU_CYCLE_1)
	s_and_b32 s2, s3, s2
.LBB351_2:
	s_delay_alu instid0(SALU_CYCLE_1)
	s_and_not1_b32 vcc_lo, exec_lo, s2
	s_cbranch_vccnz .LBB351_33
; %bb.3:
	s_load_b32 s23, s[0:1], 0x60
	s_bfe_u32 s2, ttmp6, 0x40014
	s_lshr_b32 s3, ttmp7, 16
	s_add_co_i32 s2, s2, 1
	s_bfe_u32 s6, ttmp6, 0x40008
	s_mul_i32 s2, s3, s2
	s_getreg_b32 s28, hwreg(HW_REG_IB_STS2, 6, 4)
	s_add_co_i32 s6, s6, s2
	s_cmp_eq_u32 s28, 0
	s_mov_b32 s7, 0
	s_cselect_b32 s6, s3, s6
	s_wait_kmcnt 0x0
	s_cmp_ge_u32 s6, s23
	s_cbranch_scc1 .LBB351_33
; %bb.4:
	s_clause 0x3
	s_load_b32 s24, s[0:1], 0x18
	s_load_b32 s2, s[0:1], 0x30
	s_load_b96 s[20:22], s[0:1], 0x48
	s_load_b128 s[16:19], s[0:1], 0x20
	v_and_b32_e32 v1, 0x3ff, v0
	v_bfe_u32 v9, v0, 10, 10
	s_load_b64 s[26:27], s[0:1], 0x58
	s_wait_xcnt 0x0
	s_bfe_u32 s1, ttmp6, 0x4000c
	s_bfe_u32 s3, ttmp6, 0x40010
	s_and_b32 s30, ttmp7, 0xffff
	s_add_co_i32 s1, s1, 1
	s_add_co_i32 s3, s3, 1
	v_lshl_add_u32 v3, v9, 4, v1
	s_and_b32 s0, ttmp6, 15
	s_bfe_u32 s31, ttmp6, 0x40004
	s_mul_i32 s1, ttmp9, s1
	s_mul_i32 s33, s30, s3
	s_add_co_i32 s0, s0, s1
	s_add_co_i32 s31, s31, s33
	v_dual_lshrrev_b32 v2, 5, v3 :: v_dual_lshrrev_b32 v4, 3, v3
	s_wait_kmcnt 0x0
	s_ashr_i32 s25, s24, 31
	s_ashr_i32 s3, s2, 31
	;; [unrolled: 1-line block ×3, first 2 shown]
	s_cmp_eq_u32 s28, 0
	v_and_b32_e32 v32, 7, v0
	s_cselect_b32 s1, s30, s31
	s_cselect_b32 s0, ttmp9, s0
	s_lshl_b32 s1, s1, 5
	s_delay_alu instid0(SALU_CYCLE_1)
	v_dual_add_nc_u32 v10, s1, v4 :: v_dual_bitop2_b32 v0, 31, v3 bitop3:0x40
	v_mov_b32_e32 v3, 0
	s_mov_b32 s28, s22
	s_lshl_b32 s22, s0, 5
	v_dual_add_nc_u32 v16, s1, v9 :: v_dual_lshlrev_b32 v22, 3, v32
	v_dual_ashrrev_i32 v11, 31, v10 :: v_dual_bitop2_b32 v12, s22, v0 bitop3:0x54
	v_mul_u64_e32 v[14:15], s[24:25], v[2:3]
	s_delay_alu instid0(VALU_DEP_3) | instskip(NEXT) | instid1(VALU_DEP_3)
	v_dual_add_nc_u32 v20, 16, v16 :: v_dual_ashrrev_i32 v17, 31, v16
	v_mul_u64_e32 v[18:19], s[2:3], v[10:11]
	v_cmp_neq_f64_e64 s30, s[12:13], 0
	v_dual_lshlrev_b32 v8, 3, v0 :: v_dual_add_nc_u32 v0, s22, v1
	s_delay_alu instid0(VALU_DEP_4) | instskip(SKIP_3) | instid1(VALU_DEP_4)
	v_dual_ashrrev_i32 v21, 31, v20 :: v_dual_lshlrev_b32 v35, 3, v1
	v_lshl_or_b32 v11, v4, 6, v22
	v_cmp_neq_f64_e64 s22, s[10:11], 0
	v_mul_u64_e32 v[4:5], s[28:29], v[16:17]
	v_mul_u64_e32 v[6:7], s[28:29], v[20:21]
	v_cmp_le_i32_e32 vcc_lo, v16, v0
	v_cmp_gt_i32_e64 s2, s4, v0
	s_cmp_gt_i32 s5, 0
	v_lshl_or_b32 v33, v2, 8, v8
	s_cselect_b32 s31, -1, 0
	s_lshl_b64 s[16:17], s[16:17], 3
	s_lshl_b64 s[8:9], s[8:9], 3
	v_dual_add_nc_u32 v8, 16, v0 :: v_dual_ashrrev_i32 v1, 31, v0
	v_cmp_gt_i32_e64 s1, s4, v10
	v_dual_mov_b32 v23, v3 :: v_dual_add_nc_u32 v34, 0x800, v11
	s_and_b32 s28, vcc_lo, s2
	v_cmp_le_i32_e32 vcc_lo, v20, v0
	v_ashrrev_i32_e32 v13, 31, v12
	v_cmp_gt_i32_e64 s0, s4, v12
	v_cmp_le_i32_e64 s3, v16, v8
	v_cmp_gt_i32_e64 s4, s4, v8
	v_lshl_add_u32 v36, v9, 6, 0x800
	v_lshl_add_u64 v[10:11], v[14:15], 3, s[16:17]
	s_and_b32 s16, vcc_lo, s2
	v_cmp_le_i32_e32 vcc_lo, v20, v8
	v_lshl_add_u64 v[14:15], v[18:19], 3, s[8:9]
	v_ashrrev_i32_e32 v9, 31, v8
	v_lshl_add_u64 v[10:11], v[12:13], 3, v[10:11]
	s_and_b32 s29, s3, s4
	s_and_b32 s17, s30, s31
	v_add_nc_u64_e32 v[12:13], v[14:15], v[22:23]
	s_and_b32 s4, vcc_lo, s4
	s_lshl_b64 s[2:3], s[24:25], 6
	s_lshl_b64 s[8:9], s[26:27], 3
	s_branch .LBB351_6
.LBB351_5:                              ;   in Loop: Header=BB351_6 Depth=1
	s_wait_xcnt 0x0
	s_or_b32 exec_lo, exec_lo, s24
	s_add_co_i32 s6, s6, 0x10000
	s_delay_alu instid0(SALU_CYCLE_1)
	s_cmp_lt_u32 s6, s23
	s_cbranch_scc0 .LBB351_33
.LBB351_6:                              ; =>This Loop Header: Depth=1
                                        ;     Child Loop BB351_9 Depth 2
	v_mov_b32_e32 v14, s6
	v_mov_b64_e32 v[22:23], 0
	v_mov_b64_e32 v[18:19], 0
	;; [unrolled: 1-line block ×3, first 2 shown]
	s_and_not1_b32 vcc_lo, exec_lo, s17
	global_load_b64 v[20:21], v14, s[20:21] scale_offset
	s_wait_xcnt 0x0
	v_mov_b64_e32 v[14:15], 0
	s_cbranch_vccnz .LBB351_13
; %bb.7:                                ;   in Loop: Header=BB351_6 Depth=1
	s_lshl_b64 s[24:25], s[6:7], 3
	v_mov_b64_e32 v[14:15], 0
	s_add_nc_u64 s[26:27], s[14:15], s[24:25]
	s_add_nc_u64 s[24:25], s[18:19], s[24:25]
	s_clause 0x1
	global_load_b64 v[22:23], v3, s[26:27]
	global_load_b64 v[26:27], v3, s[24:25]
	v_mov_b64_e32 v[16:17], 0
	v_mov_b64_e32 v[18:19], 0
	s_wait_xcnt 0x0
	s_mov_b32 s24, 0
	s_wait_loadcnt 0x1
	v_add_nc_u64_e32 v[24:25], v[22:23], v[10:11]
	s_wait_loadcnt 0x0
	v_add_nc_u64_e32 v[26:27], v[26:27], v[12:13]
	v_mov_b64_e32 v[22:23], 0
	s_branch .LBB351_9
.LBB351_8:                              ;   in Loop: Header=BB351_9 Depth=2
	s_wait_xcnt 0x0
	s_or_b32 exec_lo, exec_lo, s25
	s_wait_loadcnt_dscnt 0x0
	ds_store_b64 v34, v[30:31]
	s_wait_dscnt 0x0
	s_barrier_signal -1
	s_barrier_wait -1
	ds_load_b128 v[28:31], v36
	ds_load_2addr_b64 v[38:41], v35 offset1:16
	ds_load_b128 v[42:45], v36 offset:1024
	ds_load_b128 v[46:49], v36 offset:16
	;; [unrolled: 1-line block ×3, first 2 shown]
	v_add_nc_u64_e32 v[24:25], s[2:3], v[24:25]
	v_add_nc_u64_e32 v[26:27], 64, v[26:27]
	s_add_co_i32 s24, s24, 8
	s_delay_alu instid0(SALU_CYCLE_1)
	s_cmp_lt_i32 s24, s5
	s_wait_dscnt 0x3
	v_fmac_f64_e32 v[22:23], v[38:39], v[28:29]
	v_fmac_f64_e32 v[18:19], v[40:41], v[28:29]
	s_wait_dscnt 0x2
	v_fmac_f64_e32 v[16:17], v[38:39], v[42:43]
	v_fmac_f64_e32 v[14:15], v[40:41], v[42:43]
	ds_load_2addr_b64 v[38:41], v35 offset0:32 offset1:48
	s_wait_dscnt 0x0
	v_fmac_f64_e32 v[22:23], v[38:39], v[30:31]
	v_fmac_f64_e32 v[18:19], v[40:41], v[30:31]
	v_fmac_f64_e32 v[16:17], v[38:39], v[44:45]
	v_fmac_f64_e32 v[14:15], v[40:41], v[44:45]
	ds_load_2addr_b64 v[28:31], v35 offset0:64 offset1:80
	s_wait_dscnt 0x0
	v_fmac_f64_e32 v[22:23], v[28:29], v[46:47]
	v_fmac_f64_e32 v[18:19], v[30:31], v[46:47]
	;; [unrolled: 6-line block ×3, first 2 shown]
	v_fmac_f64_e32 v[16:17], v[28:29], v[52:53]
	v_fmac_f64_e32 v[14:15], v[30:31], v[52:53]
	ds_load_b128 v[28:31], v36 offset:32
	ds_load_2addr_b64 v[38:41], v35 offset0:128 offset1:144
	ds_load_b128 v[42:45], v36 offset:1056
	ds_load_b128 v[46:49], v36 offset:48
	;; [unrolled: 1-line block ×3, first 2 shown]
	s_wait_dscnt 0x3
	v_fmac_f64_e32 v[22:23], v[38:39], v[28:29]
	v_fmac_f64_e32 v[18:19], v[40:41], v[28:29]
	s_wait_dscnt 0x2
	v_fmac_f64_e32 v[16:17], v[38:39], v[42:43]
	v_fmac_f64_e32 v[14:15], v[40:41], v[42:43]
	ds_load_2addr_b64 v[38:41], v35 offset0:160 offset1:176
	s_wait_dscnt 0x0
	v_fmac_f64_e32 v[22:23], v[38:39], v[30:31]
	v_fmac_f64_e32 v[18:19], v[40:41], v[30:31]
	v_fmac_f64_e32 v[16:17], v[38:39], v[44:45]
	v_fmac_f64_e32 v[14:15], v[40:41], v[44:45]
	ds_load_2addr_b64 v[28:31], v35 offset0:192 offset1:208
	s_wait_dscnt 0x0
	v_fmac_f64_e32 v[22:23], v[28:29], v[46:47]
	v_fmac_f64_e32 v[18:19], v[30:31], v[46:47]
	;; [unrolled: 1-line block ×4, first 2 shown]
	ds_load_2addr_b64 v[28:31], v35 offset0:224 offset1:240
	s_wait_dscnt 0x0
	s_barrier_signal -1
	s_barrier_wait -1
	v_fmac_f64_e32 v[22:23], v[28:29], v[48:49]
	v_fmac_f64_e32 v[18:19], v[30:31], v[48:49]
	;; [unrolled: 1-line block ×4, first 2 shown]
	s_cbranch_scc0 .LBB351_13
.LBB351_9:                              ;   Parent Loop BB351_6 Depth=1
                                        ; =>  This Inner Loop Header: Depth=2
	v_add_nc_u32_e32 v28, s24, v2
	s_delay_alu instid0(VALU_DEP_1) | instskip(SKIP_2) | instid1(SALU_CYCLE_1)
	v_cmp_gt_i32_e32 vcc_lo, s5, v28
	v_mov_b64_e32 v[28:29], 0
	s_and_b32 s26, s0, vcc_lo
	s_and_saveexec_b32 s25, s26
	s_cbranch_execz .LBB351_11
; %bb.10:                               ;   in Loop: Header=BB351_9 Depth=2
	flat_load_b64 v[28:29], v[24:25]
.LBB351_11:                             ;   in Loop: Header=BB351_9 Depth=2
	s_wait_xcnt 0x0
	s_or_b32 exec_lo, exec_lo, s25
	v_add_nc_u32_e32 v30, s24, v32
	s_wait_loadcnt_dscnt 0x0
	ds_store_b64 v33, v[28:29]
	v_cmp_gt_i32_e32 vcc_lo, s5, v30
	v_mov_b64_e32 v[30:31], 0
	s_and_b32 s26, vcc_lo, s1
	s_delay_alu instid0(SALU_CYCLE_1)
	s_and_saveexec_b32 s25, s26
	s_cbranch_execz .LBB351_8
; %bb.12:                               ;   in Loop: Header=BB351_9 Depth=2
	flat_load_b64 v[30:31], v[26:27]
	s_branch .LBB351_8
.LBB351_13:                             ;   in Loop: Header=BB351_6 Depth=1
	s_wait_loadcnt 0x0
	v_add_nc_u64_e32 v[20:21], s[8:9], v[20:21]
	s_delay_alu instid0(VALU_DEP_1)
	v_lshl_add_u64 v[24:25], v[4:5], 3, v[20:21]
	s_and_saveexec_b32 s24, s28
	s_cbranch_execz .LBB351_17
; %bb.14:                               ;   in Loop: Header=BB351_6 Depth=1
	v_mul_f64_e32 v[22:23], s[12:13], v[22:23]
	s_delay_alu instid0(VALU_DEP_2)
	v_lshl_add_u64 v[26:27], v[0:1], 3, v[24:25]
	s_and_b32 vcc_lo, exec_lo, s22
	s_cbranch_vccz .LBB351_28
; %bb.15:                               ;   in Loop: Header=BB351_6 Depth=1
	flat_load_b64 v[28:29], v[26:27]
	s_wait_loadcnt_dscnt 0x0
	v_fma_f64 v[28:29], s[10:11], v[28:29], v[22:23]
	flat_store_b64 v[26:27], v[28:29]
	s_cbranch_execnz .LBB351_17
.LBB351_16:                             ;   in Loop: Header=BB351_6 Depth=1
	flat_store_b64 v[26:27], v[22:23]
.LBB351_17:                             ;   in Loop: Header=BB351_6 Depth=1
	s_wait_xcnt 0x0
	s_or_b32 exec_lo, exec_lo, s24
	s_and_saveexec_b32 s24, s29
	s_cbranch_execz .LBB351_21
; %bb.18:                               ;   in Loop: Header=BB351_6 Depth=1
	v_mul_f64_e32 v[18:19], s[12:13], v[18:19]
	v_lshl_add_u64 v[22:23], v[8:9], 3, v[24:25]
	s_and_not1_b32 vcc_lo, exec_lo, s22
	s_cbranch_vccnz .LBB351_29
; %bb.19:                               ;   in Loop: Header=BB351_6 Depth=1
	flat_load_b64 v[24:25], v[22:23]
	s_wait_loadcnt_dscnt 0x0
	v_fma_f64 v[24:25], s[10:11], v[24:25], v[18:19]
	flat_store_b64 v[22:23], v[24:25]
	s_cbranch_execnz .LBB351_21
.LBB351_20:                             ;   in Loop: Header=BB351_6 Depth=1
	flat_store_b64 v[22:23], v[18:19]
.LBB351_21:                             ;   in Loop: Header=BB351_6 Depth=1
	s_wait_xcnt 0x0
	s_or_b32 exec_lo, exec_lo, s24
	v_lshl_add_u64 v[18:19], v[6:7], 3, v[20:21]
	s_and_saveexec_b32 s24, s16
	s_cbranch_execz .LBB351_25
; %bb.22:                               ;   in Loop: Header=BB351_6 Depth=1
	v_mul_f64_e32 v[16:17], s[12:13], v[16:17]
	s_delay_alu instid0(VALU_DEP_2)
	v_lshl_add_u64 v[20:21], v[0:1], 3, v[18:19]
	s_and_not1_b32 vcc_lo, exec_lo, s22
	s_cbranch_vccnz .LBB351_30
; %bb.23:                               ;   in Loop: Header=BB351_6 Depth=1
	flat_load_b64 v[22:23], v[20:21]
	s_wait_loadcnt_dscnt 0x0
	v_fma_f64 v[22:23], s[10:11], v[22:23], v[16:17]
	flat_store_b64 v[20:21], v[22:23]
	s_cbranch_execnz .LBB351_25
.LBB351_24:                             ;   in Loop: Header=BB351_6 Depth=1
	flat_store_b64 v[20:21], v[16:17]
.LBB351_25:                             ;   in Loop: Header=BB351_6 Depth=1
	s_wait_xcnt 0x0
	s_or_b32 exec_lo, exec_lo, s24
	s_and_saveexec_b32 s24, s4
	s_cbranch_execz .LBB351_5
; %bb.26:                               ;   in Loop: Header=BB351_6 Depth=1
	s_delay_alu instid0(VALU_DEP_4)
	v_mul_f64_e32 v[14:15], s[12:13], v[14:15]
	v_lshl_add_u64 v[16:17], v[8:9], 3, v[18:19]
	s_and_not1_b32 vcc_lo, exec_lo, s22
	s_cbranch_vccnz .LBB351_31
; %bb.27:                               ;   in Loop: Header=BB351_6 Depth=1
	flat_load_b64 v[18:19], v[16:17]
	s_wait_loadcnt_dscnt 0x0
	v_fma_f64 v[18:19], s[10:11], v[18:19], v[14:15]
	flat_store_b64 v[16:17], v[18:19]
	s_cbranch_execnz .LBB351_5
	s_branch .LBB351_32
.LBB351_28:                             ;   in Loop: Header=BB351_6 Depth=1
	s_branch .LBB351_16
.LBB351_29:                             ;   in Loop: Header=BB351_6 Depth=1
	s_branch .LBB351_20
.LBB351_30:                             ;   in Loop: Header=BB351_6 Depth=1
	s_branch .LBB351_24
.LBB351_31:                             ;   in Loop: Header=BB351_6 Depth=1
.LBB351_32:                             ;   in Loop: Header=BB351_6 Depth=1
	flat_store_b64 v[16:17], v[14:15]
	s_branch .LBB351_5
.LBB351_33:
	s_endpgm
	.section	.rodata,"a",@progbits
	.p2align	6, 0x0
	.amdhsa_kernel _ZL29rocblas_internal_gemmt_kernelIiLi16ELi32ELi8ELc78ELc78ELc76ELb0ELb0EddPKPKdPKPdEviT_T9_T10_S7_lS9_S7_lS8_T11_S7_li
		.amdhsa_group_segment_fixed_size 4096
		.amdhsa_private_segment_fixed_size 0
		.amdhsa_kernarg_size 100
		.amdhsa_user_sgpr_count 2
		.amdhsa_user_sgpr_dispatch_ptr 0
		.amdhsa_user_sgpr_queue_ptr 0
		.amdhsa_user_sgpr_kernarg_segment_ptr 1
		.amdhsa_user_sgpr_dispatch_id 0
		.amdhsa_user_sgpr_kernarg_preload_length 0
		.amdhsa_user_sgpr_kernarg_preload_offset 0
		.amdhsa_user_sgpr_private_segment_size 0
		.amdhsa_wavefront_size32 1
		.amdhsa_uses_dynamic_stack 0
		.amdhsa_enable_private_segment 0
		.amdhsa_system_sgpr_workgroup_id_x 1
		.amdhsa_system_sgpr_workgroup_id_y 1
		.amdhsa_system_sgpr_workgroup_id_z 1
		.amdhsa_system_sgpr_workgroup_info 0
		.amdhsa_system_vgpr_workitem_id 1
		.amdhsa_next_free_vgpr 54
		.amdhsa_next_free_sgpr 34
		.amdhsa_named_barrier_count 0
		.amdhsa_reserve_vcc 1
		.amdhsa_float_round_mode_32 0
		.amdhsa_float_round_mode_16_64 0
		.amdhsa_float_denorm_mode_32 3
		.amdhsa_float_denorm_mode_16_64 3
		.amdhsa_fp16_overflow 0
		.amdhsa_memory_ordered 1
		.amdhsa_forward_progress 1
		.amdhsa_inst_pref_size 14
		.amdhsa_round_robin_scheduling 0
		.amdhsa_exception_fp_ieee_invalid_op 0
		.amdhsa_exception_fp_denorm_src 0
		.amdhsa_exception_fp_ieee_div_zero 0
		.amdhsa_exception_fp_ieee_overflow 0
		.amdhsa_exception_fp_ieee_underflow 0
		.amdhsa_exception_fp_ieee_inexact 0
		.amdhsa_exception_int_div_zero 0
	.end_amdhsa_kernel
	.section	.text._ZL29rocblas_internal_gemmt_kernelIiLi16ELi32ELi8ELc78ELc78ELc76ELb0ELb0EddPKPKdPKPdEviT_T9_T10_S7_lS9_S7_lS8_T11_S7_li,"axG",@progbits,_ZL29rocblas_internal_gemmt_kernelIiLi16ELi32ELi8ELc78ELc78ELc76ELb0ELb0EddPKPKdPKPdEviT_T9_T10_S7_lS9_S7_lS8_T11_S7_li,comdat
.Lfunc_end351:
	.size	_ZL29rocblas_internal_gemmt_kernelIiLi16ELi32ELi8ELc78ELc78ELc76ELb0ELb0EddPKPKdPKPdEviT_T9_T10_S7_lS9_S7_lS8_T11_S7_li, .Lfunc_end351-_ZL29rocblas_internal_gemmt_kernelIiLi16ELi32ELi8ELc78ELc78ELc76ELb0ELb0EddPKPKdPKPdEviT_T9_T10_S7_lS9_S7_lS8_T11_S7_li
                                        ; -- End function
	.set _ZL29rocblas_internal_gemmt_kernelIiLi16ELi32ELi8ELc78ELc78ELc76ELb0ELb0EddPKPKdPKPdEviT_T9_T10_S7_lS9_S7_lS8_T11_S7_li.num_vgpr, 54
	.set _ZL29rocblas_internal_gemmt_kernelIiLi16ELi32ELi8ELc78ELc78ELc76ELb0ELb0EddPKPKdPKPdEviT_T9_T10_S7_lS9_S7_lS8_T11_S7_li.num_agpr, 0
	.set _ZL29rocblas_internal_gemmt_kernelIiLi16ELi32ELi8ELc78ELc78ELc76ELb0ELb0EddPKPKdPKPdEviT_T9_T10_S7_lS9_S7_lS8_T11_S7_li.numbered_sgpr, 34
	.set _ZL29rocblas_internal_gemmt_kernelIiLi16ELi32ELi8ELc78ELc78ELc76ELb0ELb0EddPKPKdPKPdEviT_T9_T10_S7_lS9_S7_lS8_T11_S7_li.num_named_barrier, 0
	.set _ZL29rocblas_internal_gemmt_kernelIiLi16ELi32ELi8ELc78ELc78ELc76ELb0ELb0EddPKPKdPKPdEviT_T9_T10_S7_lS9_S7_lS8_T11_S7_li.private_seg_size, 0
	.set _ZL29rocblas_internal_gemmt_kernelIiLi16ELi32ELi8ELc78ELc78ELc76ELb0ELb0EddPKPKdPKPdEviT_T9_T10_S7_lS9_S7_lS8_T11_S7_li.uses_vcc, 1
	.set _ZL29rocblas_internal_gemmt_kernelIiLi16ELi32ELi8ELc78ELc78ELc76ELb0ELb0EddPKPKdPKPdEviT_T9_T10_S7_lS9_S7_lS8_T11_S7_li.uses_flat_scratch, 0
	.set _ZL29rocblas_internal_gemmt_kernelIiLi16ELi32ELi8ELc78ELc78ELc76ELb0ELb0EddPKPKdPKPdEviT_T9_T10_S7_lS9_S7_lS8_T11_S7_li.has_dyn_sized_stack, 0
	.set _ZL29rocblas_internal_gemmt_kernelIiLi16ELi32ELi8ELc78ELc78ELc76ELb0ELb0EddPKPKdPKPdEviT_T9_T10_S7_lS9_S7_lS8_T11_S7_li.has_recursion, 0
	.set _ZL29rocblas_internal_gemmt_kernelIiLi16ELi32ELi8ELc78ELc78ELc76ELb0ELb0EddPKPKdPKPdEviT_T9_T10_S7_lS9_S7_lS8_T11_S7_li.has_indirect_call, 0
	.section	.AMDGPU.csdata,"",@progbits
; Kernel info:
; codeLenInByte = 1676
; TotalNumSgprs: 36
; NumVgprs: 54
; ScratchSize: 0
; MemoryBound: 0
; FloatMode: 240
; IeeeMode: 1
; LDSByteSize: 4096 bytes/workgroup (compile time only)
; SGPRBlocks: 0
; VGPRBlocks: 3
; NumSGPRsForWavesPerEU: 36
; NumVGPRsForWavesPerEU: 54
; NamedBarCnt: 0
; Occupancy: 16
; WaveLimiterHint : 1
; COMPUTE_PGM_RSRC2:SCRATCH_EN: 0
; COMPUTE_PGM_RSRC2:USER_SGPR: 2
; COMPUTE_PGM_RSRC2:TRAP_HANDLER: 0
; COMPUTE_PGM_RSRC2:TGID_X_EN: 1
; COMPUTE_PGM_RSRC2:TGID_Y_EN: 1
; COMPUTE_PGM_RSRC2:TGID_Z_EN: 1
; COMPUTE_PGM_RSRC2:TIDIG_COMP_CNT: 1
	.section	.text._ZL29rocblas_internal_gemmt_kernelIiLi16ELi32ELi8ELc78ELc84ELc76ELb0ELb0EddPKPKdPKPdEviT_T9_T10_S7_lS9_S7_lS8_T11_S7_li,"axG",@progbits,_ZL29rocblas_internal_gemmt_kernelIiLi16ELi32ELi8ELc78ELc84ELc76ELb0ELb0EddPKPKdPKPdEviT_T9_T10_S7_lS9_S7_lS8_T11_S7_li,comdat
	.globl	_ZL29rocblas_internal_gemmt_kernelIiLi16ELi32ELi8ELc78ELc84ELc76ELb0ELb0EddPKPKdPKPdEviT_T9_T10_S7_lS9_S7_lS8_T11_S7_li ; -- Begin function _ZL29rocblas_internal_gemmt_kernelIiLi16ELi32ELi8ELc78ELc84ELc76ELb0ELb0EddPKPKdPKPdEviT_T9_T10_S7_lS9_S7_lS8_T11_S7_li
	.p2align	8
	.type	_ZL29rocblas_internal_gemmt_kernelIiLi16ELi32ELi8ELc78ELc84ELc76ELb0ELb0EddPKPKdPKPdEviT_T9_T10_S7_lS9_S7_lS8_T11_S7_li,@function
_ZL29rocblas_internal_gemmt_kernelIiLi16ELi32ELi8ELc78ELc84ELc76ELb0ELb0EddPKPKdPKPdEviT_T9_T10_S7_lS9_S7_lS8_T11_S7_li: ; @_ZL29rocblas_internal_gemmt_kernelIiLi16ELi32ELi8ELc78ELc84ELc76ELb0ELb0EddPKPKdPKPdEviT_T9_T10_S7_lS9_S7_lS8_T11_S7_li
; %bb.0:
	s_clause 0x2
	s_load_b128 s[8:11], s[0:1], 0x38
	s_load_b64 s[4:5], s[0:1], 0x0
	s_load_b128 s[12:15], s[0:1], 0x8
	s_wait_kmcnt 0x0
	v_cmp_neq_f64_e64 s2, s[10:11], 1.0
	s_and_b32 vcc_lo, exec_lo, s2
	s_cbranch_vccnz .LBB352_2
; %bb.1:
	v_cmp_neq_f64_e64 s2, s[12:13], 0
	s_cmp_lg_u32 s5, 0
	s_cselect_b32 s3, -1, 0
	s_delay_alu instid0(SALU_CYCLE_1)
	s_and_b32 s2, s3, s2
.LBB352_2:
	s_delay_alu instid0(SALU_CYCLE_1)
	s_and_not1_b32 vcc_lo, exec_lo, s2
	s_cbranch_vccnz .LBB352_33
; %bb.3:
	s_load_b32 s23, s[0:1], 0x60
	s_bfe_u32 s2, ttmp6, 0x40014
	s_lshr_b32 s3, ttmp7, 16
	s_add_co_i32 s2, s2, 1
	s_bfe_u32 s7, ttmp6, 0x40008
	s_mul_i32 s6, s3, s2
	s_getreg_b32 s2, hwreg(HW_REG_IB_STS2, 6, 4)
	s_add_co_i32 s7, s7, s6
	s_cmp_eq_u32 s2, 0
	s_cselect_b32 s6, s3, s7
	s_mov_b32 s7, 0
	s_wait_kmcnt 0x0
	s_cmp_ge_u32 s6, s23
	s_cbranch_scc1 .LBB352_33
; %bb.4:
	s_clause 0x4
	s_load_b32 s24, s[0:1], 0x18
	s_load_b32 s26, s[0:1], 0x30
	s_load_b96 s[20:22], s[0:1], 0x48
	s_load_b128 s[16:19], s[0:1], 0x20
	s_load_b64 s[28:29], s[0:1], 0x58
	s_wait_xcnt 0x0
	s_bfe_u32 s1, ttmp6, 0x4000c
	s_bfe_u32 s25, ttmp6, 0x40010
	v_and_b32_e32 v5, 0x3ff, v0
	v_bfe_u32 v11, v0, 10, 10
	s_and_b32 s3, ttmp7, 0xffff
	s_add_co_i32 s1, s1, 1
	s_add_co_i32 s33, s25, 1
	s_and_b32 s0, ttmp6, 15
	s_mul_i32 s1, ttmp9, s1
	v_lshl_add_u32 v1, v11, 4, v5
	s_add_co_i32 s0, s0, s1
	v_and_b32_e32 v0, 7, v0
	v_cmp_neq_f64_e64 s34, s[12:13], 0
	v_lshl_add_u32 v36, v11, 6, 0x800
	v_dual_lshrrev_b32 v4, 3, v1 :: v_dual_bitop2_b32 v6, 31, v1 bitop3:0x40
	s_wait_kmcnt 0x0
	s_ashr_i32 s25, s24, 31
	s_ashr_i32 s31, s22, 31
	s_mov_b32 s30, s22
	s_mul_i32 s22, s3, s33
	s_bfe_u32 s33, ttmp6, 0x40004
	s_ashr_i32 s27, s26, 31
	s_add_co_i32 s33, s33, s22
	s_cmp_eq_u32 s2, 0
	v_lshrrev_b32_e32 v2, 5, v1
	s_cselect_b32 s0, ttmp9, s0
	s_cselect_b32 s1, s3, s33
	s_lshl_b32 s2, s0, 5
	s_delay_alu instid0(SALU_CYCLE_1) | instskip(SKIP_1) | instid1(SALU_CYCLE_1)
	v_dual_mov_b32 v3, 0 :: v_dual_bitop2_b32 v12, s2, v6 bitop3:0x54
	s_lshl_b32 s0, s1, 5
	v_dual_lshlrev_b32 v6, 3, v6 :: v_dual_add_nc_u32 v16, s0, v11
	s_delay_alu instid0(VALU_DEP_2) | instskip(SKIP_2) | instid1(VALU_DEP_4)
	v_dual_mov_b32 v1, v3 :: v_dual_add_nc_u32 v14, s0, v4
	v_mul_u64_e32 v[18:19], s[24:25], v[2:3]
	v_cmp_neq_f64_e64 s22, s[10:11], 0
	v_dual_add_nc_u32 v22, 16, v16 :: v_dual_ashrrev_i32 v17, 31, v16
	s_delay_alu instid0(VALU_DEP_4) | instskip(SKIP_2) | instid1(VALU_DEP_4)
	v_mul_u64_e32 v[20:21], s[26:27], v[0:1]
	v_lshlrev_b32_e32 v7, 3, v0
	v_lshl_or_b32 v1, v2, 8, v6
	v_ashrrev_i32_e32 v23, 31, v22
	v_ashrrev_i32_e32 v15, 31, v14
	s_cmp_gt_i32 s5, 0
	v_lshl_or_b32 v13, v4, 6, v7
	v_mul_u64_e32 v[6:7], s[30:31], v[16:17]
	v_mul_u64_e32 v[8:9], s[30:31], v[22:23]
	v_add_nc_u32_e32 v4, s2, v5
	s_cselect_b32 s35, -1, 0
	v_cmp_gt_i32_e64 s0, s4, v12
	v_cmp_gt_i32_e64 s1, s4, v14
	s_delay_alu instid0(VALU_DEP_3)
	v_dual_lshlrev_b32 v35, 3, v5 :: v_dual_add_nc_u32 v10, 16, v4
	v_cmp_le_i32_e32 vcc_lo, v16, v4
	v_cmp_gt_i32_e64 s2, s4, v4
	s_lshl_b64 s[16:17], s[16:17], 3
	s_lshl_b64 s[8:9], s[8:9], 3
	v_cmp_le_i32_e64 s3, v16, v10
	v_cmp_gt_i32_e64 s4, s4, v10
	v_add_nc_u32_e32 v34, 0x800, v13
	v_ashrrev_i32_e32 v13, 31, v12
	s_and_b32 s30, vcc_lo, s2
	v_cmp_le_i32_e32 vcc_lo, v22, v4
	s_and_b32 s31, s3, s4
	v_cmp_le_i32_e64 s3, v22, v10
	v_dual_ashrrev_i32 v5, 31, v4 :: v_dual_ashrrev_i32 v11, 31, v10
	v_lshl_add_u64 v[16:17], v[18:19], 3, s[16:17]
	s_and_b32 s33, vcc_lo, s2
	s_and_b32 s4, s3, s4
	v_lshl_add_u64 v[18:19], v[20:21], 3, s[8:9]
	s_and_b32 s34, s34, s35
	v_lshl_add_u64 v[12:13], v[12:13], 3, v[16:17]
	s_lshl_b64 s[2:3], s[24:25], 6
	s_lshl_b64 s[8:9], s[26:27], 6
	v_lshl_add_u64 v[14:15], v[14:15], 3, v[18:19]
	s_lshl_b64 s[16:17], s[28:29], 3
	s_branch .LBB352_6
.LBB352_5:                              ;   in Loop: Header=BB352_6 Depth=1
	s_wait_xcnt 0x0
	s_or_b32 exec_lo, exec_lo, s24
	s_add_co_i32 s6, s6, 0x10000
	s_delay_alu instid0(SALU_CYCLE_1)
	s_cmp_lt_u32 s6, s23
	s_cbranch_scc0 .LBB352_33
.LBB352_6:                              ; =>This Loop Header: Depth=1
                                        ;     Child Loop BB352_9 Depth 2
	v_mov_b32_e32 v16, s6
	v_mov_b64_e32 v[24:25], 0
	v_mov_b64_e32 v[20:21], 0
	;; [unrolled: 1-line block ×3, first 2 shown]
	s_and_not1_b32 vcc_lo, exec_lo, s34
	global_load_b64 v[22:23], v16, s[20:21] scale_offset
	s_wait_xcnt 0x0
	v_mov_b64_e32 v[16:17], 0
	s_cbranch_vccnz .LBB352_13
; %bb.7:                                ;   in Loop: Header=BB352_6 Depth=1
	s_lshl_b64 s[24:25], s[6:7], 3
	v_mov_b64_e32 v[16:17], 0
	s_add_nc_u64 s[26:27], s[14:15], s[24:25]
	s_add_nc_u64 s[24:25], s[18:19], s[24:25]
	s_clause 0x1
	global_load_b64 v[24:25], v3, s[26:27]
	global_load_b64 v[28:29], v3, s[24:25]
	v_mov_b64_e32 v[18:19], 0
	v_mov_b64_e32 v[20:21], 0
	s_wait_xcnt 0x0
	s_mov_b32 s24, 0
	s_wait_loadcnt 0x1
	v_add_nc_u64_e32 v[26:27], v[24:25], v[12:13]
	s_wait_loadcnt 0x0
	v_add_nc_u64_e32 v[28:29], v[28:29], v[14:15]
	v_mov_b64_e32 v[24:25], 0
	s_branch .LBB352_9
.LBB352_8:                              ;   in Loop: Header=BB352_9 Depth=2
	s_wait_xcnt 0x0
	s_or_b32 exec_lo, exec_lo, s25
	s_wait_loadcnt_dscnt 0x0
	ds_store_b64 v34, v[32:33]
	s_wait_dscnt 0x0
	s_barrier_signal -1
	s_barrier_wait -1
	ds_load_b128 v[30:33], v36
	ds_load_2addr_b64 v[38:41], v35 offset1:16
	ds_load_b128 v[42:45], v36 offset:1024
	ds_load_b128 v[46:49], v36 offset:16
	;; [unrolled: 1-line block ×3, first 2 shown]
	v_add_nc_u64_e32 v[26:27], s[2:3], v[26:27]
	v_add_nc_u64_e32 v[28:29], s[8:9], v[28:29]
	s_add_co_i32 s24, s24, 8
	s_delay_alu instid0(SALU_CYCLE_1)
	s_cmp_lt_i32 s24, s5
	s_wait_dscnt 0x3
	v_fmac_f64_e32 v[24:25], v[38:39], v[30:31]
	v_fmac_f64_e32 v[20:21], v[40:41], v[30:31]
	s_wait_dscnt 0x2
	v_fmac_f64_e32 v[18:19], v[38:39], v[42:43]
	v_fmac_f64_e32 v[16:17], v[40:41], v[42:43]
	ds_load_2addr_b64 v[38:41], v35 offset0:32 offset1:48
	s_wait_dscnt 0x0
	v_fmac_f64_e32 v[24:25], v[38:39], v[32:33]
	v_fmac_f64_e32 v[20:21], v[40:41], v[32:33]
	v_fmac_f64_e32 v[18:19], v[38:39], v[44:45]
	v_fmac_f64_e32 v[16:17], v[40:41], v[44:45]
	ds_load_2addr_b64 v[30:33], v35 offset0:64 offset1:80
	s_wait_dscnt 0x0
	v_fmac_f64_e32 v[24:25], v[30:31], v[46:47]
	v_fmac_f64_e32 v[20:21], v[32:33], v[46:47]
	;; [unrolled: 6-line block ×3, first 2 shown]
	v_fmac_f64_e32 v[18:19], v[30:31], v[52:53]
	v_fmac_f64_e32 v[16:17], v[32:33], v[52:53]
	ds_load_b128 v[30:33], v36 offset:32
	ds_load_2addr_b64 v[38:41], v35 offset0:128 offset1:144
	ds_load_b128 v[42:45], v36 offset:1056
	ds_load_b128 v[46:49], v36 offset:48
	;; [unrolled: 1-line block ×3, first 2 shown]
	s_wait_dscnt 0x3
	v_fmac_f64_e32 v[24:25], v[38:39], v[30:31]
	v_fmac_f64_e32 v[20:21], v[40:41], v[30:31]
	s_wait_dscnt 0x2
	v_fmac_f64_e32 v[18:19], v[38:39], v[42:43]
	v_fmac_f64_e32 v[16:17], v[40:41], v[42:43]
	ds_load_2addr_b64 v[38:41], v35 offset0:160 offset1:176
	s_wait_dscnt 0x0
	v_fmac_f64_e32 v[24:25], v[38:39], v[32:33]
	v_fmac_f64_e32 v[20:21], v[40:41], v[32:33]
	v_fmac_f64_e32 v[18:19], v[38:39], v[44:45]
	v_fmac_f64_e32 v[16:17], v[40:41], v[44:45]
	ds_load_2addr_b64 v[30:33], v35 offset0:192 offset1:208
	s_wait_dscnt 0x0
	v_fmac_f64_e32 v[24:25], v[30:31], v[46:47]
	v_fmac_f64_e32 v[20:21], v[32:33], v[46:47]
	;; [unrolled: 1-line block ×4, first 2 shown]
	ds_load_2addr_b64 v[30:33], v35 offset0:224 offset1:240
	s_wait_dscnt 0x0
	s_barrier_signal -1
	s_barrier_wait -1
	v_fmac_f64_e32 v[24:25], v[30:31], v[48:49]
	v_fmac_f64_e32 v[20:21], v[32:33], v[48:49]
	;; [unrolled: 1-line block ×4, first 2 shown]
	s_cbranch_scc0 .LBB352_13
.LBB352_9:                              ;   Parent Loop BB352_6 Depth=1
                                        ; =>  This Inner Loop Header: Depth=2
	v_add_nc_u32_e32 v30, s24, v2
	s_delay_alu instid0(VALU_DEP_1) | instskip(SKIP_2) | instid1(SALU_CYCLE_1)
	v_cmp_gt_i32_e32 vcc_lo, s5, v30
	v_mov_b64_e32 v[30:31], 0
	s_and_b32 s26, s0, vcc_lo
	s_and_saveexec_b32 s25, s26
	s_cbranch_execz .LBB352_11
; %bb.10:                               ;   in Loop: Header=BB352_9 Depth=2
	flat_load_b64 v[30:31], v[26:27]
.LBB352_11:                             ;   in Loop: Header=BB352_9 Depth=2
	s_wait_xcnt 0x0
	s_or_b32 exec_lo, exec_lo, s25
	v_add_nc_u32_e32 v32, s24, v0
	s_wait_loadcnt_dscnt 0x0
	ds_store_b64 v1, v[30:31]
	v_cmp_gt_i32_e32 vcc_lo, s5, v32
	v_mov_b64_e32 v[32:33], 0
	s_and_b32 s26, vcc_lo, s1
	s_delay_alu instid0(SALU_CYCLE_1)
	s_and_saveexec_b32 s25, s26
	s_cbranch_execz .LBB352_8
; %bb.12:                               ;   in Loop: Header=BB352_9 Depth=2
	flat_load_b64 v[32:33], v[28:29]
	s_branch .LBB352_8
.LBB352_13:                             ;   in Loop: Header=BB352_6 Depth=1
	s_wait_loadcnt 0x0
	v_add_nc_u64_e32 v[22:23], s[16:17], v[22:23]
	s_delay_alu instid0(VALU_DEP_1)
	v_lshl_add_u64 v[26:27], v[6:7], 3, v[22:23]
	s_and_saveexec_b32 s24, s30
	s_cbranch_execz .LBB352_17
; %bb.14:                               ;   in Loop: Header=BB352_6 Depth=1
	v_mul_f64_e32 v[24:25], s[12:13], v[24:25]
	s_delay_alu instid0(VALU_DEP_2)
	v_lshl_add_u64 v[28:29], v[4:5], 3, v[26:27]
	s_and_b32 vcc_lo, exec_lo, s22
	s_cbranch_vccz .LBB352_28
; %bb.15:                               ;   in Loop: Header=BB352_6 Depth=1
	flat_load_b64 v[30:31], v[28:29]
	s_wait_loadcnt_dscnt 0x0
	v_fma_f64 v[30:31], s[10:11], v[30:31], v[24:25]
	flat_store_b64 v[28:29], v[30:31]
	s_cbranch_execnz .LBB352_17
.LBB352_16:                             ;   in Loop: Header=BB352_6 Depth=1
	flat_store_b64 v[28:29], v[24:25]
.LBB352_17:                             ;   in Loop: Header=BB352_6 Depth=1
	s_wait_xcnt 0x0
	s_or_b32 exec_lo, exec_lo, s24
	s_and_saveexec_b32 s24, s31
	s_cbranch_execz .LBB352_21
; %bb.18:                               ;   in Loop: Header=BB352_6 Depth=1
	v_mul_f64_e32 v[20:21], s[12:13], v[20:21]
	v_lshl_add_u64 v[24:25], v[10:11], 3, v[26:27]
	s_and_not1_b32 vcc_lo, exec_lo, s22
	s_cbranch_vccnz .LBB352_29
; %bb.19:                               ;   in Loop: Header=BB352_6 Depth=1
	flat_load_b64 v[26:27], v[24:25]
	s_wait_loadcnt_dscnt 0x0
	v_fma_f64 v[26:27], s[10:11], v[26:27], v[20:21]
	flat_store_b64 v[24:25], v[26:27]
	s_cbranch_execnz .LBB352_21
.LBB352_20:                             ;   in Loop: Header=BB352_6 Depth=1
	flat_store_b64 v[24:25], v[20:21]
.LBB352_21:                             ;   in Loop: Header=BB352_6 Depth=1
	s_wait_xcnt 0x0
	s_or_b32 exec_lo, exec_lo, s24
	v_lshl_add_u64 v[20:21], v[8:9], 3, v[22:23]
	s_and_saveexec_b32 s24, s33
	s_cbranch_execz .LBB352_25
; %bb.22:                               ;   in Loop: Header=BB352_6 Depth=1
	v_mul_f64_e32 v[18:19], s[12:13], v[18:19]
	s_delay_alu instid0(VALU_DEP_2)
	v_lshl_add_u64 v[22:23], v[4:5], 3, v[20:21]
	s_and_not1_b32 vcc_lo, exec_lo, s22
	s_cbranch_vccnz .LBB352_30
; %bb.23:                               ;   in Loop: Header=BB352_6 Depth=1
	flat_load_b64 v[24:25], v[22:23]
	s_wait_loadcnt_dscnt 0x0
	v_fma_f64 v[24:25], s[10:11], v[24:25], v[18:19]
	flat_store_b64 v[22:23], v[24:25]
	s_cbranch_execnz .LBB352_25
.LBB352_24:                             ;   in Loop: Header=BB352_6 Depth=1
	flat_store_b64 v[22:23], v[18:19]
.LBB352_25:                             ;   in Loop: Header=BB352_6 Depth=1
	s_wait_xcnt 0x0
	s_or_b32 exec_lo, exec_lo, s24
	s_and_saveexec_b32 s24, s4
	s_cbranch_execz .LBB352_5
; %bb.26:                               ;   in Loop: Header=BB352_6 Depth=1
	s_delay_alu instid0(VALU_DEP_4)
	v_mul_f64_e32 v[16:17], s[12:13], v[16:17]
	v_lshl_add_u64 v[18:19], v[10:11], 3, v[20:21]
	s_and_not1_b32 vcc_lo, exec_lo, s22
	s_cbranch_vccnz .LBB352_31
; %bb.27:                               ;   in Loop: Header=BB352_6 Depth=1
	flat_load_b64 v[20:21], v[18:19]
	s_wait_loadcnt_dscnt 0x0
	v_fma_f64 v[20:21], s[10:11], v[20:21], v[16:17]
	flat_store_b64 v[18:19], v[20:21]
	s_cbranch_execnz .LBB352_5
	s_branch .LBB352_32
.LBB352_28:                             ;   in Loop: Header=BB352_6 Depth=1
	s_branch .LBB352_16
.LBB352_29:                             ;   in Loop: Header=BB352_6 Depth=1
	s_branch .LBB352_20
.LBB352_30:                             ;   in Loop: Header=BB352_6 Depth=1
	s_branch .LBB352_24
.LBB352_31:                             ;   in Loop: Header=BB352_6 Depth=1
.LBB352_32:                             ;   in Loop: Header=BB352_6 Depth=1
	flat_store_b64 v[18:19], v[16:17]
	s_branch .LBB352_5
.LBB352_33:
	s_endpgm
	.section	.rodata,"a",@progbits
	.p2align	6, 0x0
	.amdhsa_kernel _ZL29rocblas_internal_gemmt_kernelIiLi16ELi32ELi8ELc78ELc84ELc76ELb0ELb0EddPKPKdPKPdEviT_T9_T10_S7_lS9_S7_lS8_T11_S7_li
		.amdhsa_group_segment_fixed_size 4096
		.amdhsa_private_segment_fixed_size 0
		.amdhsa_kernarg_size 100
		.amdhsa_user_sgpr_count 2
		.amdhsa_user_sgpr_dispatch_ptr 0
		.amdhsa_user_sgpr_queue_ptr 0
		.amdhsa_user_sgpr_kernarg_segment_ptr 1
		.amdhsa_user_sgpr_dispatch_id 0
		.amdhsa_user_sgpr_kernarg_preload_length 0
		.amdhsa_user_sgpr_kernarg_preload_offset 0
		.amdhsa_user_sgpr_private_segment_size 0
		.amdhsa_wavefront_size32 1
		.amdhsa_uses_dynamic_stack 0
		.amdhsa_enable_private_segment 0
		.amdhsa_system_sgpr_workgroup_id_x 1
		.amdhsa_system_sgpr_workgroup_id_y 1
		.amdhsa_system_sgpr_workgroup_id_z 1
		.amdhsa_system_sgpr_workgroup_info 0
		.amdhsa_system_vgpr_workitem_id 1
		.amdhsa_next_free_vgpr 54
		.amdhsa_next_free_sgpr 36
		.amdhsa_named_barrier_count 0
		.amdhsa_reserve_vcc 1
		.amdhsa_float_round_mode_32 0
		.amdhsa_float_round_mode_16_64 0
		.amdhsa_float_denorm_mode_32 3
		.amdhsa_float_denorm_mode_16_64 3
		.amdhsa_fp16_overflow 0
		.amdhsa_memory_ordered 1
		.amdhsa_forward_progress 1
		.amdhsa_inst_pref_size 14
		.amdhsa_round_robin_scheduling 0
		.amdhsa_exception_fp_ieee_invalid_op 0
		.amdhsa_exception_fp_denorm_src 0
		.amdhsa_exception_fp_ieee_div_zero 0
		.amdhsa_exception_fp_ieee_overflow 0
		.amdhsa_exception_fp_ieee_underflow 0
		.amdhsa_exception_fp_ieee_inexact 0
		.amdhsa_exception_int_div_zero 0
	.end_amdhsa_kernel
	.section	.text._ZL29rocblas_internal_gemmt_kernelIiLi16ELi32ELi8ELc78ELc84ELc76ELb0ELb0EddPKPKdPKPdEviT_T9_T10_S7_lS9_S7_lS8_T11_S7_li,"axG",@progbits,_ZL29rocblas_internal_gemmt_kernelIiLi16ELi32ELi8ELc78ELc84ELc76ELb0ELb0EddPKPKdPKPdEviT_T9_T10_S7_lS9_S7_lS8_T11_S7_li,comdat
.Lfunc_end352:
	.size	_ZL29rocblas_internal_gemmt_kernelIiLi16ELi32ELi8ELc78ELc84ELc76ELb0ELb0EddPKPKdPKPdEviT_T9_T10_S7_lS9_S7_lS8_T11_S7_li, .Lfunc_end352-_ZL29rocblas_internal_gemmt_kernelIiLi16ELi32ELi8ELc78ELc84ELc76ELb0ELb0EddPKPKdPKPdEviT_T9_T10_S7_lS9_S7_lS8_T11_S7_li
                                        ; -- End function
	.set _ZL29rocblas_internal_gemmt_kernelIiLi16ELi32ELi8ELc78ELc84ELc76ELb0ELb0EddPKPKdPKPdEviT_T9_T10_S7_lS9_S7_lS8_T11_S7_li.num_vgpr, 54
	.set _ZL29rocblas_internal_gemmt_kernelIiLi16ELi32ELi8ELc78ELc84ELc76ELb0ELb0EddPKPKdPKPdEviT_T9_T10_S7_lS9_S7_lS8_T11_S7_li.num_agpr, 0
	.set _ZL29rocblas_internal_gemmt_kernelIiLi16ELi32ELi8ELc78ELc84ELc76ELb0ELb0EddPKPKdPKPdEviT_T9_T10_S7_lS9_S7_lS8_T11_S7_li.numbered_sgpr, 36
	.set _ZL29rocblas_internal_gemmt_kernelIiLi16ELi32ELi8ELc78ELc84ELc76ELb0ELb0EddPKPKdPKPdEviT_T9_T10_S7_lS9_S7_lS8_T11_S7_li.num_named_barrier, 0
	.set _ZL29rocblas_internal_gemmt_kernelIiLi16ELi32ELi8ELc78ELc84ELc76ELb0ELb0EddPKPKdPKPdEviT_T9_T10_S7_lS9_S7_lS8_T11_S7_li.private_seg_size, 0
	.set _ZL29rocblas_internal_gemmt_kernelIiLi16ELi32ELi8ELc78ELc84ELc76ELb0ELb0EddPKPKdPKPdEviT_T9_T10_S7_lS9_S7_lS8_T11_S7_li.uses_vcc, 1
	.set _ZL29rocblas_internal_gemmt_kernelIiLi16ELi32ELi8ELc78ELc84ELc76ELb0ELb0EddPKPKdPKPdEviT_T9_T10_S7_lS9_S7_lS8_T11_S7_li.uses_flat_scratch, 0
	.set _ZL29rocblas_internal_gemmt_kernelIiLi16ELi32ELi8ELc78ELc84ELc76ELb0ELb0EddPKPKdPKPdEviT_T9_T10_S7_lS9_S7_lS8_T11_S7_li.has_dyn_sized_stack, 0
	.set _ZL29rocblas_internal_gemmt_kernelIiLi16ELi32ELi8ELc78ELc84ELc76ELb0ELb0EddPKPKdPKPdEviT_T9_T10_S7_lS9_S7_lS8_T11_S7_li.has_recursion, 0
	.set _ZL29rocblas_internal_gemmt_kernelIiLi16ELi32ELi8ELc78ELc84ELc76ELb0ELb0EddPKPKdPKPdEviT_T9_T10_S7_lS9_S7_lS8_T11_S7_li.has_indirect_call, 0
	.section	.AMDGPU.csdata,"",@progbits
; Kernel info:
; codeLenInByte = 1684
; TotalNumSgprs: 38
; NumVgprs: 54
; ScratchSize: 0
; MemoryBound: 0
; FloatMode: 240
; IeeeMode: 1
; LDSByteSize: 4096 bytes/workgroup (compile time only)
; SGPRBlocks: 0
; VGPRBlocks: 3
; NumSGPRsForWavesPerEU: 38
; NumVGPRsForWavesPerEU: 54
; NamedBarCnt: 0
; Occupancy: 16
; WaveLimiterHint : 1
; COMPUTE_PGM_RSRC2:SCRATCH_EN: 0
; COMPUTE_PGM_RSRC2:USER_SGPR: 2
; COMPUTE_PGM_RSRC2:TRAP_HANDLER: 0
; COMPUTE_PGM_RSRC2:TGID_X_EN: 1
; COMPUTE_PGM_RSRC2:TGID_Y_EN: 1
; COMPUTE_PGM_RSRC2:TGID_Z_EN: 1
; COMPUTE_PGM_RSRC2:TIDIG_COMP_CNT: 1
	.section	.text._ZL29rocblas_internal_gemmt_kernelIiLi16ELi32ELi8ELc78ELc67ELc76ELb0ELb0EddPKPKdPKPdEviT_T9_T10_S7_lS9_S7_lS8_T11_S7_li,"axG",@progbits,_ZL29rocblas_internal_gemmt_kernelIiLi16ELi32ELi8ELc78ELc67ELc76ELb0ELb0EddPKPKdPKPdEviT_T9_T10_S7_lS9_S7_lS8_T11_S7_li,comdat
	.globl	_ZL29rocblas_internal_gemmt_kernelIiLi16ELi32ELi8ELc78ELc67ELc76ELb0ELb0EddPKPKdPKPdEviT_T9_T10_S7_lS9_S7_lS8_T11_S7_li ; -- Begin function _ZL29rocblas_internal_gemmt_kernelIiLi16ELi32ELi8ELc78ELc67ELc76ELb0ELb0EddPKPKdPKPdEviT_T9_T10_S7_lS9_S7_lS8_T11_S7_li
	.p2align	8
	.type	_ZL29rocblas_internal_gemmt_kernelIiLi16ELi32ELi8ELc78ELc67ELc76ELb0ELb0EddPKPKdPKPdEviT_T9_T10_S7_lS9_S7_lS8_T11_S7_li,@function
_ZL29rocblas_internal_gemmt_kernelIiLi16ELi32ELi8ELc78ELc67ELc76ELb0ELb0EddPKPKdPKPdEviT_T9_T10_S7_lS9_S7_lS8_T11_S7_li: ; @_ZL29rocblas_internal_gemmt_kernelIiLi16ELi32ELi8ELc78ELc67ELc76ELb0ELb0EddPKPKdPKPdEviT_T9_T10_S7_lS9_S7_lS8_T11_S7_li
; %bb.0:
	s_clause 0x2
	s_load_b128 s[8:11], s[0:1], 0x38
	s_load_b64 s[4:5], s[0:1], 0x0
	s_load_b128 s[12:15], s[0:1], 0x8
	s_wait_kmcnt 0x0
	v_cmp_neq_f64_e64 s2, s[10:11], 1.0
	s_and_b32 vcc_lo, exec_lo, s2
	s_cbranch_vccnz .LBB353_2
; %bb.1:
	v_cmp_neq_f64_e64 s2, s[12:13], 0
	s_cmp_lg_u32 s5, 0
	s_cselect_b32 s3, -1, 0
	s_delay_alu instid0(SALU_CYCLE_1)
	s_and_b32 s2, s3, s2
.LBB353_2:
	s_delay_alu instid0(SALU_CYCLE_1)
	s_and_not1_b32 vcc_lo, exec_lo, s2
	s_cbranch_vccnz .LBB353_33
; %bb.3:
	s_load_b32 s23, s[0:1], 0x60
	s_bfe_u32 s2, ttmp6, 0x40014
	s_lshr_b32 s3, ttmp7, 16
	s_add_co_i32 s2, s2, 1
	s_bfe_u32 s7, ttmp6, 0x40008
	s_mul_i32 s6, s3, s2
	s_getreg_b32 s2, hwreg(HW_REG_IB_STS2, 6, 4)
	s_add_co_i32 s7, s7, s6
	s_cmp_eq_u32 s2, 0
	s_cselect_b32 s6, s3, s7
	s_mov_b32 s7, 0
	s_wait_kmcnt 0x0
	s_cmp_ge_u32 s6, s23
	s_cbranch_scc1 .LBB353_33
; %bb.4:
	s_clause 0x4
	s_load_b32 s24, s[0:1], 0x18
	s_load_b32 s26, s[0:1], 0x30
	s_load_b96 s[20:22], s[0:1], 0x48
	s_load_b128 s[16:19], s[0:1], 0x20
	s_load_b64 s[28:29], s[0:1], 0x58
	s_wait_xcnt 0x0
	s_bfe_u32 s1, ttmp6, 0x4000c
	s_bfe_u32 s25, ttmp6, 0x40010
	v_and_b32_e32 v5, 0x3ff, v0
	v_bfe_u32 v11, v0, 10, 10
	s_and_b32 s3, ttmp7, 0xffff
	s_add_co_i32 s1, s1, 1
	s_add_co_i32 s33, s25, 1
	s_and_b32 s0, ttmp6, 15
	s_mul_i32 s1, ttmp9, s1
	v_lshl_add_u32 v1, v11, 4, v5
	s_add_co_i32 s0, s0, s1
	v_and_b32_e32 v0, 7, v0
	v_cmp_neq_f64_e64 s34, s[12:13], 0
	v_lshl_add_u32 v36, v11, 6, 0x800
	v_dual_lshrrev_b32 v4, 3, v1 :: v_dual_bitop2_b32 v6, 31, v1 bitop3:0x40
	s_wait_kmcnt 0x0
	s_ashr_i32 s25, s24, 31
	s_ashr_i32 s31, s22, 31
	s_mov_b32 s30, s22
	s_mul_i32 s22, s3, s33
	s_bfe_u32 s33, ttmp6, 0x40004
	s_ashr_i32 s27, s26, 31
	s_add_co_i32 s33, s33, s22
	s_cmp_eq_u32 s2, 0
	v_lshrrev_b32_e32 v2, 5, v1
	s_cselect_b32 s0, ttmp9, s0
	s_cselect_b32 s1, s3, s33
	s_lshl_b32 s2, s0, 5
	s_delay_alu instid0(SALU_CYCLE_1) | instskip(SKIP_1) | instid1(SALU_CYCLE_1)
	v_dual_mov_b32 v3, 0 :: v_dual_bitop2_b32 v12, s2, v6 bitop3:0x54
	s_lshl_b32 s0, s1, 5
	v_dual_lshlrev_b32 v6, 3, v6 :: v_dual_add_nc_u32 v16, s0, v11
	s_delay_alu instid0(VALU_DEP_2) | instskip(SKIP_2) | instid1(VALU_DEP_4)
	v_dual_mov_b32 v1, v3 :: v_dual_add_nc_u32 v14, s0, v4
	v_mul_u64_e32 v[18:19], s[24:25], v[2:3]
	v_cmp_neq_f64_e64 s22, s[10:11], 0
	v_dual_add_nc_u32 v22, 16, v16 :: v_dual_ashrrev_i32 v17, 31, v16
	s_delay_alu instid0(VALU_DEP_4) | instskip(SKIP_2) | instid1(VALU_DEP_4)
	v_mul_u64_e32 v[20:21], s[26:27], v[0:1]
	v_lshlrev_b32_e32 v7, 3, v0
	v_lshl_or_b32 v1, v2, 8, v6
	v_ashrrev_i32_e32 v23, 31, v22
	v_ashrrev_i32_e32 v15, 31, v14
	s_cmp_gt_i32 s5, 0
	v_lshl_or_b32 v13, v4, 6, v7
	v_mul_u64_e32 v[6:7], s[30:31], v[16:17]
	v_mul_u64_e32 v[8:9], s[30:31], v[22:23]
	v_add_nc_u32_e32 v4, s2, v5
	s_cselect_b32 s35, -1, 0
	v_cmp_gt_i32_e64 s0, s4, v12
	v_cmp_gt_i32_e64 s1, s4, v14
	s_delay_alu instid0(VALU_DEP_3)
	v_dual_lshlrev_b32 v35, 3, v5 :: v_dual_add_nc_u32 v10, 16, v4
	v_cmp_le_i32_e32 vcc_lo, v16, v4
	v_cmp_gt_i32_e64 s2, s4, v4
	s_lshl_b64 s[16:17], s[16:17], 3
	s_lshl_b64 s[8:9], s[8:9], 3
	v_cmp_le_i32_e64 s3, v16, v10
	v_cmp_gt_i32_e64 s4, s4, v10
	v_add_nc_u32_e32 v34, 0x800, v13
	v_ashrrev_i32_e32 v13, 31, v12
	s_and_b32 s30, vcc_lo, s2
	v_cmp_le_i32_e32 vcc_lo, v22, v4
	s_and_b32 s31, s3, s4
	v_cmp_le_i32_e64 s3, v22, v10
	v_dual_ashrrev_i32 v5, 31, v4 :: v_dual_ashrrev_i32 v11, 31, v10
	v_lshl_add_u64 v[16:17], v[18:19], 3, s[16:17]
	s_and_b32 s33, vcc_lo, s2
	s_and_b32 s4, s3, s4
	v_lshl_add_u64 v[18:19], v[20:21], 3, s[8:9]
	s_and_b32 s34, s34, s35
	v_lshl_add_u64 v[12:13], v[12:13], 3, v[16:17]
	s_lshl_b64 s[2:3], s[24:25], 6
	s_lshl_b64 s[8:9], s[26:27], 6
	v_lshl_add_u64 v[14:15], v[14:15], 3, v[18:19]
	s_lshl_b64 s[16:17], s[28:29], 3
	s_branch .LBB353_6
.LBB353_5:                              ;   in Loop: Header=BB353_6 Depth=1
	s_wait_xcnt 0x0
	s_or_b32 exec_lo, exec_lo, s24
	s_add_co_i32 s6, s6, 0x10000
	s_delay_alu instid0(SALU_CYCLE_1)
	s_cmp_lt_u32 s6, s23
	s_cbranch_scc0 .LBB353_33
.LBB353_6:                              ; =>This Loop Header: Depth=1
                                        ;     Child Loop BB353_9 Depth 2
	v_mov_b32_e32 v16, s6
	v_mov_b64_e32 v[24:25], 0
	v_mov_b64_e32 v[20:21], 0
	;; [unrolled: 1-line block ×3, first 2 shown]
	s_and_not1_b32 vcc_lo, exec_lo, s34
	global_load_b64 v[22:23], v16, s[20:21] scale_offset
	s_wait_xcnt 0x0
	v_mov_b64_e32 v[16:17], 0
	s_cbranch_vccnz .LBB353_13
; %bb.7:                                ;   in Loop: Header=BB353_6 Depth=1
	s_lshl_b64 s[24:25], s[6:7], 3
	v_mov_b64_e32 v[16:17], 0
	s_add_nc_u64 s[26:27], s[14:15], s[24:25]
	s_add_nc_u64 s[24:25], s[18:19], s[24:25]
	s_clause 0x1
	global_load_b64 v[24:25], v3, s[26:27]
	global_load_b64 v[28:29], v3, s[24:25]
	v_mov_b64_e32 v[18:19], 0
	v_mov_b64_e32 v[20:21], 0
	s_wait_xcnt 0x0
	s_mov_b32 s24, 0
	s_wait_loadcnt 0x1
	v_add_nc_u64_e32 v[26:27], v[24:25], v[12:13]
	s_wait_loadcnt 0x0
	v_add_nc_u64_e32 v[28:29], v[28:29], v[14:15]
	v_mov_b64_e32 v[24:25], 0
	s_branch .LBB353_9
.LBB353_8:                              ;   in Loop: Header=BB353_9 Depth=2
	s_wait_xcnt 0x0
	s_or_b32 exec_lo, exec_lo, s25
	s_wait_loadcnt_dscnt 0x0
	ds_store_b64 v34, v[32:33]
	s_wait_dscnt 0x0
	s_barrier_signal -1
	s_barrier_wait -1
	ds_load_b128 v[30:33], v36
	ds_load_2addr_b64 v[38:41], v35 offset1:16
	ds_load_b128 v[42:45], v36 offset:1024
	ds_load_b128 v[46:49], v36 offset:16
	;; [unrolled: 1-line block ×3, first 2 shown]
	v_add_nc_u64_e32 v[26:27], s[2:3], v[26:27]
	v_add_nc_u64_e32 v[28:29], s[8:9], v[28:29]
	s_add_co_i32 s24, s24, 8
	s_delay_alu instid0(SALU_CYCLE_1)
	s_cmp_lt_i32 s24, s5
	s_wait_dscnt 0x3
	v_fmac_f64_e32 v[24:25], v[38:39], v[30:31]
	v_fmac_f64_e32 v[20:21], v[40:41], v[30:31]
	s_wait_dscnt 0x2
	v_fmac_f64_e32 v[18:19], v[38:39], v[42:43]
	v_fmac_f64_e32 v[16:17], v[40:41], v[42:43]
	ds_load_2addr_b64 v[38:41], v35 offset0:32 offset1:48
	s_wait_dscnt 0x0
	v_fmac_f64_e32 v[24:25], v[38:39], v[32:33]
	v_fmac_f64_e32 v[20:21], v[40:41], v[32:33]
	v_fmac_f64_e32 v[18:19], v[38:39], v[44:45]
	v_fmac_f64_e32 v[16:17], v[40:41], v[44:45]
	ds_load_2addr_b64 v[30:33], v35 offset0:64 offset1:80
	s_wait_dscnt 0x0
	v_fmac_f64_e32 v[24:25], v[30:31], v[46:47]
	v_fmac_f64_e32 v[20:21], v[32:33], v[46:47]
	;; [unrolled: 6-line block ×3, first 2 shown]
	v_fmac_f64_e32 v[18:19], v[30:31], v[52:53]
	v_fmac_f64_e32 v[16:17], v[32:33], v[52:53]
	ds_load_b128 v[30:33], v36 offset:32
	ds_load_2addr_b64 v[38:41], v35 offset0:128 offset1:144
	ds_load_b128 v[42:45], v36 offset:1056
	ds_load_b128 v[46:49], v36 offset:48
	;; [unrolled: 1-line block ×3, first 2 shown]
	s_wait_dscnt 0x3
	v_fmac_f64_e32 v[24:25], v[38:39], v[30:31]
	v_fmac_f64_e32 v[20:21], v[40:41], v[30:31]
	s_wait_dscnt 0x2
	v_fmac_f64_e32 v[18:19], v[38:39], v[42:43]
	v_fmac_f64_e32 v[16:17], v[40:41], v[42:43]
	ds_load_2addr_b64 v[38:41], v35 offset0:160 offset1:176
	s_wait_dscnt 0x0
	v_fmac_f64_e32 v[24:25], v[38:39], v[32:33]
	v_fmac_f64_e32 v[20:21], v[40:41], v[32:33]
	v_fmac_f64_e32 v[18:19], v[38:39], v[44:45]
	v_fmac_f64_e32 v[16:17], v[40:41], v[44:45]
	ds_load_2addr_b64 v[30:33], v35 offset0:192 offset1:208
	s_wait_dscnt 0x0
	v_fmac_f64_e32 v[24:25], v[30:31], v[46:47]
	v_fmac_f64_e32 v[20:21], v[32:33], v[46:47]
	;; [unrolled: 1-line block ×4, first 2 shown]
	ds_load_2addr_b64 v[30:33], v35 offset0:224 offset1:240
	s_wait_dscnt 0x0
	s_barrier_signal -1
	s_barrier_wait -1
	v_fmac_f64_e32 v[24:25], v[30:31], v[48:49]
	v_fmac_f64_e32 v[20:21], v[32:33], v[48:49]
	;; [unrolled: 1-line block ×4, first 2 shown]
	s_cbranch_scc0 .LBB353_13
.LBB353_9:                              ;   Parent Loop BB353_6 Depth=1
                                        ; =>  This Inner Loop Header: Depth=2
	v_add_nc_u32_e32 v30, s24, v2
	s_delay_alu instid0(VALU_DEP_1) | instskip(SKIP_2) | instid1(SALU_CYCLE_1)
	v_cmp_gt_i32_e32 vcc_lo, s5, v30
	v_mov_b64_e32 v[30:31], 0
	s_and_b32 s26, s0, vcc_lo
	s_and_saveexec_b32 s25, s26
	s_cbranch_execz .LBB353_11
; %bb.10:                               ;   in Loop: Header=BB353_9 Depth=2
	flat_load_b64 v[30:31], v[26:27]
.LBB353_11:                             ;   in Loop: Header=BB353_9 Depth=2
	s_wait_xcnt 0x0
	s_or_b32 exec_lo, exec_lo, s25
	v_add_nc_u32_e32 v32, s24, v0
	s_wait_loadcnt_dscnt 0x0
	ds_store_b64 v1, v[30:31]
	v_cmp_gt_i32_e32 vcc_lo, s5, v32
	v_mov_b64_e32 v[32:33], 0
	s_and_b32 s26, vcc_lo, s1
	s_delay_alu instid0(SALU_CYCLE_1)
	s_and_saveexec_b32 s25, s26
	s_cbranch_execz .LBB353_8
; %bb.12:                               ;   in Loop: Header=BB353_9 Depth=2
	flat_load_b64 v[32:33], v[28:29]
	s_branch .LBB353_8
.LBB353_13:                             ;   in Loop: Header=BB353_6 Depth=1
	s_wait_loadcnt 0x0
	v_add_nc_u64_e32 v[22:23], s[16:17], v[22:23]
	s_delay_alu instid0(VALU_DEP_1)
	v_lshl_add_u64 v[26:27], v[6:7], 3, v[22:23]
	s_and_saveexec_b32 s24, s30
	s_cbranch_execz .LBB353_17
; %bb.14:                               ;   in Loop: Header=BB353_6 Depth=1
	v_mul_f64_e32 v[24:25], s[12:13], v[24:25]
	s_delay_alu instid0(VALU_DEP_2)
	v_lshl_add_u64 v[28:29], v[4:5], 3, v[26:27]
	s_and_b32 vcc_lo, exec_lo, s22
	s_cbranch_vccz .LBB353_28
; %bb.15:                               ;   in Loop: Header=BB353_6 Depth=1
	flat_load_b64 v[30:31], v[28:29]
	s_wait_loadcnt_dscnt 0x0
	v_fma_f64 v[30:31], s[10:11], v[30:31], v[24:25]
	flat_store_b64 v[28:29], v[30:31]
	s_cbranch_execnz .LBB353_17
.LBB353_16:                             ;   in Loop: Header=BB353_6 Depth=1
	flat_store_b64 v[28:29], v[24:25]
.LBB353_17:                             ;   in Loop: Header=BB353_6 Depth=1
	s_wait_xcnt 0x0
	s_or_b32 exec_lo, exec_lo, s24
	s_and_saveexec_b32 s24, s31
	s_cbranch_execz .LBB353_21
; %bb.18:                               ;   in Loop: Header=BB353_6 Depth=1
	v_mul_f64_e32 v[20:21], s[12:13], v[20:21]
	v_lshl_add_u64 v[24:25], v[10:11], 3, v[26:27]
	s_and_not1_b32 vcc_lo, exec_lo, s22
	s_cbranch_vccnz .LBB353_29
; %bb.19:                               ;   in Loop: Header=BB353_6 Depth=1
	flat_load_b64 v[26:27], v[24:25]
	s_wait_loadcnt_dscnt 0x0
	v_fma_f64 v[26:27], s[10:11], v[26:27], v[20:21]
	flat_store_b64 v[24:25], v[26:27]
	s_cbranch_execnz .LBB353_21
.LBB353_20:                             ;   in Loop: Header=BB353_6 Depth=1
	flat_store_b64 v[24:25], v[20:21]
.LBB353_21:                             ;   in Loop: Header=BB353_6 Depth=1
	s_wait_xcnt 0x0
	s_or_b32 exec_lo, exec_lo, s24
	v_lshl_add_u64 v[20:21], v[8:9], 3, v[22:23]
	s_and_saveexec_b32 s24, s33
	s_cbranch_execz .LBB353_25
; %bb.22:                               ;   in Loop: Header=BB353_6 Depth=1
	v_mul_f64_e32 v[18:19], s[12:13], v[18:19]
	s_delay_alu instid0(VALU_DEP_2)
	v_lshl_add_u64 v[22:23], v[4:5], 3, v[20:21]
	s_and_not1_b32 vcc_lo, exec_lo, s22
	s_cbranch_vccnz .LBB353_30
; %bb.23:                               ;   in Loop: Header=BB353_6 Depth=1
	flat_load_b64 v[24:25], v[22:23]
	s_wait_loadcnt_dscnt 0x0
	v_fma_f64 v[24:25], s[10:11], v[24:25], v[18:19]
	flat_store_b64 v[22:23], v[24:25]
	s_cbranch_execnz .LBB353_25
.LBB353_24:                             ;   in Loop: Header=BB353_6 Depth=1
	flat_store_b64 v[22:23], v[18:19]
.LBB353_25:                             ;   in Loop: Header=BB353_6 Depth=1
	s_wait_xcnt 0x0
	s_or_b32 exec_lo, exec_lo, s24
	s_and_saveexec_b32 s24, s4
	s_cbranch_execz .LBB353_5
; %bb.26:                               ;   in Loop: Header=BB353_6 Depth=1
	s_delay_alu instid0(VALU_DEP_4)
	v_mul_f64_e32 v[16:17], s[12:13], v[16:17]
	v_lshl_add_u64 v[18:19], v[10:11], 3, v[20:21]
	s_and_not1_b32 vcc_lo, exec_lo, s22
	s_cbranch_vccnz .LBB353_31
; %bb.27:                               ;   in Loop: Header=BB353_6 Depth=1
	flat_load_b64 v[20:21], v[18:19]
	s_wait_loadcnt_dscnt 0x0
	v_fma_f64 v[20:21], s[10:11], v[20:21], v[16:17]
	flat_store_b64 v[18:19], v[20:21]
	s_cbranch_execnz .LBB353_5
	s_branch .LBB353_32
.LBB353_28:                             ;   in Loop: Header=BB353_6 Depth=1
	s_branch .LBB353_16
.LBB353_29:                             ;   in Loop: Header=BB353_6 Depth=1
	s_branch .LBB353_20
.LBB353_30:                             ;   in Loop: Header=BB353_6 Depth=1
	s_branch .LBB353_24
.LBB353_31:                             ;   in Loop: Header=BB353_6 Depth=1
.LBB353_32:                             ;   in Loop: Header=BB353_6 Depth=1
	flat_store_b64 v[18:19], v[16:17]
	s_branch .LBB353_5
.LBB353_33:
	s_endpgm
	.section	.rodata,"a",@progbits
	.p2align	6, 0x0
	.amdhsa_kernel _ZL29rocblas_internal_gemmt_kernelIiLi16ELi32ELi8ELc78ELc67ELc76ELb0ELb0EddPKPKdPKPdEviT_T9_T10_S7_lS9_S7_lS8_T11_S7_li
		.amdhsa_group_segment_fixed_size 4096
		.amdhsa_private_segment_fixed_size 0
		.amdhsa_kernarg_size 100
		.amdhsa_user_sgpr_count 2
		.amdhsa_user_sgpr_dispatch_ptr 0
		.amdhsa_user_sgpr_queue_ptr 0
		.amdhsa_user_sgpr_kernarg_segment_ptr 1
		.amdhsa_user_sgpr_dispatch_id 0
		.amdhsa_user_sgpr_kernarg_preload_length 0
		.amdhsa_user_sgpr_kernarg_preload_offset 0
		.amdhsa_user_sgpr_private_segment_size 0
		.amdhsa_wavefront_size32 1
		.amdhsa_uses_dynamic_stack 0
		.amdhsa_enable_private_segment 0
		.amdhsa_system_sgpr_workgroup_id_x 1
		.amdhsa_system_sgpr_workgroup_id_y 1
		.amdhsa_system_sgpr_workgroup_id_z 1
		.amdhsa_system_sgpr_workgroup_info 0
		.amdhsa_system_vgpr_workitem_id 1
		.amdhsa_next_free_vgpr 54
		.amdhsa_next_free_sgpr 36
		.amdhsa_named_barrier_count 0
		.amdhsa_reserve_vcc 1
		.amdhsa_float_round_mode_32 0
		.amdhsa_float_round_mode_16_64 0
		.amdhsa_float_denorm_mode_32 3
		.amdhsa_float_denorm_mode_16_64 3
		.amdhsa_fp16_overflow 0
		.amdhsa_memory_ordered 1
		.amdhsa_forward_progress 1
		.amdhsa_inst_pref_size 14
		.amdhsa_round_robin_scheduling 0
		.amdhsa_exception_fp_ieee_invalid_op 0
		.amdhsa_exception_fp_denorm_src 0
		.amdhsa_exception_fp_ieee_div_zero 0
		.amdhsa_exception_fp_ieee_overflow 0
		.amdhsa_exception_fp_ieee_underflow 0
		.amdhsa_exception_fp_ieee_inexact 0
		.amdhsa_exception_int_div_zero 0
	.end_amdhsa_kernel
	.section	.text._ZL29rocblas_internal_gemmt_kernelIiLi16ELi32ELi8ELc78ELc67ELc76ELb0ELb0EddPKPKdPKPdEviT_T9_T10_S7_lS9_S7_lS8_T11_S7_li,"axG",@progbits,_ZL29rocblas_internal_gemmt_kernelIiLi16ELi32ELi8ELc78ELc67ELc76ELb0ELb0EddPKPKdPKPdEviT_T9_T10_S7_lS9_S7_lS8_T11_S7_li,comdat
.Lfunc_end353:
	.size	_ZL29rocblas_internal_gemmt_kernelIiLi16ELi32ELi8ELc78ELc67ELc76ELb0ELb0EddPKPKdPKPdEviT_T9_T10_S7_lS9_S7_lS8_T11_S7_li, .Lfunc_end353-_ZL29rocblas_internal_gemmt_kernelIiLi16ELi32ELi8ELc78ELc67ELc76ELb0ELb0EddPKPKdPKPdEviT_T9_T10_S7_lS9_S7_lS8_T11_S7_li
                                        ; -- End function
	.set _ZL29rocblas_internal_gemmt_kernelIiLi16ELi32ELi8ELc78ELc67ELc76ELb0ELb0EddPKPKdPKPdEviT_T9_T10_S7_lS9_S7_lS8_T11_S7_li.num_vgpr, 54
	.set _ZL29rocblas_internal_gemmt_kernelIiLi16ELi32ELi8ELc78ELc67ELc76ELb0ELb0EddPKPKdPKPdEviT_T9_T10_S7_lS9_S7_lS8_T11_S7_li.num_agpr, 0
	.set _ZL29rocblas_internal_gemmt_kernelIiLi16ELi32ELi8ELc78ELc67ELc76ELb0ELb0EddPKPKdPKPdEviT_T9_T10_S7_lS9_S7_lS8_T11_S7_li.numbered_sgpr, 36
	.set _ZL29rocblas_internal_gemmt_kernelIiLi16ELi32ELi8ELc78ELc67ELc76ELb0ELb0EddPKPKdPKPdEviT_T9_T10_S7_lS9_S7_lS8_T11_S7_li.num_named_barrier, 0
	.set _ZL29rocblas_internal_gemmt_kernelIiLi16ELi32ELi8ELc78ELc67ELc76ELb0ELb0EddPKPKdPKPdEviT_T9_T10_S7_lS9_S7_lS8_T11_S7_li.private_seg_size, 0
	.set _ZL29rocblas_internal_gemmt_kernelIiLi16ELi32ELi8ELc78ELc67ELc76ELb0ELb0EddPKPKdPKPdEviT_T9_T10_S7_lS9_S7_lS8_T11_S7_li.uses_vcc, 1
	.set _ZL29rocblas_internal_gemmt_kernelIiLi16ELi32ELi8ELc78ELc67ELc76ELb0ELb0EddPKPKdPKPdEviT_T9_T10_S7_lS9_S7_lS8_T11_S7_li.uses_flat_scratch, 0
	.set _ZL29rocblas_internal_gemmt_kernelIiLi16ELi32ELi8ELc78ELc67ELc76ELb0ELb0EddPKPKdPKPdEviT_T9_T10_S7_lS9_S7_lS8_T11_S7_li.has_dyn_sized_stack, 0
	.set _ZL29rocblas_internal_gemmt_kernelIiLi16ELi32ELi8ELc78ELc67ELc76ELb0ELb0EddPKPKdPKPdEviT_T9_T10_S7_lS9_S7_lS8_T11_S7_li.has_recursion, 0
	.set _ZL29rocblas_internal_gemmt_kernelIiLi16ELi32ELi8ELc78ELc67ELc76ELb0ELb0EddPKPKdPKPdEviT_T9_T10_S7_lS9_S7_lS8_T11_S7_li.has_indirect_call, 0
	.section	.AMDGPU.csdata,"",@progbits
; Kernel info:
; codeLenInByte = 1684
; TotalNumSgprs: 38
; NumVgprs: 54
; ScratchSize: 0
; MemoryBound: 0
; FloatMode: 240
; IeeeMode: 1
; LDSByteSize: 4096 bytes/workgroup (compile time only)
; SGPRBlocks: 0
; VGPRBlocks: 3
; NumSGPRsForWavesPerEU: 38
; NumVGPRsForWavesPerEU: 54
; NamedBarCnt: 0
; Occupancy: 16
; WaveLimiterHint : 1
; COMPUTE_PGM_RSRC2:SCRATCH_EN: 0
; COMPUTE_PGM_RSRC2:USER_SGPR: 2
; COMPUTE_PGM_RSRC2:TRAP_HANDLER: 0
; COMPUTE_PGM_RSRC2:TGID_X_EN: 1
; COMPUTE_PGM_RSRC2:TGID_Y_EN: 1
; COMPUTE_PGM_RSRC2:TGID_Z_EN: 1
; COMPUTE_PGM_RSRC2:TIDIG_COMP_CNT: 1
	.section	.text._ZL29rocblas_internal_gemmt_kernelIiLi16ELi32ELi8ELc84ELc78ELc76ELb0ELb0EddPKPKdPKPdEviT_T9_T10_S7_lS9_S7_lS8_T11_S7_li,"axG",@progbits,_ZL29rocblas_internal_gemmt_kernelIiLi16ELi32ELi8ELc84ELc78ELc76ELb0ELb0EddPKPKdPKPdEviT_T9_T10_S7_lS9_S7_lS8_T11_S7_li,comdat
	.globl	_ZL29rocblas_internal_gemmt_kernelIiLi16ELi32ELi8ELc84ELc78ELc76ELb0ELb0EddPKPKdPKPdEviT_T9_T10_S7_lS9_S7_lS8_T11_S7_li ; -- Begin function _ZL29rocblas_internal_gemmt_kernelIiLi16ELi32ELi8ELc84ELc78ELc76ELb0ELb0EddPKPKdPKPdEviT_T9_T10_S7_lS9_S7_lS8_T11_S7_li
	.p2align	8
	.type	_ZL29rocblas_internal_gemmt_kernelIiLi16ELi32ELi8ELc84ELc78ELc76ELb0ELb0EddPKPKdPKPdEviT_T9_T10_S7_lS9_S7_lS8_T11_S7_li,@function
_ZL29rocblas_internal_gemmt_kernelIiLi16ELi32ELi8ELc84ELc78ELc76ELb0ELb0EddPKPKdPKPdEviT_T9_T10_S7_lS9_S7_lS8_T11_S7_li: ; @_ZL29rocblas_internal_gemmt_kernelIiLi16ELi32ELi8ELc84ELc78ELc76ELb0ELb0EddPKPKdPKPdEviT_T9_T10_S7_lS9_S7_lS8_T11_S7_li
; %bb.0:
	s_clause 0x2
	s_load_b128 s[4:7], s[0:1], 0x38
	s_load_b64 s[20:21], s[0:1], 0x0
	s_load_b128 s[8:11], s[0:1], 0x8
	s_wait_kmcnt 0x0
	v_cmp_neq_f64_e64 s2, s[6:7], 1.0
	s_and_b32 vcc_lo, exec_lo, s2
	s_cbranch_vccnz .LBB354_2
; %bb.1:
	v_cmp_neq_f64_e64 s2, s[8:9], 0
	s_cmp_lg_u32 s21, 0
	s_cselect_b32 s3, -1, 0
	s_delay_alu instid0(SALU_CYCLE_1)
	s_and_b32 s2, s3, s2
.LBB354_2:
	s_delay_alu instid0(SALU_CYCLE_1)
	s_and_not1_b32 vcc_lo, exec_lo, s2
	s_cbranch_vccnz .LBB354_33
; %bb.3:
	s_load_b32 s19, s[0:1], 0x60
	s_bfe_u32 s2, ttmp6, 0x40014
	s_lshr_b32 s3, ttmp7, 16
	s_add_co_i32 s2, s2, 1
	s_bfe_u32 s12, ttmp6, 0x40008
	s_mul_i32 s2, s3, s2
	s_getreg_b32 s28, hwreg(HW_REG_IB_STS2, 6, 4)
	s_add_co_i32 s12, s12, s2
	s_cmp_eq_u32 s28, 0
	s_mov_b32 s23, 0
	s_cselect_b32 s22, s3, s12
	s_wait_kmcnt 0x0
	s_cmp_ge_u32 s22, s19
	s_cbranch_scc1 .LBB354_33
; %bb.4:
	s_clause 0x3
	s_load_b32 s26, s[0:1], 0x18
	s_load_b32 s2, s[0:1], 0x30
	s_load_b96 s[16:18], s[0:1], 0x48
	s_load_b128 s[12:15], s[0:1], 0x20
	v_and_b32_e32 v2, 0x3ff, v0
	v_bfe_u32 v3, v0, 10, 10
	s_load_b64 s[24:25], s[0:1], 0x58
	s_wait_xcnt 0x0
	s_bfe_u32 s1, ttmp6, 0x4000c
	s_bfe_u32 s3, ttmp6, 0x40010
	s_and_b32 s29, ttmp7, 0xffff
	s_add_co_i32 s1, s1, 1
	s_add_co_i32 s3, s3, 1
	v_lshl_add_u32 v4, v3, 4, v2
	s_and_b32 s0, ttmp6, 15
	s_bfe_u32 s30, ttmp6, 0x40004
	s_mul_i32 s31, ttmp9, s1
	s_mul_i32 s33, s29, s3
	s_add_co_i32 s0, s0, s31
	s_add_co_i32 s30, s30, s33
	v_dual_lshrrev_b32 v5, 3, v4 :: v_dual_bitop2_b32 v6, 31, v4 bitop3:0x40
	s_wait_kmcnt 0x0
	s_ashr_i32 s27, s26, 31
	s_ashr_i32 s3, s2, 31
	;; [unrolled: 1-line block ×3, first 2 shown]
	s_cmp_eq_u32 s28, 0
	v_dual_lshlrev_b32 v33, 3, v2 :: v_dual_lshrrev_b32 v35, 5, v4
	s_cselect_b32 s0, ttmp9, s0
	s_cselect_b32 s28, s29, s30
	s_lshl_b32 s29, s0, 5
	s_lshl_b32 s0, s28, 5
	s_delay_alu instid0(SALU_CYCLE_1) | instskip(SKIP_2) | instid1(VALU_DEP_3)
	v_dual_add_nc_u32 v12, s0, v5 :: v_dual_bitop2_b32 v10, s29, v6 bitop3:0x54
	v_dual_add_nc_u32 v14, s0, v3 :: v_dual_bitop2_b32 v32, 7, v0 bitop3:0x40
	v_cmp_neq_f64_e64 s33, s[8:9], 0
	v_dual_ashrrev_i32 v11, 31, v10 :: v_dual_ashrrev_i32 v13, 31, v12
	s_delay_alu instid0(VALU_DEP_3) | instskip(NEXT) | instid1(VALU_DEP_4)
	v_dual_mov_b32 v1, 0 :: v_dual_lshlrev_b32 v20, 3, v32
	v_dual_add_nc_u32 v22, 16, v14 :: v_dual_ashrrev_i32 v15, 31, v14
	s_delay_alu instid0(VALU_DEP_3) | instskip(NEXT) | instid1(VALU_DEP_4)
	v_mul_u64_e32 v[16:17], s[26:27], v[10:11]
	v_mul_u64_e32 v[18:19], s[2:3], v[12:13]
	s_delay_alu instid0(VALU_DEP_4) | instskip(NEXT) | instid1(VALU_DEP_4)
	v_dual_mov_b32 v21, v1 :: v_dual_lshlrev_b32 v0, 3, v6
	v_ashrrev_i32_e32 v23, 31, v22
	s_mov_b32 s0, s18
	v_cmp_neq_f64_e64 s28, s[6:7], 0
	v_lshl_add_u32 v34, v3, 6, 0x800
	v_lshl_or_b32 v3, v5, 6, v20
	v_mul_u64_e32 v[4:5], s[0:1], v[14:15]
	v_lshl_or_b32 v36, v35, 8, v0
	v_lshlrev_b32_e32 v0, 3, v35
	v_mul_u64_e32 v[6:7], s[0:1], v[22:23]
	v_add_nc_u32_e32 v2, s29, v2
	s_cmp_gt_i32 s21, 0
	v_add_nc_u32_e32 v37, 0x800, v3
	s_cselect_b32 s18, -1, 0
	s_lshl_b64 s[26:27], s[12:13], 3
	v_add_nc_u32_e32 v8, 16, v2
	s_lshl_b64 s[30:31], s[4:5], 3
	v_cmp_gt_i32_e64 s0, s20, v10
	v_cmp_gt_i32_e64 s1, s20, v12
	s_delay_alu instid0(VALU_DEP_3)
	v_ashrrev_i32_e32 v9, 31, v8
	v_cmp_le_i32_e32 vcc_lo, v14, v2
	v_cmp_gt_i32_e64 s2, s20, v2
	v_ashrrev_i32_e32 v3, 31, v2
	v_cmp_le_i32_e64 s3, v14, v8
	v_cmp_gt_i32_e64 s4, s20, v8
	s_and_b32 s13, s33, s18
	s_and_b32 s5, vcc_lo, s2
	v_cmp_le_i32_e32 vcc_lo, v22, v2
	v_lshl_add_u64 v[10:11], v[16:17], 3, s[26:27]
	v_lshl_add_u64 v[12:13], v[18:19], 3, s[30:31]
	s_and_b32 s12, s3, s4
	v_cmp_le_i32_e64 s3, v22, v8
	s_and_b32 s18, vcc_lo, s2
	v_add_nc_u64_e32 v[10:11], v[10:11], v[0:1]
	v_add_nc_u64_e32 v[12:13], v[12:13], v[20:21]
	s_and_b32 s4, s3, s4
	s_lshl_b64 s[2:3], s[24:25], 3
	s_branch .LBB354_6
.LBB354_5:                              ;   in Loop: Header=BB354_6 Depth=1
	s_wait_xcnt 0x0
	s_or_b32 exec_lo, exec_lo, s20
	s_add_co_i32 s22, s22, 0x10000
	s_delay_alu instid0(SALU_CYCLE_1)
	s_cmp_lt_u32 s22, s19
	s_cbranch_scc0 .LBB354_33
.LBB354_6:                              ; =>This Loop Header: Depth=1
                                        ;     Child Loop BB354_9 Depth 2
	v_mov_b32_e32 v0, s22
	v_mov_b64_e32 v[22:23], 0
	v_mov_b64_e32 v[18:19], 0
	;; [unrolled: 1-line block ×4, first 2 shown]
	global_load_b64 v[20:21], v0, s[16:17] scale_offset
	s_and_not1_b32 vcc_lo, exec_lo, s13
	s_cbranch_vccnz .LBB354_13
; %bb.7:                                ;   in Loop: Header=BB354_6 Depth=1
	s_lshl_b64 s[24:25], s[22:23], 3
	v_mov_b64_e32 v[14:15], 0
	s_add_nc_u64 s[26:27], s[10:11], s[24:25]
	s_add_nc_u64 s[24:25], s[14:15], s[24:25]
	s_clause 0x1
	global_load_b64 v[22:23], v1, s[26:27]
	global_load_b64 v[26:27], v1, s[24:25]
	v_mov_b64_e32 v[16:17], 0
	v_mov_b64_e32 v[18:19], 0
	s_mov_b32 s20, 0
	s_wait_loadcnt 0x1
	v_add_nc_u64_e32 v[24:25], v[22:23], v[10:11]
	s_wait_loadcnt 0x0
	v_add_nc_u64_e32 v[26:27], v[26:27], v[12:13]
	v_mov_b64_e32 v[22:23], 0
	s_branch .LBB354_9
.LBB354_8:                              ;   in Loop: Header=BB354_9 Depth=2
	s_wait_xcnt 0x0
	s_or_b32 exec_lo, exec_lo, s24
	s_wait_loadcnt_dscnt 0x0
	ds_store_b64 v37, v[30:31]
	s_wait_dscnt 0x0
	s_barrier_signal -1
	s_barrier_wait -1
	ds_load_b128 v[28:31], v34
	ds_load_2addr_b64 v[38:41], v33 offset1:16
	ds_load_b128 v[42:45], v34 offset:1024
	ds_load_b128 v[46:49], v34 offset:16
	;; [unrolled: 1-line block ×3, first 2 shown]
	v_add_nc_u64_e32 v[24:25], 64, v[24:25]
	v_add_nc_u64_e32 v[26:27], 64, v[26:27]
	s_add_co_i32 s20, s20, 8
	s_delay_alu instid0(SALU_CYCLE_1)
	s_cmp_lt_i32 s20, s21
	s_wait_dscnt 0x3
	v_fmac_f64_e32 v[22:23], v[38:39], v[28:29]
	v_fmac_f64_e32 v[18:19], v[40:41], v[28:29]
	s_wait_dscnt 0x2
	v_fmac_f64_e32 v[16:17], v[38:39], v[42:43]
	v_fmac_f64_e32 v[14:15], v[40:41], v[42:43]
	ds_load_2addr_b64 v[38:41], v33 offset0:32 offset1:48
	s_wait_dscnt 0x0
	v_fmac_f64_e32 v[22:23], v[38:39], v[30:31]
	v_fmac_f64_e32 v[18:19], v[40:41], v[30:31]
	v_fmac_f64_e32 v[16:17], v[38:39], v[44:45]
	v_fmac_f64_e32 v[14:15], v[40:41], v[44:45]
	ds_load_2addr_b64 v[28:31], v33 offset0:64 offset1:80
	s_wait_dscnt 0x0
	v_fmac_f64_e32 v[22:23], v[28:29], v[46:47]
	v_fmac_f64_e32 v[18:19], v[30:31], v[46:47]
	v_fmac_f64_e32 v[16:17], v[28:29], v[50:51]
	v_fmac_f64_e32 v[14:15], v[30:31], v[50:51]
	ds_load_2addr_b64 v[28:31], v33 offset0:96 offset1:112
	s_wait_dscnt 0x0
	v_fmac_f64_e32 v[22:23], v[28:29], v[48:49]
	v_fmac_f64_e32 v[18:19], v[30:31], v[48:49]
	v_fmac_f64_e32 v[16:17], v[28:29], v[52:53]
	v_fmac_f64_e32 v[14:15], v[30:31], v[52:53]
	ds_load_b128 v[28:31], v34 offset:32
	ds_load_2addr_b64 v[38:41], v33 offset0:128 offset1:144
	ds_load_b128 v[42:45], v34 offset:1056
	ds_load_b128 v[46:49], v34 offset:48
	;; [unrolled: 1-line block ×3, first 2 shown]
	s_wait_dscnt 0x3
	v_fmac_f64_e32 v[22:23], v[38:39], v[28:29]
	v_fmac_f64_e32 v[18:19], v[40:41], v[28:29]
	s_wait_dscnt 0x2
	v_fmac_f64_e32 v[16:17], v[38:39], v[42:43]
	v_fmac_f64_e32 v[14:15], v[40:41], v[42:43]
	ds_load_2addr_b64 v[38:41], v33 offset0:160 offset1:176
	s_wait_dscnt 0x0
	v_fmac_f64_e32 v[22:23], v[38:39], v[30:31]
	v_fmac_f64_e32 v[18:19], v[40:41], v[30:31]
	;; [unrolled: 1-line block ×4, first 2 shown]
	ds_load_2addr_b64 v[28:31], v33 offset0:192 offset1:208
	s_wait_dscnt 0x0
	v_fmac_f64_e32 v[22:23], v[28:29], v[46:47]
	v_fmac_f64_e32 v[18:19], v[30:31], v[46:47]
	;; [unrolled: 1-line block ×4, first 2 shown]
	ds_load_2addr_b64 v[28:31], v33 offset0:224 offset1:240
	s_wait_dscnt 0x0
	s_barrier_signal -1
	s_barrier_wait -1
	v_fmac_f64_e32 v[22:23], v[28:29], v[48:49]
	v_fmac_f64_e32 v[18:19], v[30:31], v[48:49]
	;; [unrolled: 1-line block ×4, first 2 shown]
	s_cbranch_scc0 .LBB354_13
.LBB354_9:                              ;   Parent Loop BB354_6 Depth=1
                                        ; =>  This Inner Loop Header: Depth=2
	s_wait_xcnt 0x2
	v_add_nc_u32_e32 v0, s20, v35
	v_mov_b64_e32 v[28:29], 0
	s_delay_alu instid0(VALU_DEP_2) | instskip(SKIP_2) | instid1(SALU_CYCLE_1)
	v_cmp_gt_i32_e32 vcc_lo, s21, v0
	s_wait_xcnt 0x0
	s_and_b32 s25, s0, vcc_lo
	s_and_saveexec_b32 s24, s25
	s_cbranch_execz .LBB354_11
; %bb.10:                               ;   in Loop: Header=BB354_9 Depth=2
	flat_load_b64 v[28:29], v[24:25]
.LBB354_11:                             ;   in Loop: Header=BB354_9 Depth=2
	s_wait_xcnt 0x0
	s_or_b32 exec_lo, exec_lo, s24
	v_add_nc_u32_e32 v0, s20, v32
	v_mov_b64_e32 v[30:31], 0
	s_wait_loadcnt_dscnt 0x0
	ds_store_b64 v36, v[28:29]
	v_cmp_gt_i32_e32 vcc_lo, s21, v0
	s_and_b32 s25, vcc_lo, s1
	s_delay_alu instid0(SALU_CYCLE_1)
	s_and_saveexec_b32 s24, s25
	s_cbranch_execz .LBB354_8
; %bb.12:                               ;   in Loop: Header=BB354_9 Depth=2
	flat_load_b64 v[30:31], v[26:27]
	s_branch .LBB354_8
.LBB354_13:                             ;   in Loop: Header=BB354_6 Depth=1
	s_wait_loadcnt 0x0
	v_add_nc_u64_e32 v[20:21], s[2:3], v[20:21]
	s_delay_alu instid0(VALU_DEP_1)
	v_lshl_add_u64 v[24:25], v[4:5], 3, v[20:21]
	s_wait_xcnt 0x0
	s_and_saveexec_b32 s20, s5
	s_cbranch_execz .LBB354_17
; %bb.14:                               ;   in Loop: Header=BB354_6 Depth=1
	v_mul_f64_e32 v[22:23], s[8:9], v[22:23]
	v_lshl_add_u64 v[26:27], v[2:3], 3, v[24:25]
	s_and_b32 vcc_lo, exec_lo, s28
	s_cbranch_vccz .LBB354_28
; %bb.15:                               ;   in Loop: Header=BB354_6 Depth=1
	flat_load_b64 v[28:29], v[26:27]
	s_wait_loadcnt_dscnt 0x0
	v_fma_f64 v[28:29], s[6:7], v[28:29], v[22:23]
	flat_store_b64 v[26:27], v[28:29]
	s_cbranch_execnz .LBB354_17
.LBB354_16:                             ;   in Loop: Header=BB354_6 Depth=1
	flat_store_b64 v[26:27], v[22:23]
.LBB354_17:                             ;   in Loop: Header=BB354_6 Depth=1
	s_wait_xcnt 0x0
	s_or_b32 exec_lo, exec_lo, s20
	s_and_saveexec_b32 s20, s12
	s_cbranch_execz .LBB354_21
; %bb.18:                               ;   in Loop: Header=BB354_6 Depth=1
	v_mul_f64_e32 v[18:19], s[8:9], v[18:19]
	v_lshl_add_u64 v[22:23], v[8:9], 3, v[24:25]
	s_and_not1_b32 vcc_lo, exec_lo, s28
	s_cbranch_vccnz .LBB354_29
; %bb.19:                               ;   in Loop: Header=BB354_6 Depth=1
	flat_load_b64 v[24:25], v[22:23]
	s_wait_loadcnt_dscnt 0x0
	v_fma_f64 v[24:25], s[6:7], v[24:25], v[18:19]
	flat_store_b64 v[22:23], v[24:25]
	s_cbranch_execnz .LBB354_21
.LBB354_20:                             ;   in Loop: Header=BB354_6 Depth=1
	flat_store_b64 v[22:23], v[18:19]
.LBB354_21:                             ;   in Loop: Header=BB354_6 Depth=1
	s_wait_xcnt 0x0
	s_or_b32 exec_lo, exec_lo, s20
	v_lshl_add_u64 v[18:19], v[6:7], 3, v[20:21]
	s_and_saveexec_b32 s20, s18
	s_cbranch_execz .LBB354_25
; %bb.22:                               ;   in Loop: Header=BB354_6 Depth=1
	v_mul_f64_e32 v[16:17], s[8:9], v[16:17]
	s_delay_alu instid0(VALU_DEP_2)
	v_lshl_add_u64 v[20:21], v[2:3], 3, v[18:19]
	s_and_not1_b32 vcc_lo, exec_lo, s28
	s_cbranch_vccnz .LBB354_30
; %bb.23:                               ;   in Loop: Header=BB354_6 Depth=1
	flat_load_b64 v[22:23], v[20:21]
	s_wait_loadcnt_dscnt 0x0
	v_fma_f64 v[22:23], s[6:7], v[22:23], v[16:17]
	flat_store_b64 v[20:21], v[22:23]
	s_cbranch_execnz .LBB354_25
.LBB354_24:                             ;   in Loop: Header=BB354_6 Depth=1
	flat_store_b64 v[20:21], v[16:17]
.LBB354_25:                             ;   in Loop: Header=BB354_6 Depth=1
	s_wait_xcnt 0x0
	s_or_b32 exec_lo, exec_lo, s20
	s_and_saveexec_b32 s20, s4
	s_cbranch_execz .LBB354_5
; %bb.26:                               ;   in Loop: Header=BB354_6 Depth=1
	s_delay_alu instid0(VALU_DEP_4)
	v_mul_f64_e32 v[14:15], s[8:9], v[14:15]
	v_lshl_add_u64 v[16:17], v[8:9], 3, v[18:19]
	s_and_not1_b32 vcc_lo, exec_lo, s28
	s_cbranch_vccnz .LBB354_31
; %bb.27:                               ;   in Loop: Header=BB354_6 Depth=1
	flat_load_b64 v[18:19], v[16:17]
	s_wait_loadcnt_dscnt 0x0
	v_fma_f64 v[18:19], s[6:7], v[18:19], v[14:15]
	flat_store_b64 v[16:17], v[18:19]
	s_cbranch_execnz .LBB354_5
	s_branch .LBB354_32
.LBB354_28:                             ;   in Loop: Header=BB354_6 Depth=1
	s_branch .LBB354_16
.LBB354_29:                             ;   in Loop: Header=BB354_6 Depth=1
	s_branch .LBB354_20
.LBB354_30:                             ;   in Loop: Header=BB354_6 Depth=1
	s_branch .LBB354_24
.LBB354_31:                             ;   in Loop: Header=BB354_6 Depth=1
.LBB354_32:                             ;   in Loop: Header=BB354_6 Depth=1
	flat_store_b64 v[16:17], v[14:15]
	s_branch .LBB354_5
.LBB354_33:
	s_endpgm
	.section	.rodata,"a",@progbits
	.p2align	6, 0x0
	.amdhsa_kernel _ZL29rocblas_internal_gemmt_kernelIiLi16ELi32ELi8ELc84ELc78ELc76ELb0ELb0EddPKPKdPKPdEviT_T9_T10_S7_lS9_S7_lS8_T11_S7_li
		.amdhsa_group_segment_fixed_size 4096
		.amdhsa_private_segment_fixed_size 0
		.amdhsa_kernarg_size 100
		.amdhsa_user_sgpr_count 2
		.amdhsa_user_sgpr_dispatch_ptr 0
		.amdhsa_user_sgpr_queue_ptr 0
		.amdhsa_user_sgpr_kernarg_segment_ptr 1
		.amdhsa_user_sgpr_dispatch_id 0
		.amdhsa_user_sgpr_kernarg_preload_length 0
		.amdhsa_user_sgpr_kernarg_preload_offset 0
		.amdhsa_user_sgpr_private_segment_size 0
		.amdhsa_wavefront_size32 1
		.amdhsa_uses_dynamic_stack 0
		.amdhsa_enable_private_segment 0
		.amdhsa_system_sgpr_workgroup_id_x 1
		.amdhsa_system_sgpr_workgroup_id_y 1
		.amdhsa_system_sgpr_workgroup_id_z 1
		.amdhsa_system_sgpr_workgroup_info 0
		.amdhsa_system_vgpr_workitem_id 1
		.amdhsa_next_free_vgpr 54
		.amdhsa_next_free_sgpr 34
		.amdhsa_named_barrier_count 0
		.amdhsa_reserve_vcc 1
		.amdhsa_float_round_mode_32 0
		.amdhsa_float_round_mode_16_64 0
		.amdhsa_float_denorm_mode_32 3
		.amdhsa_float_denorm_mode_16_64 3
		.amdhsa_fp16_overflow 0
		.amdhsa_memory_ordered 1
		.amdhsa_forward_progress 1
		.amdhsa_inst_pref_size 14
		.amdhsa_round_robin_scheduling 0
		.amdhsa_exception_fp_ieee_invalid_op 0
		.amdhsa_exception_fp_denorm_src 0
		.amdhsa_exception_fp_ieee_div_zero 0
		.amdhsa_exception_fp_ieee_overflow 0
		.amdhsa_exception_fp_ieee_underflow 0
		.amdhsa_exception_fp_ieee_inexact 0
		.amdhsa_exception_int_div_zero 0
	.end_amdhsa_kernel
	.section	.text._ZL29rocblas_internal_gemmt_kernelIiLi16ELi32ELi8ELc84ELc78ELc76ELb0ELb0EddPKPKdPKPdEviT_T9_T10_S7_lS9_S7_lS8_T11_S7_li,"axG",@progbits,_ZL29rocblas_internal_gemmt_kernelIiLi16ELi32ELi8ELc84ELc78ELc76ELb0ELb0EddPKPKdPKPdEviT_T9_T10_S7_lS9_S7_lS8_T11_S7_li,comdat
.Lfunc_end354:
	.size	_ZL29rocblas_internal_gemmt_kernelIiLi16ELi32ELi8ELc84ELc78ELc76ELb0ELb0EddPKPKdPKPdEviT_T9_T10_S7_lS9_S7_lS8_T11_S7_li, .Lfunc_end354-_ZL29rocblas_internal_gemmt_kernelIiLi16ELi32ELi8ELc84ELc78ELc76ELb0ELb0EddPKPKdPKPdEviT_T9_T10_S7_lS9_S7_lS8_T11_S7_li
                                        ; -- End function
	.set _ZL29rocblas_internal_gemmt_kernelIiLi16ELi32ELi8ELc84ELc78ELc76ELb0ELb0EddPKPKdPKPdEviT_T9_T10_S7_lS9_S7_lS8_T11_S7_li.num_vgpr, 54
	.set _ZL29rocblas_internal_gemmt_kernelIiLi16ELi32ELi8ELc84ELc78ELc76ELb0ELb0EddPKPKdPKPdEviT_T9_T10_S7_lS9_S7_lS8_T11_S7_li.num_agpr, 0
	.set _ZL29rocblas_internal_gemmt_kernelIiLi16ELi32ELi8ELc84ELc78ELc76ELb0ELb0EddPKPKdPKPdEviT_T9_T10_S7_lS9_S7_lS8_T11_S7_li.numbered_sgpr, 34
	.set _ZL29rocblas_internal_gemmt_kernelIiLi16ELi32ELi8ELc84ELc78ELc76ELb0ELb0EddPKPKdPKPdEviT_T9_T10_S7_lS9_S7_lS8_T11_S7_li.num_named_barrier, 0
	.set _ZL29rocblas_internal_gemmt_kernelIiLi16ELi32ELi8ELc84ELc78ELc76ELb0ELb0EddPKPKdPKPdEviT_T9_T10_S7_lS9_S7_lS8_T11_S7_li.private_seg_size, 0
	.set _ZL29rocblas_internal_gemmt_kernelIiLi16ELi32ELi8ELc84ELc78ELc76ELb0ELb0EddPKPKdPKPdEviT_T9_T10_S7_lS9_S7_lS8_T11_S7_li.uses_vcc, 1
	.set _ZL29rocblas_internal_gemmt_kernelIiLi16ELi32ELi8ELc84ELc78ELc76ELb0ELb0EddPKPKdPKPdEviT_T9_T10_S7_lS9_S7_lS8_T11_S7_li.uses_flat_scratch, 0
	.set _ZL29rocblas_internal_gemmt_kernelIiLi16ELi32ELi8ELc84ELc78ELc76ELb0ELb0EddPKPKdPKPdEviT_T9_T10_S7_lS9_S7_lS8_T11_S7_li.has_dyn_sized_stack, 0
	.set _ZL29rocblas_internal_gemmt_kernelIiLi16ELi32ELi8ELc84ELc78ELc76ELb0ELb0EddPKPKdPKPdEviT_T9_T10_S7_lS9_S7_lS8_T11_S7_li.has_recursion, 0
	.set _ZL29rocblas_internal_gemmt_kernelIiLi16ELi32ELi8ELc84ELc78ELc76ELb0ELb0EddPKPKdPKPdEviT_T9_T10_S7_lS9_S7_lS8_T11_S7_li.has_indirect_call, 0
	.section	.AMDGPU.csdata,"",@progbits
; Kernel info:
; codeLenInByte = 1676
; TotalNumSgprs: 36
; NumVgprs: 54
; ScratchSize: 0
; MemoryBound: 0
; FloatMode: 240
; IeeeMode: 1
; LDSByteSize: 4096 bytes/workgroup (compile time only)
; SGPRBlocks: 0
; VGPRBlocks: 3
; NumSGPRsForWavesPerEU: 36
; NumVGPRsForWavesPerEU: 54
; NamedBarCnt: 0
; Occupancy: 16
; WaveLimiterHint : 1
; COMPUTE_PGM_RSRC2:SCRATCH_EN: 0
; COMPUTE_PGM_RSRC2:USER_SGPR: 2
; COMPUTE_PGM_RSRC2:TRAP_HANDLER: 0
; COMPUTE_PGM_RSRC2:TGID_X_EN: 1
; COMPUTE_PGM_RSRC2:TGID_Y_EN: 1
; COMPUTE_PGM_RSRC2:TGID_Z_EN: 1
; COMPUTE_PGM_RSRC2:TIDIG_COMP_CNT: 1
	.section	.text._ZL29rocblas_internal_gemmt_kernelIiLi16ELi32ELi8ELc84ELc84ELc76ELb0ELb0EddPKPKdPKPdEviT_T9_T10_S7_lS9_S7_lS8_T11_S7_li,"axG",@progbits,_ZL29rocblas_internal_gemmt_kernelIiLi16ELi32ELi8ELc84ELc84ELc76ELb0ELb0EddPKPKdPKPdEviT_T9_T10_S7_lS9_S7_lS8_T11_S7_li,comdat
	.globl	_ZL29rocblas_internal_gemmt_kernelIiLi16ELi32ELi8ELc84ELc84ELc76ELb0ELb0EddPKPKdPKPdEviT_T9_T10_S7_lS9_S7_lS8_T11_S7_li ; -- Begin function _ZL29rocblas_internal_gemmt_kernelIiLi16ELi32ELi8ELc84ELc84ELc76ELb0ELb0EddPKPKdPKPdEviT_T9_T10_S7_lS9_S7_lS8_T11_S7_li
	.p2align	8
	.type	_ZL29rocblas_internal_gemmt_kernelIiLi16ELi32ELi8ELc84ELc84ELc76ELb0ELb0EddPKPKdPKPdEviT_T9_T10_S7_lS9_S7_lS8_T11_S7_li,@function
_ZL29rocblas_internal_gemmt_kernelIiLi16ELi32ELi8ELc84ELc84ELc76ELb0ELb0EddPKPKdPKPdEviT_T9_T10_S7_lS9_S7_lS8_T11_S7_li: ; @_ZL29rocblas_internal_gemmt_kernelIiLi16ELi32ELi8ELc84ELc84ELc76ELb0ELb0EddPKPKdPKPdEviT_T9_T10_S7_lS9_S7_lS8_T11_S7_li
; %bb.0:
	s_clause 0x2
	s_load_b128 s[8:11], s[0:1], 0x38
	s_load_b64 s[4:5], s[0:1], 0x0
	s_load_b128 s[12:15], s[0:1], 0x8
	s_wait_kmcnt 0x0
	v_cmp_neq_f64_e64 s2, s[10:11], 1.0
	s_and_b32 vcc_lo, exec_lo, s2
	s_cbranch_vccnz .LBB355_2
; %bb.1:
	v_cmp_neq_f64_e64 s2, s[12:13], 0
	s_cmp_lg_u32 s5, 0
	s_cselect_b32 s3, -1, 0
	s_delay_alu instid0(SALU_CYCLE_1)
	s_and_b32 s2, s3, s2
.LBB355_2:
	s_delay_alu instid0(SALU_CYCLE_1)
	s_and_not1_b32 vcc_lo, exec_lo, s2
	s_cbranch_vccnz .LBB355_33
; %bb.3:
	s_load_b32 s23, s[0:1], 0x60
	s_bfe_u32 s2, ttmp6, 0x40014
	s_lshr_b32 s3, ttmp7, 16
	s_add_co_i32 s2, s2, 1
	s_bfe_u32 s6, ttmp6, 0x40008
	s_mul_i32 s2, s3, s2
	s_getreg_b32 s28, hwreg(HW_REG_IB_STS2, 6, 4)
	s_add_co_i32 s6, s6, s2
	s_cmp_eq_u32 s28, 0
	s_mov_b32 s7, 0
	s_cselect_b32 s6, s3, s6
	s_wait_kmcnt 0x0
	s_cmp_ge_u32 s6, s23
	s_cbranch_scc1 .LBB355_33
; %bb.4:
	s_clause 0x3
	s_load_b32 s2, s[0:1], 0x18
	s_load_b32 s24, s[0:1], 0x30
	s_load_b96 s[20:22], s[0:1], 0x48
	s_load_b128 s[16:19], s[0:1], 0x20
	v_and_b32_e32 v2, 0x3ff, v0
	v_bfe_u32 v11, v0, 10, 10
	s_load_b64 s[26:27], s[0:1], 0x58
	s_wait_xcnt 0x0
	s_bfe_u32 s1, ttmp6, 0x4000c
	s_bfe_u32 s3, ttmp6, 0x40010
	s_and_b32 s30, ttmp7, 0xffff
	s_add_co_i32 s1, s1, 1
	s_add_co_i32 s3, s3, 1
	v_lshl_add_u32 v1, v11, 4, v2
	s_and_b32 s0, ttmp6, 15
	s_bfe_u32 s31, ttmp6, 0x40004
	s_mul_i32 s1, ttmp9, s1
	s_mul_i32 s33, s30, s3
	s_add_co_i32 s0, s0, s1
	s_add_co_i32 s31, s31, s33
	v_dual_lshrrev_b32 v34, 5, v1 :: v_dual_bitop2_b32 v6, 31, v1 bitop3:0x40
	s_wait_kmcnt 0x0
	s_ashr_i32 s3, s2, 31
	s_ashr_i32 s25, s24, 31
	;; [unrolled: 1-line block ×3, first 2 shown]
	s_cmp_eq_u32 s28, 0
	v_dual_mov_b32 v3, 0 :: v_dual_bitop2_b32 v0, 7, v0 bitop3:0x40
	s_cselect_b32 s0, ttmp9, s0
	s_cselect_b32 s1, s30, s31
	s_lshl_b32 s30, s0, 5
	s_delay_alu instid0(SALU_CYCLE_1) | instskip(SKIP_1) | instid1(SALU_CYCLE_1)
	v_dual_lshrrev_b32 v7, 3, v1 :: v_dual_bitop2_b32 v4, s30, v6 bitop3:0x54
	s_lshl_b32 s0, s1, 5
	v_dual_mov_b32 v1, v3 :: v_dual_add_nc_u32 v12, s0, v11
	s_delay_alu instid0(VALU_DEP_2) | instskip(SKIP_1) | instid1(VALU_DEP_3)
	v_dual_add_nc_u32 v14, s0, v7 :: v_dual_ashrrev_i32 v5, 31, v4
	v_cmp_gt_i32_e64 s0, s4, v4
	v_mul_u64_e32 v[18:19], s[24:25], v[0:1]
	s_delay_alu instid0(VALU_DEP_4) | instskip(SKIP_3) | instid1(VALU_DEP_4)
	v_add_nc_u32_e32 v20, 16, v12
	v_lshlrev_b32_e32 v1, 3, v0
	v_mul_u64_e32 v[16:17], s[2:3], v[4:5]
	v_dual_lshlrev_b32 v5, 3, v6 :: v_dual_ashrrev_i32 v13, 31, v12
	v_dual_ashrrev_i32 v21, 31, v20 :: v_dual_lshlrev_b32 v36, 3, v2
	v_add_nc_u32_e32 v4, s30, v2
	v_lshl_or_b32 v15, v7, 6, v1
	s_mov_b32 s28, s22
	v_cmp_neq_f64_e64 s31, s[12:13], 0
	v_cmp_neq_f64_e64 s22, s[10:11], 0
	v_mul_u64_e32 v[8:9], s[28:29], v[20:21]
	v_add_nc_u32_e32 v35, 0x800, v15
	v_ashrrev_i32_e32 v15, 31, v14
	v_mul_u64_e32 v[6:7], s[28:29], v[12:13]
	v_add_nc_u32_e32 v10, 16, v4
	v_cmp_le_i32_e32 vcc_lo, v12, v4
	v_cmp_gt_i32_e64 s2, s4, v4
	s_cmp_gt_i32 s5, 0
	v_lshl_or_b32 v1, v34, 8, v5
	s_cselect_b32 s33, -1, 0
	s_lshl_b64 s[16:17], s[16:17], 3
	s_and_b32 s28, vcc_lo, s2
	v_ashrrev_i32_e32 v5, 31, v4
	v_cmp_le_i32_e64 s3, v12, v10
	v_cmp_le_i32_e32 vcc_lo, v20, v4
	s_lshl_b64 s[8:9], s[8:9], 3
	v_lshlrev_b32_e32 v2, 3, v34
	v_cmp_gt_i32_e64 s1, s4, v14
	v_cmp_gt_i32_e64 s4, s4, v10
	v_lshl_add_u32 v37, v11, 6, 0x800
	v_ashrrev_i32_e32 v11, 31, v10
	v_lshl_add_u64 v[12:13], v[16:17], 3, s[16:17]
	v_lshl_add_u64 v[16:17], v[18:19], 3, s[8:9]
	s_and_b32 s16, vcc_lo, s2
	v_cmp_le_i32_e32 vcc_lo, v20, v10
	s_and_b32 s29, s3, s4
	v_add_nc_u64_e32 v[12:13], v[12:13], v[2:3]
	v_lshl_add_u64 v[14:15], v[14:15], 3, v[16:17]
	s_lshl_b64 s[2:3], s[24:25], 6
	s_and_b32 s17, s31, s33
	s_and_b32 s4, vcc_lo, s4
	s_lshl_b64 s[8:9], s[26:27], 3
	s_branch .LBB355_6
.LBB355_5:                              ;   in Loop: Header=BB355_6 Depth=1
	s_wait_xcnt 0x0
	s_or_b32 exec_lo, exec_lo, s24
	s_add_co_i32 s6, s6, 0x10000
	s_delay_alu instid0(SALU_CYCLE_1)
	s_cmp_lt_u32 s6, s23
	s_cbranch_scc0 .LBB355_33
.LBB355_6:                              ; =>This Loop Header: Depth=1
                                        ;     Child Loop BB355_9 Depth 2
	v_mov_b32_e32 v2, s6
	v_mov_b64_e32 v[24:25], 0
	v_mov_b64_e32 v[20:21], 0
	;; [unrolled: 1-line block ×4, first 2 shown]
	global_load_b64 v[22:23], v2, s[20:21] scale_offset
	s_and_not1_b32 vcc_lo, exec_lo, s17
	s_cbranch_vccnz .LBB355_13
; %bb.7:                                ;   in Loop: Header=BB355_6 Depth=1
	s_lshl_b64 s[24:25], s[6:7], 3
	v_mov_b64_e32 v[16:17], 0
	s_add_nc_u64 s[26:27], s[14:15], s[24:25]
	s_add_nc_u64 s[24:25], s[18:19], s[24:25]
	s_clause 0x1
	global_load_b64 v[24:25], v3, s[26:27]
	global_load_b64 v[28:29], v3, s[24:25]
	v_mov_b64_e32 v[18:19], 0
	v_mov_b64_e32 v[20:21], 0
	s_wait_xcnt 0x0
	s_mov_b32 s24, 0
	s_wait_loadcnt 0x1
	v_add_nc_u64_e32 v[26:27], v[24:25], v[12:13]
	s_wait_loadcnt 0x0
	v_add_nc_u64_e32 v[28:29], v[28:29], v[14:15]
	v_mov_b64_e32 v[24:25], 0
	s_branch .LBB355_9
.LBB355_8:                              ;   in Loop: Header=BB355_9 Depth=2
	s_wait_xcnt 0x0
	s_or_b32 exec_lo, exec_lo, s25
	s_wait_loadcnt_dscnt 0x0
	ds_store_b64 v35, v[32:33]
	s_wait_dscnt 0x0
	s_barrier_signal -1
	s_barrier_wait -1
	ds_load_b128 v[30:33], v37
	ds_load_2addr_b64 v[38:41], v36 offset1:16
	ds_load_b128 v[42:45], v37 offset:1024
	ds_load_b128 v[46:49], v37 offset:16
	;; [unrolled: 1-line block ×3, first 2 shown]
	v_add_nc_u64_e32 v[26:27], 64, v[26:27]
	v_add_nc_u64_e32 v[28:29], s[2:3], v[28:29]
	s_add_co_i32 s24, s24, 8
	s_delay_alu instid0(SALU_CYCLE_1)
	s_cmp_lt_i32 s24, s5
	s_wait_dscnt 0x3
	v_fmac_f64_e32 v[24:25], v[38:39], v[30:31]
	v_fmac_f64_e32 v[20:21], v[40:41], v[30:31]
	s_wait_dscnt 0x2
	v_fmac_f64_e32 v[18:19], v[38:39], v[42:43]
	v_fmac_f64_e32 v[16:17], v[40:41], v[42:43]
	ds_load_2addr_b64 v[38:41], v36 offset0:32 offset1:48
	s_wait_dscnt 0x0
	v_fmac_f64_e32 v[24:25], v[38:39], v[32:33]
	v_fmac_f64_e32 v[20:21], v[40:41], v[32:33]
	v_fmac_f64_e32 v[18:19], v[38:39], v[44:45]
	v_fmac_f64_e32 v[16:17], v[40:41], v[44:45]
	ds_load_2addr_b64 v[30:33], v36 offset0:64 offset1:80
	s_wait_dscnt 0x0
	v_fmac_f64_e32 v[24:25], v[30:31], v[46:47]
	v_fmac_f64_e32 v[20:21], v[32:33], v[46:47]
	;; [unrolled: 6-line block ×3, first 2 shown]
	v_fmac_f64_e32 v[18:19], v[30:31], v[52:53]
	v_fmac_f64_e32 v[16:17], v[32:33], v[52:53]
	ds_load_b128 v[30:33], v37 offset:32
	ds_load_2addr_b64 v[38:41], v36 offset0:128 offset1:144
	ds_load_b128 v[42:45], v37 offset:1056
	ds_load_b128 v[46:49], v37 offset:48
	;; [unrolled: 1-line block ×3, first 2 shown]
	s_wait_dscnt 0x3
	v_fmac_f64_e32 v[24:25], v[38:39], v[30:31]
	v_fmac_f64_e32 v[20:21], v[40:41], v[30:31]
	s_wait_dscnt 0x2
	v_fmac_f64_e32 v[18:19], v[38:39], v[42:43]
	v_fmac_f64_e32 v[16:17], v[40:41], v[42:43]
	ds_load_2addr_b64 v[38:41], v36 offset0:160 offset1:176
	s_wait_dscnt 0x0
	v_fmac_f64_e32 v[24:25], v[38:39], v[32:33]
	v_fmac_f64_e32 v[20:21], v[40:41], v[32:33]
	;; [unrolled: 1-line block ×4, first 2 shown]
	ds_load_2addr_b64 v[30:33], v36 offset0:192 offset1:208
	s_wait_dscnt 0x0
	v_fmac_f64_e32 v[24:25], v[30:31], v[46:47]
	v_fmac_f64_e32 v[20:21], v[32:33], v[46:47]
	;; [unrolled: 1-line block ×4, first 2 shown]
	ds_load_2addr_b64 v[30:33], v36 offset0:224 offset1:240
	s_wait_dscnt 0x0
	s_barrier_signal -1
	s_barrier_wait -1
	v_fmac_f64_e32 v[24:25], v[30:31], v[48:49]
	v_fmac_f64_e32 v[20:21], v[32:33], v[48:49]
	;; [unrolled: 1-line block ×4, first 2 shown]
	s_cbranch_scc0 .LBB355_13
.LBB355_9:                              ;   Parent Loop BB355_6 Depth=1
                                        ; =>  This Inner Loop Header: Depth=2
	v_add_nc_u32_e32 v2, s24, v34
	v_mov_b64_e32 v[30:31], 0
	s_delay_alu instid0(VALU_DEP_2) | instskip(SKIP_1) | instid1(SALU_CYCLE_1)
	v_cmp_gt_i32_e32 vcc_lo, s5, v2
	s_and_b32 s26, s0, vcc_lo
	s_and_saveexec_b32 s25, s26
	s_cbranch_execz .LBB355_11
; %bb.10:                               ;   in Loop: Header=BB355_9 Depth=2
	flat_load_b64 v[30:31], v[26:27]
.LBB355_11:                             ;   in Loop: Header=BB355_9 Depth=2
	s_wait_xcnt 0x0
	s_or_b32 exec_lo, exec_lo, s25
	v_add_nc_u32_e32 v2, s24, v0
	v_mov_b64_e32 v[32:33], 0
	s_wait_loadcnt_dscnt 0x0
	ds_store_b64 v1, v[30:31]
	v_cmp_gt_i32_e32 vcc_lo, s5, v2
	s_and_b32 s26, vcc_lo, s1
	s_delay_alu instid0(SALU_CYCLE_1)
	s_and_saveexec_b32 s25, s26
	s_cbranch_execz .LBB355_8
; %bb.12:                               ;   in Loop: Header=BB355_9 Depth=2
	flat_load_b64 v[32:33], v[28:29]
	s_branch .LBB355_8
.LBB355_13:                             ;   in Loop: Header=BB355_6 Depth=1
	s_wait_loadcnt 0x0
	v_add_nc_u64_e32 v[22:23], s[8:9], v[22:23]
	s_delay_alu instid0(VALU_DEP_1)
	v_lshl_add_u64 v[26:27], v[6:7], 3, v[22:23]
	s_wait_xcnt 0x0
	s_and_saveexec_b32 s24, s28
	s_cbranch_execz .LBB355_17
; %bb.14:                               ;   in Loop: Header=BB355_6 Depth=1
	v_mul_f64_e32 v[24:25], s[12:13], v[24:25]
	v_lshl_add_u64 v[28:29], v[4:5], 3, v[26:27]
	s_and_b32 vcc_lo, exec_lo, s22
	s_cbranch_vccz .LBB355_28
; %bb.15:                               ;   in Loop: Header=BB355_6 Depth=1
	flat_load_b64 v[30:31], v[28:29]
	s_wait_loadcnt_dscnt 0x0
	v_fma_f64 v[30:31], s[10:11], v[30:31], v[24:25]
	flat_store_b64 v[28:29], v[30:31]
	s_cbranch_execnz .LBB355_17
.LBB355_16:                             ;   in Loop: Header=BB355_6 Depth=1
	flat_store_b64 v[28:29], v[24:25]
.LBB355_17:                             ;   in Loop: Header=BB355_6 Depth=1
	s_wait_xcnt 0x0
	s_or_b32 exec_lo, exec_lo, s24
	s_and_saveexec_b32 s24, s29
	s_cbranch_execz .LBB355_21
; %bb.18:                               ;   in Loop: Header=BB355_6 Depth=1
	v_mul_f64_e32 v[20:21], s[12:13], v[20:21]
	v_lshl_add_u64 v[24:25], v[10:11], 3, v[26:27]
	s_and_not1_b32 vcc_lo, exec_lo, s22
	s_cbranch_vccnz .LBB355_29
; %bb.19:                               ;   in Loop: Header=BB355_6 Depth=1
	flat_load_b64 v[26:27], v[24:25]
	s_wait_loadcnt_dscnt 0x0
	v_fma_f64 v[26:27], s[10:11], v[26:27], v[20:21]
	flat_store_b64 v[24:25], v[26:27]
	s_cbranch_execnz .LBB355_21
.LBB355_20:                             ;   in Loop: Header=BB355_6 Depth=1
	flat_store_b64 v[24:25], v[20:21]
.LBB355_21:                             ;   in Loop: Header=BB355_6 Depth=1
	s_wait_xcnt 0x0
	s_or_b32 exec_lo, exec_lo, s24
	v_lshl_add_u64 v[20:21], v[8:9], 3, v[22:23]
	s_and_saveexec_b32 s24, s16
	s_cbranch_execz .LBB355_25
; %bb.22:                               ;   in Loop: Header=BB355_6 Depth=1
	v_mul_f64_e32 v[18:19], s[12:13], v[18:19]
	s_delay_alu instid0(VALU_DEP_2)
	v_lshl_add_u64 v[22:23], v[4:5], 3, v[20:21]
	s_and_not1_b32 vcc_lo, exec_lo, s22
	s_cbranch_vccnz .LBB355_30
; %bb.23:                               ;   in Loop: Header=BB355_6 Depth=1
	flat_load_b64 v[24:25], v[22:23]
	s_wait_loadcnt_dscnt 0x0
	v_fma_f64 v[24:25], s[10:11], v[24:25], v[18:19]
	flat_store_b64 v[22:23], v[24:25]
	s_cbranch_execnz .LBB355_25
.LBB355_24:                             ;   in Loop: Header=BB355_6 Depth=1
	flat_store_b64 v[22:23], v[18:19]
.LBB355_25:                             ;   in Loop: Header=BB355_6 Depth=1
	s_wait_xcnt 0x0
	s_or_b32 exec_lo, exec_lo, s24
	s_and_saveexec_b32 s24, s4
	s_cbranch_execz .LBB355_5
; %bb.26:                               ;   in Loop: Header=BB355_6 Depth=1
	s_delay_alu instid0(VALU_DEP_4)
	v_mul_f64_e32 v[16:17], s[12:13], v[16:17]
	v_lshl_add_u64 v[18:19], v[10:11], 3, v[20:21]
	s_and_not1_b32 vcc_lo, exec_lo, s22
	s_cbranch_vccnz .LBB355_31
; %bb.27:                               ;   in Loop: Header=BB355_6 Depth=1
	flat_load_b64 v[20:21], v[18:19]
	s_wait_loadcnt_dscnt 0x0
	v_fma_f64 v[20:21], s[10:11], v[20:21], v[16:17]
	flat_store_b64 v[18:19], v[20:21]
	s_cbranch_execnz .LBB355_5
	s_branch .LBB355_32
.LBB355_28:                             ;   in Loop: Header=BB355_6 Depth=1
	s_branch .LBB355_16
.LBB355_29:                             ;   in Loop: Header=BB355_6 Depth=1
	s_branch .LBB355_20
.LBB355_30:                             ;   in Loop: Header=BB355_6 Depth=1
	s_branch .LBB355_24
.LBB355_31:                             ;   in Loop: Header=BB355_6 Depth=1
.LBB355_32:                             ;   in Loop: Header=BB355_6 Depth=1
	flat_store_b64 v[18:19], v[16:17]
	s_branch .LBB355_5
.LBB355_33:
	s_endpgm
	.section	.rodata,"a",@progbits
	.p2align	6, 0x0
	.amdhsa_kernel _ZL29rocblas_internal_gemmt_kernelIiLi16ELi32ELi8ELc84ELc84ELc76ELb0ELb0EddPKPKdPKPdEviT_T9_T10_S7_lS9_S7_lS8_T11_S7_li
		.amdhsa_group_segment_fixed_size 4096
		.amdhsa_private_segment_fixed_size 0
		.amdhsa_kernarg_size 100
		.amdhsa_user_sgpr_count 2
		.amdhsa_user_sgpr_dispatch_ptr 0
		.amdhsa_user_sgpr_queue_ptr 0
		.amdhsa_user_sgpr_kernarg_segment_ptr 1
		.amdhsa_user_sgpr_dispatch_id 0
		.amdhsa_user_sgpr_kernarg_preload_length 0
		.amdhsa_user_sgpr_kernarg_preload_offset 0
		.amdhsa_user_sgpr_private_segment_size 0
		.amdhsa_wavefront_size32 1
		.amdhsa_uses_dynamic_stack 0
		.amdhsa_enable_private_segment 0
		.amdhsa_system_sgpr_workgroup_id_x 1
		.amdhsa_system_sgpr_workgroup_id_y 1
		.amdhsa_system_sgpr_workgroup_id_z 1
		.amdhsa_system_sgpr_workgroup_info 0
		.amdhsa_system_vgpr_workitem_id 1
		.amdhsa_next_free_vgpr 54
		.amdhsa_next_free_sgpr 34
		.amdhsa_named_barrier_count 0
		.amdhsa_reserve_vcc 1
		.amdhsa_float_round_mode_32 0
		.amdhsa_float_round_mode_16_64 0
		.amdhsa_float_denorm_mode_32 3
		.amdhsa_float_denorm_mode_16_64 3
		.amdhsa_fp16_overflow 0
		.amdhsa_memory_ordered 1
		.amdhsa_forward_progress 1
		.amdhsa_inst_pref_size 14
		.amdhsa_round_robin_scheduling 0
		.amdhsa_exception_fp_ieee_invalid_op 0
		.amdhsa_exception_fp_denorm_src 0
		.amdhsa_exception_fp_ieee_div_zero 0
		.amdhsa_exception_fp_ieee_overflow 0
		.amdhsa_exception_fp_ieee_underflow 0
		.amdhsa_exception_fp_ieee_inexact 0
		.amdhsa_exception_int_div_zero 0
	.end_amdhsa_kernel
	.section	.text._ZL29rocblas_internal_gemmt_kernelIiLi16ELi32ELi8ELc84ELc84ELc76ELb0ELb0EddPKPKdPKPdEviT_T9_T10_S7_lS9_S7_lS8_T11_S7_li,"axG",@progbits,_ZL29rocblas_internal_gemmt_kernelIiLi16ELi32ELi8ELc84ELc84ELc76ELb0ELb0EddPKPKdPKPdEviT_T9_T10_S7_lS9_S7_lS8_T11_S7_li,comdat
.Lfunc_end355:
	.size	_ZL29rocblas_internal_gemmt_kernelIiLi16ELi32ELi8ELc84ELc84ELc76ELb0ELb0EddPKPKdPKPdEviT_T9_T10_S7_lS9_S7_lS8_T11_S7_li, .Lfunc_end355-_ZL29rocblas_internal_gemmt_kernelIiLi16ELi32ELi8ELc84ELc84ELc76ELb0ELb0EddPKPKdPKPdEviT_T9_T10_S7_lS9_S7_lS8_T11_S7_li
                                        ; -- End function
	.set _ZL29rocblas_internal_gemmt_kernelIiLi16ELi32ELi8ELc84ELc84ELc76ELb0ELb0EddPKPKdPKPdEviT_T9_T10_S7_lS9_S7_lS8_T11_S7_li.num_vgpr, 54
	.set _ZL29rocblas_internal_gemmt_kernelIiLi16ELi32ELi8ELc84ELc84ELc76ELb0ELb0EddPKPKdPKPdEviT_T9_T10_S7_lS9_S7_lS8_T11_S7_li.num_agpr, 0
	.set _ZL29rocblas_internal_gemmt_kernelIiLi16ELi32ELi8ELc84ELc84ELc76ELb0ELb0EddPKPKdPKPdEviT_T9_T10_S7_lS9_S7_lS8_T11_S7_li.numbered_sgpr, 34
	.set _ZL29rocblas_internal_gemmt_kernelIiLi16ELi32ELi8ELc84ELc84ELc76ELb0ELb0EddPKPKdPKPdEviT_T9_T10_S7_lS9_S7_lS8_T11_S7_li.num_named_barrier, 0
	.set _ZL29rocblas_internal_gemmt_kernelIiLi16ELi32ELi8ELc84ELc84ELc76ELb0ELb0EddPKPKdPKPdEviT_T9_T10_S7_lS9_S7_lS8_T11_S7_li.private_seg_size, 0
	.set _ZL29rocblas_internal_gemmt_kernelIiLi16ELi32ELi8ELc84ELc84ELc76ELb0ELb0EddPKPKdPKPdEviT_T9_T10_S7_lS9_S7_lS8_T11_S7_li.uses_vcc, 1
	.set _ZL29rocblas_internal_gemmt_kernelIiLi16ELi32ELi8ELc84ELc84ELc76ELb0ELb0EddPKPKdPKPdEviT_T9_T10_S7_lS9_S7_lS8_T11_S7_li.uses_flat_scratch, 0
	.set _ZL29rocblas_internal_gemmt_kernelIiLi16ELi32ELi8ELc84ELc84ELc76ELb0ELb0EddPKPKdPKPdEviT_T9_T10_S7_lS9_S7_lS8_T11_S7_li.has_dyn_sized_stack, 0
	.set _ZL29rocblas_internal_gemmt_kernelIiLi16ELi32ELi8ELc84ELc84ELc76ELb0ELb0EddPKPKdPKPdEviT_T9_T10_S7_lS9_S7_lS8_T11_S7_li.has_recursion, 0
	.set _ZL29rocblas_internal_gemmt_kernelIiLi16ELi32ELi8ELc84ELc84ELc76ELb0ELb0EddPKPKdPKPdEviT_T9_T10_S7_lS9_S7_lS8_T11_S7_li.has_indirect_call, 0
	.section	.AMDGPU.csdata,"",@progbits
; Kernel info:
; codeLenInByte = 1668
; TotalNumSgprs: 36
; NumVgprs: 54
; ScratchSize: 0
; MemoryBound: 0
; FloatMode: 240
; IeeeMode: 1
; LDSByteSize: 4096 bytes/workgroup (compile time only)
; SGPRBlocks: 0
; VGPRBlocks: 3
; NumSGPRsForWavesPerEU: 36
; NumVGPRsForWavesPerEU: 54
; NamedBarCnt: 0
; Occupancy: 16
; WaveLimiterHint : 1
; COMPUTE_PGM_RSRC2:SCRATCH_EN: 0
; COMPUTE_PGM_RSRC2:USER_SGPR: 2
; COMPUTE_PGM_RSRC2:TRAP_HANDLER: 0
; COMPUTE_PGM_RSRC2:TGID_X_EN: 1
; COMPUTE_PGM_RSRC2:TGID_Y_EN: 1
; COMPUTE_PGM_RSRC2:TGID_Z_EN: 1
; COMPUTE_PGM_RSRC2:TIDIG_COMP_CNT: 1
	.section	.text._ZL29rocblas_internal_gemmt_kernelIiLi16ELi32ELi8ELc84ELc67ELc76ELb0ELb0EddPKPKdPKPdEviT_T9_T10_S7_lS9_S7_lS8_T11_S7_li,"axG",@progbits,_ZL29rocblas_internal_gemmt_kernelIiLi16ELi32ELi8ELc84ELc67ELc76ELb0ELb0EddPKPKdPKPdEviT_T9_T10_S7_lS9_S7_lS8_T11_S7_li,comdat
	.globl	_ZL29rocblas_internal_gemmt_kernelIiLi16ELi32ELi8ELc84ELc67ELc76ELb0ELb0EddPKPKdPKPdEviT_T9_T10_S7_lS9_S7_lS8_T11_S7_li ; -- Begin function _ZL29rocblas_internal_gemmt_kernelIiLi16ELi32ELi8ELc84ELc67ELc76ELb0ELb0EddPKPKdPKPdEviT_T9_T10_S7_lS9_S7_lS8_T11_S7_li
	.p2align	8
	.type	_ZL29rocblas_internal_gemmt_kernelIiLi16ELi32ELi8ELc84ELc67ELc76ELb0ELb0EddPKPKdPKPdEviT_T9_T10_S7_lS9_S7_lS8_T11_S7_li,@function
_ZL29rocblas_internal_gemmt_kernelIiLi16ELi32ELi8ELc84ELc67ELc76ELb0ELb0EddPKPKdPKPdEviT_T9_T10_S7_lS9_S7_lS8_T11_S7_li: ; @_ZL29rocblas_internal_gemmt_kernelIiLi16ELi32ELi8ELc84ELc67ELc76ELb0ELb0EddPKPKdPKPdEviT_T9_T10_S7_lS9_S7_lS8_T11_S7_li
; %bb.0:
	s_clause 0x2
	s_load_b128 s[8:11], s[0:1], 0x38
	s_load_b64 s[4:5], s[0:1], 0x0
	s_load_b128 s[12:15], s[0:1], 0x8
	s_wait_kmcnt 0x0
	v_cmp_neq_f64_e64 s2, s[10:11], 1.0
	s_and_b32 vcc_lo, exec_lo, s2
	s_cbranch_vccnz .LBB356_2
; %bb.1:
	v_cmp_neq_f64_e64 s2, s[12:13], 0
	s_cmp_lg_u32 s5, 0
	s_cselect_b32 s3, -1, 0
	s_delay_alu instid0(SALU_CYCLE_1)
	s_and_b32 s2, s3, s2
.LBB356_2:
	s_delay_alu instid0(SALU_CYCLE_1)
	s_and_not1_b32 vcc_lo, exec_lo, s2
	s_cbranch_vccnz .LBB356_33
; %bb.3:
	s_load_b32 s23, s[0:1], 0x60
	s_bfe_u32 s2, ttmp6, 0x40014
	s_lshr_b32 s3, ttmp7, 16
	s_add_co_i32 s2, s2, 1
	s_bfe_u32 s6, ttmp6, 0x40008
	s_mul_i32 s2, s3, s2
	s_getreg_b32 s28, hwreg(HW_REG_IB_STS2, 6, 4)
	s_add_co_i32 s6, s6, s2
	s_cmp_eq_u32 s28, 0
	s_mov_b32 s7, 0
	s_cselect_b32 s6, s3, s6
	s_wait_kmcnt 0x0
	s_cmp_ge_u32 s6, s23
	s_cbranch_scc1 .LBB356_33
; %bb.4:
	s_clause 0x3
	s_load_b32 s2, s[0:1], 0x18
	s_load_b32 s24, s[0:1], 0x30
	s_load_b96 s[20:22], s[0:1], 0x48
	s_load_b128 s[16:19], s[0:1], 0x20
	v_and_b32_e32 v2, 0x3ff, v0
	v_bfe_u32 v11, v0, 10, 10
	s_load_b64 s[26:27], s[0:1], 0x58
	s_wait_xcnt 0x0
	s_bfe_u32 s1, ttmp6, 0x4000c
	s_bfe_u32 s3, ttmp6, 0x40010
	s_and_b32 s30, ttmp7, 0xffff
	s_add_co_i32 s1, s1, 1
	s_add_co_i32 s3, s3, 1
	v_lshl_add_u32 v1, v11, 4, v2
	s_and_b32 s0, ttmp6, 15
	s_bfe_u32 s31, ttmp6, 0x40004
	s_mul_i32 s1, ttmp9, s1
	s_mul_i32 s33, s30, s3
	s_add_co_i32 s0, s0, s1
	s_add_co_i32 s31, s31, s33
	v_dual_lshrrev_b32 v34, 5, v1 :: v_dual_bitop2_b32 v6, 31, v1 bitop3:0x40
	s_wait_kmcnt 0x0
	s_ashr_i32 s3, s2, 31
	s_ashr_i32 s25, s24, 31
	;; [unrolled: 1-line block ×3, first 2 shown]
	s_cmp_eq_u32 s28, 0
	v_dual_mov_b32 v3, 0 :: v_dual_bitop2_b32 v0, 7, v0 bitop3:0x40
	s_cselect_b32 s0, ttmp9, s0
	s_cselect_b32 s1, s30, s31
	s_lshl_b32 s30, s0, 5
	s_delay_alu instid0(SALU_CYCLE_1) | instskip(SKIP_1) | instid1(SALU_CYCLE_1)
	v_dual_lshrrev_b32 v7, 3, v1 :: v_dual_bitop2_b32 v4, s30, v6 bitop3:0x54
	s_lshl_b32 s0, s1, 5
	v_dual_mov_b32 v1, v3 :: v_dual_add_nc_u32 v12, s0, v11
	s_delay_alu instid0(VALU_DEP_2) | instskip(SKIP_1) | instid1(VALU_DEP_3)
	v_dual_add_nc_u32 v14, s0, v7 :: v_dual_ashrrev_i32 v5, 31, v4
	v_cmp_gt_i32_e64 s0, s4, v4
	v_mul_u64_e32 v[18:19], s[24:25], v[0:1]
	s_delay_alu instid0(VALU_DEP_4) | instskip(SKIP_3) | instid1(VALU_DEP_4)
	v_add_nc_u32_e32 v20, 16, v12
	v_lshlrev_b32_e32 v1, 3, v0
	v_mul_u64_e32 v[16:17], s[2:3], v[4:5]
	v_dual_lshlrev_b32 v5, 3, v6 :: v_dual_ashrrev_i32 v13, 31, v12
	v_dual_ashrrev_i32 v21, 31, v20 :: v_dual_lshlrev_b32 v36, 3, v2
	v_add_nc_u32_e32 v4, s30, v2
	v_lshl_or_b32 v15, v7, 6, v1
	s_mov_b32 s28, s22
	v_cmp_neq_f64_e64 s31, s[12:13], 0
	v_cmp_neq_f64_e64 s22, s[10:11], 0
	v_mul_u64_e32 v[8:9], s[28:29], v[20:21]
	v_add_nc_u32_e32 v35, 0x800, v15
	v_ashrrev_i32_e32 v15, 31, v14
	v_mul_u64_e32 v[6:7], s[28:29], v[12:13]
	v_add_nc_u32_e32 v10, 16, v4
	v_cmp_le_i32_e32 vcc_lo, v12, v4
	v_cmp_gt_i32_e64 s2, s4, v4
	s_cmp_gt_i32 s5, 0
	v_lshl_or_b32 v1, v34, 8, v5
	s_cselect_b32 s33, -1, 0
	s_lshl_b64 s[16:17], s[16:17], 3
	s_and_b32 s28, vcc_lo, s2
	v_ashrrev_i32_e32 v5, 31, v4
	v_cmp_le_i32_e64 s3, v12, v10
	v_cmp_le_i32_e32 vcc_lo, v20, v4
	s_lshl_b64 s[8:9], s[8:9], 3
	v_lshlrev_b32_e32 v2, 3, v34
	v_cmp_gt_i32_e64 s1, s4, v14
	v_cmp_gt_i32_e64 s4, s4, v10
	v_lshl_add_u32 v37, v11, 6, 0x800
	v_ashrrev_i32_e32 v11, 31, v10
	v_lshl_add_u64 v[12:13], v[16:17], 3, s[16:17]
	v_lshl_add_u64 v[16:17], v[18:19], 3, s[8:9]
	s_and_b32 s16, vcc_lo, s2
	v_cmp_le_i32_e32 vcc_lo, v20, v10
	s_and_b32 s29, s3, s4
	v_add_nc_u64_e32 v[12:13], v[12:13], v[2:3]
	v_lshl_add_u64 v[14:15], v[14:15], 3, v[16:17]
	s_lshl_b64 s[2:3], s[24:25], 6
	s_and_b32 s17, s31, s33
	s_and_b32 s4, vcc_lo, s4
	s_lshl_b64 s[8:9], s[26:27], 3
	s_branch .LBB356_6
.LBB356_5:                              ;   in Loop: Header=BB356_6 Depth=1
	s_wait_xcnt 0x0
	s_or_b32 exec_lo, exec_lo, s24
	s_add_co_i32 s6, s6, 0x10000
	s_delay_alu instid0(SALU_CYCLE_1)
	s_cmp_lt_u32 s6, s23
	s_cbranch_scc0 .LBB356_33
.LBB356_6:                              ; =>This Loop Header: Depth=1
                                        ;     Child Loop BB356_9 Depth 2
	v_mov_b32_e32 v2, s6
	v_mov_b64_e32 v[24:25], 0
	v_mov_b64_e32 v[20:21], 0
	;; [unrolled: 1-line block ×4, first 2 shown]
	global_load_b64 v[22:23], v2, s[20:21] scale_offset
	s_and_not1_b32 vcc_lo, exec_lo, s17
	s_cbranch_vccnz .LBB356_13
; %bb.7:                                ;   in Loop: Header=BB356_6 Depth=1
	s_lshl_b64 s[24:25], s[6:7], 3
	v_mov_b64_e32 v[16:17], 0
	s_add_nc_u64 s[26:27], s[14:15], s[24:25]
	s_add_nc_u64 s[24:25], s[18:19], s[24:25]
	s_clause 0x1
	global_load_b64 v[24:25], v3, s[26:27]
	global_load_b64 v[28:29], v3, s[24:25]
	v_mov_b64_e32 v[18:19], 0
	v_mov_b64_e32 v[20:21], 0
	s_wait_xcnt 0x0
	s_mov_b32 s24, 0
	s_wait_loadcnt 0x1
	v_add_nc_u64_e32 v[26:27], v[24:25], v[12:13]
	s_wait_loadcnt 0x0
	v_add_nc_u64_e32 v[28:29], v[28:29], v[14:15]
	v_mov_b64_e32 v[24:25], 0
	s_branch .LBB356_9
.LBB356_8:                              ;   in Loop: Header=BB356_9 Depth=2
	s_wait_xcnt 0x0
	s_or_b32 exec_lo, exec_lo, s25
	s_wait_loadcnt_dscnt 0x0
	ds_store_b64 v35, v[32:33]
	s_wait_dscnt 0x0
	s_barrier_signal -1
	s_barrier_wait -1
	ds_load_b128 v[30:33], v37
	ds_load_2addr_b64 v[38:41], v36 offset1:16
	ds_load_b128 v[42:45], v37 offset:1024
	ds_load_b128 v[46:49], v37 offset:16
	;; [unrolled: 1-line block ×3, first 2 shown]
	v_add_nc_u64_e32 v[26:27], 64, v[26:27]
	v_add_nc_u64_e32 v[28:29], s[2:3], v[28:29]
	s_add_co_i32 s24, s24, 8
	s_delay_alu instid0(SALU_CYCLE_1)
	s_cmp_lt_i32 s24, s5
	s_wait_dscnt 0x3
	v_fmac_f64_e32 v[24:25], v[38:39], v[30:31]
	v_fmac_f64_e32 v[20:21], v[40:41], v[30:31]
	s_wait_dscnt 0x2
	v_fmac_f64_e32 v[18:19], v[38:39], v[42:43]
	v_fmac_f64_e32 v[16:17], v[40:41], v[42:43]
	ds_load_2addr_b64 v[38:41], v36 offset0:32 offset1:48
	s_wait_dscnt 0x0
	v_fmac_f64_e32 v[24:25], v[38:39], v[32:33]
	v_fmac_f64_e32 v[20:21], v[40:41], v[32:33]
	v_fmac_f64_e32 v[18:19], v[38:39], v[44:45]
	v_fmac_f64_e32 v[16:17], v[40:41], v[44:45]
	ds_load_2addr_b64 v[30:33], v36 offset0:64 offset1:80
	s_wait_dscnt 0x0
	v_fmac_f64_e32 v[24:25], v[30:31], v[46:47]
	v_fmac_f64_e32 v[20:21], v[32:33], v[46:47]
	;; [unrolled: 6-line block ×3, first 2 shown]
	v_fmac_f64_e32 v[18:19], v[30:31], v[52:53]
	v_fmac_f64_e32 v[16:17], v[32:33], v[52:53]
	ds_load_b128 v[30:33], v37 offset:32
	ds_load_2addr_b64 v[38:41], v36 offset0:128 offset1:144
	ds_load_b128 v[42:45], v37 offset:1056
	ds_load_b128 v[46:49], v37 offset:48
	;; [unrolled: 1-line block ×3, first 2 shown]
	s_wait_dscnt 0x3
	v_fmac_f64_e32 v[24:25], v[38:39], v[30:31]
	v_fmac_f64_e32 v[20:21], v[40:41], v[30:31]
	s_wait_dscnt 0x2
	v_fmac_f64_e32 v[18:19], v[38:39], v[42:43]
	v_fmac_f64_e32 v[16:17], v[40:41], v[42:43]
	ds_load_2addr_b64 v[38:41], v36 offset0:160 offset1:176
	s_wait_dscnt 0x0
	v_fmac_f64_e32 v[24:25], v[38:39], v[32:33]
	v_fmac_f64_e32 v[20:21], v[40:41], v[32:33]
	;; [unrolled: 1-line block ×4, first 2 shown]
	ds_load_2addr_b64 v[30:33], v36 offset0:192 offset1:208
	s_wait_dscnt 0x0
	v_fmac_f64_e32 v[24:25], v[30:31], v[46:47]
	v_fmac_f64_e32 v[20:21], v[32:33], v[46:47]
	;; [unrolled: 1-line block ×4, first 2 shown]
	ds_load_2addr_b64 v[30:33], v36 offset0:224 offset1:240
	s_wait_dscnt 0x0
	s_barrier_signal -1
	s_barrier_wait -1
	v_fmac_f64_e32 v[24:25], v[30:31], v[48:49]
	v_fmac_f64_e32 v[20:21], v[32:33], v[48:49]
	v_fmac_f64_e32 v[18:19], v[30:31], v[52:53]
	v_fmac_f64_e32 v[16:17], v[32:33], v[52:53]
	s_cbranch_scc0 .LBB356_13
.LBB356_9:                              ;   Parent Loop BB356_6 Depth=1
                                        ; =>  This Inner Loop Header: Depth=2
	v_add_nc_u32_e32 v2, s24, v34
	v_mov_b64_e32 v[30:31], 0
	s_delay_alu instid0(VALU_DEP_2) | instskip(SKIP_1) | instid1(SALU_CYCLE_1)
	v_cmp_gt_i32_e32 vcc_lo, s5, v2
	s_and_b32 s26, s0, vcc_lo
	s_and_saveexec_b32 s25, s26
	s_cbranch_execz .LBB356_11
; %bb.10:                               ;   in Loop: Header=BB356_9 Depth=2
	flat_load_b64 v[30:31], v[26:27]
.LBB356_11:                             ;   in Loop: Header=BB356_9 Depth=2
	s_wait_xcnt 0x0
	s_or_b32 exec_lo, exec_lo, s25
	v_add_nc_u32_e32 v2, s24, v0
	v_mov_b64_e32 v[32:33], 0
	s_wait_loadcnt_dscnt 0x0
	ds_store_b64 v1, v[30:31]
	v_cmp_gt_i32_e32 vcc_lo, s5, v2
	s_and_b32 s26, vcc_lo, s1
	s_delay_alu instid0(SALU_CYCLE_1)
	s_and_saveexec_b32 s25, s26
	s_cbranch_execz .LBB356_8
; %bb.12:                               ;   in Loop: Header=BB356_9 Depth=2
	flat_load_b64 v[32:33], v[28:29]
	s_branch .LBB356_8
.LBB356_13:                             ;   in Loop: Header=BB356_6 Depth=1
	s_wait_loadcnt 0x0
	v_add_nc_u64_e32 v[22:23], s[8:9], v[22:23]
	s_delay_alu instid0(VALU_DEP_1)
	v_lshl_add_u64 v[26:27], v[6:7], 3, v[22:23]
	s_wait_xcnt 0x0
	s_and_saveexec_b32 s24, s28
	s_cbranch_execz .LBB356_17
; %bb.14:                               ;   in Loop: Header=BB356_6 Depth=1
	v_mul_f64_e32 v[24:25], s[12:13], v[24:25]
	v_lshl_add_u64 v[28:29], v[4:5], 3, v[26:27]
	s_and_b32 vcc_lo, exec_lo, s22
	s_cbranch_vccz .LBB356_28
; %bb.15:                               ;   in Loop: Header=BB356_6 Depth=1
	flat_load_b64 v[30:31], v[28:29]
	s_wait_loadcnt_dscnt 0x0
	v_fma_f64 v[30:31], s[10:11], v[30:31], v[24:25]
	flat_store_b64 v[28:29], v[30:31]
	s_cbranch_execnz .LBB356_17
.LBB356_16:                             ;   in Loop: Header=BB356_6 Depth=1
	flat_store_b64 v[28:29], v[24:25]
.LBB356_17:                             ;   in Loop: Header=BB356_6 Depth=1
	s_wait_xcnt 0x0
	s_or_b32 exec_lo, exec_lo, s24
	s_and_saveexec_b32 s24, s29
	s_cbranch_execz .LBB356_21
; %bb.18:                               ;   in Loop: Header=BB356_6 Depth=1
	v_mul_f64_e32 v[20:21], s[12:13], v[20:21]
	v_lshl_add_u64 v[24:25], v[10:11], 3, v[26:27]
	s_and_not1_b32 vcc_lo, exec_lo, s22
	s_cbranch_vccnz .LBB356_29
; %bb.19:                               ;   in Loop: Header=BB356_6 Depth=1
	flat_load_b64 v[26:27], v[24:25]
	s_wait_loadcnt_dscnt 0x0
	v_fma_f64 v[26:27], s[10:11], v[26:27], v[20:21]
	flat_store_b64 v[24:25], v[26:27]
	s_cbranch_execnz .LBB356_21
.LBB356_20:                             ;   in Loop: Header=BB356_6 Depth=1
	flat_store_b64 v[24:25], v[20:21]
.LBB356_21:                             ;   in Loop: Header=BB356_6 Depth=1
	s_wait_xcnt 0x0
	s_or_b32 exec_lo, exec_lo, s24
	v_lshl_add_u64 v[20:21], v[8:9], 3, v[22:23]
	s_and_saveexec_b32 s24, s16
	s_cbranch_execz .LBB356_25
; %bb.22:                               ;   in Loop: Header=BB356_6 Depth=1
	v_mul_f64_e32 v[18:19], s[12:13], v[18:19]
	s_delay_alu instid0(VALU_DEP_2)
	v_lshl_add_u64 v[22:23], v[4:5], 3, v[20:21]
	s_and_not1_b32 vcc_lo, exec_lo, s22
	s_cbranch_vccnz .LBB356_30
; %bb.23:                               ;   in Loop: Header=BB356_6 Depth=1
	flat_load_b64 v[24:25], v[22:23]
	s_wait_loadcnt_dscnt 0x0
	v_fma_f64 v[24:25], s[10:11], v[24:25], v[18:19]
	flat_store_b64 v[22:23], v[24:25]
	s_cbranch_execnz .LBB356_25
.LBB356_24:                             ;   in Loop: Header=BB356_6 Depth=1
	flat_store_b64 v[22:23], v[18:19]
.LBB356_25:                             ;   in Loop: Header=BB356_6 Depth=1
	s_wait_xcnt 0x0
	s_or_b32 exec_lo, exec_lo, s24
	s_and_saveexec_b32 s24, s4
	s_cbranch_execz .LBB356_5
; %bb.26:                               ;   in Loop: Header=BB356_6 Depth=1
	s_delay_alu instid0(VALU_DEP_4)
	v_mul_f64_e32 v[16:17], s[12:13], v[16:17]
	v_lshl_add_u64 v[18:19], v[10:11], 3, v[20:21]
	s_and_not1_b32 vcc_lo, exec_lo, s22
	s_cbranch_vccnz .LBB356_31
; %bb.27:                               ;   in Loop: Header=BB356_6 Depth=1
	flat_load_b64 v[20:21], v[18:19]
	s_wait_loadcnt_dscnt 0x0
	v_fma_f64 v[20:21], s[10:11], v[20:21], v[16:17]
	flat_store_b64 v[18:19], v[20:21]
	s_cbranch_execnz .LBB356_5
	s_branch .LBB356_32
.LBB356_28:                             ;   in Loop: Header=BB356_6 Depth=1
	s_branch .LBB356_16
.LBB356_29:                             ;   in Loop: Header=BB356_6 Depth=1
	s_branch .LBB356_20
.LBB356_30:                             ;   in Loop: Header=BB356_6 Depth=1
	s_branch .LBB356_24
.LBB356_31:                             ;   in Loop: Header=BB356_6 Depth=1
.LBB356_32:                             ;   in Loop: Header=BB356_6 Depth=1
	flat_store_b64 v[18:19], v[16:17]
	s_branch .LBB356_5
.LBB356_33:
	s_endpgm
	.section	.rodata,"a",@progbits
	.p2align	6, 0x0
	.amdhsa_kernel _ZL29rocblas_internal_gemmt_kernelIiLi16ELi32ELi8ELc84ELc67ELc76ELb0ELb0EddPKPKdPKPdEviT_T9_T10_S7_lS9_S7_lS8_T11_S7_li
		.amdhsa_group_segment_fixed_size 4096
		.amdhsa_private_segment_fixed_size 0
		.amdhsa_kernarg_size 100
		.amdhsa_user_sgpr_count 2
		.amdhsa_user_sgpr_dispatch_ptr 0
		.amdhsa_user_sgpr_queue_ptr 0
		.amdhsa_user_sgpr_kernarg_segment_ptr 1
		.amdhsa_user_sgpr_dispatch_id 0
		.amdhsa_user_sgpr_kernarg_preload_length 0
		.amdhsa_user_sgpr_kernarg_preload_offset 0
		.amdhsa_user_sgpr_private_segment_size 0
		.amdhsa_wavefront_size32 1
		.amdhsa_uses_dynamic_stack 0
		.amdhsa_enable_private_segment 0
		.amdhsa_system_sgpr_workgroup_id_x 1
		.amdhsa_system_sgpr_workgroup_id_y 1
		.amdhsa_system_sgpr_workgroup_id_z 1
		.amdhsa_system_sgpr_workgroup_info 0
		.amdhsa_system_vgpr_workitem_id 1
		.amdhsa_next_free_vgpr 54
		.amdhsa_next_free_sgpr 34
		.amdhsa_named_barrier_count 0
		.amdhsa_reserve_vcc 1
		.amdhsa_float_round_mode_32 0
		.amdhsa_float_round_mode_16_64 0
		.amdhsa_float_denorm_mode_32 3
		.amdhsa_float_denorm_mode_16_64 3
		.amdhsa_fp16_overflow 0
		.amdhsa_memory_ordered 1
		.amdhsa_forward_progress 1
		.amdhsa_inst_pref_size 14
		.amdhsa_round_robin_scheduling 0
		.amdhsa_exception_fp_ieee_invalid_op 0
		.amdhsa_exception_fp_denorm_src 0
		.amdhsa_exception_fp_ieee_div_zero 0
		.amdhsa_exception_fp_ieee_overflow 0
		.amdhsa_exception_fp_ieee_underflow 0
		.amdhsa_exception_fp_ieee_inexact 0
		.amdhsa_exception_int_div_zero 0
	.end_amdhsa_kernel
	.section	.text._ZL29rocblas_internal_gemmt_kernelIiLi16ELi32ELi8ELc84ELc67ELc76ELb0ELb0EddPKPKdPKPdEviT_T9_T10_S7_lS9_S7_lS8_T11_S7_li,"axG",@progbits,_ZL29rocblas_internal_gemmt_kernelIiLi16ELi32ELi8ELc84ELc67ELc76ELb0ELb0EddPKPKdPKPdEviT_T9_T10_S7_lS9_S7_lS8_T11_S7_li,comdat
.Lfunc_end356:
	.size	_ZL29rocblas_internal_gemmt_kernelIiLi16ELi32ELi8ELc84ELc67ELc76ELb0ELb0EddPKPKdPKPdEviT_T9_T10_S7_lS9_S7_lS8_T11_S7_li, .Lfunc_end356-_ZL29rocblas_internal_gemmt_kernelIiLi16ELi32ELi8ELc84ELc67ELc76ELb0ELb0EddPKPKdPKPdEviT_T9_T10_S7_lS9_S7_lS8_T11_S7_li
                                        ; -- End function
	.set _ZL29rocblas_internal_gemmt_kernelIiLi16ELi32ELi8ELc84ELc67ELc76ELb0ELb0EddPKPKdPKPdEviT_T9_T10_S7_lS9_S7_lS8_T11_S7_li.num_vgpr, 54
	.set _ZL29rocblas_internal_gemmt_kernelIiLi16ELi32ELi8ELc84ELc67ELc76ELb0ELb0EddPKPKdPKPdEviT_T9_T10_S7_lS9_S7_lS8_T11_S7_li.num_agpr, 0
	.set _ZL29rocblas_internal_gemmt_kernelIiLi16ELi32ELi8ELc84ELc67ELc76ELb0ELb0EddPKPKdPKPdEviT_T9_T10_S7_lS9_S7_lS8_T11_S7_li.numbered_sgpr, 34
	.set _ZL29rocblas_internal_gemmt_kernelIiLi16ELi32ELi8ELc84ELc67ELc76ELb0ELb0EddPKPKdPKPdEviT_T9_T10_S7_lS9_S7_lS8_T11_S7_li.num_named_barrier, 0
	.set _ZL29rocblas_internal_gemmt_kernelIiLi16ELi32ELi8ELc84ELc67ELc76ELb0ELb0EddPKPKdPKPdEviT_T9_T10_S7_lS9_S7_lS8_T11_S7_li.private_seg_size, 0
	.set _ZL29rocblas_internal_gemmt_kernelIiLi16ELi32ELi8ELc84ELc67ELc76ELb0ELb0EddPKPKdPKPdEviT_T9_T10_S7_lS9_S7_lS8_T11_S7_li.uses_vcc, 1
	.set _ZL29rocblas_internal_gemmt_kernelIiLi16ELi32ELi8ELc84ELc67ELc76ELb0ELb0EddPKPKdPKPdEviT_T9_T10_S7_lS9_S7_lS8_T11_S7_li.uses_flat_scratch, 0
	.set _ZL29rocblas_internal_gemmt_kernelIiLi16ELi32ELi8ELc84ELc67ELc76ELb0ELb0EddPKPKdPKPdEviT_T9_T10_S7_lS9_S7_lS8_T11_S7_li.has_dyn_sized_stack, 0
	.set _ZL29rocblas_internal_gemmt_kernelIiLi16ELi32ELi8ELc84ELc67ELc76ELb0ELb0EddPKPKdPKPdEviT_T9_T10_S7_lS9_S7_lS8_T11_S7_li.has_recursion, 0
	.set _ZL29rocblas_internal_gemmt_kernelIiLi16ELi32ELi8ELc84ELc67ELc76ELb0ELb0EddPKPKdPKPdEviT_T9_T10_S7_lS9_S7_lS8_T11_S7_li.has_indirect_call, 0
	.section	.AMDGPU.csdata,"",@progbits
; Kernel info:
; codeLenInByte = 1668
; TotalNumSgprs: 36
; NumVgprs: 54
; ScratchSize: 0
; MemoryBound: 0
; FloatMode: 240
; IeeeMode: 1
; LDSByteSize: 4096 bytes/workgroup (compile time only)
; SGPRBlocks: 0
; VGPRBlocks: 3
; NumSGPRsForWavesPerEU: 36
; NumVGPRsForWavesPerEU: 54
; NamedBarCnt: 0
; Occupancy: 16
; WaveLimiterHint : 1
; COMPUTE_PGM_RSRC2:SCRATCH_EN: 0
; COMPUTE_PGM_RSRC2:USER_SGPR: 2
; COMPUTE_PGM_RSRC2:TRAP_HANDLER: 0
; COMPUTE_PGM_RSRC2:TGID_X_EN: 1
; COMPUTE_PGM_RSRC2:TGID_Y_EN: 1
; COMPUTE_PGM_RSRC2:TGID_Z_EN: 1
; COMPUTE_PGM_RSRC2:TIDIG_COMP_CNT: 1
	.section	.text._ZL29rocblas_internal_gemmt_kernelIiLi16ELi32ELi8ELc67ELc78ELc76ELb0ELb0EddPKPKdPKPdEviT_T9_T10_S7_lS9_S7_lS8_T11_S7_li,"axG",@progbits,_ZL29rocblas_internal_gemmt_kernelIiLi16ELi32ELi8ELc67ELc78ELc76ELb0ELb0EddPKPKdPKPdEviT_T9_T10_S7_lS9_S7_lS8_T11_S7_li,comdat
	.globl	_ZL29rocblas_internal_gemmt_kernelIiLi16ELi32ELi8ELc67ELc78ELc76ELb0ELb0EddPKPKdPKPdEviT_T9_T10_S7_lS9_S7_lS8_T11_S7_li ; -- Begin function _ZL29rocblas_internal_gemmt_kernelIiLi16ELi32ELi8ELc67ELc78ELc76ELb0ELb0EddPKPKdPKPdEviT_T9_T10_S7_lS9_S7_lS8_T11_S7_li
	.p2align	8
	.type	_ZL29rocblas_internal_gemmt_kernelIiLi16ELi32ELi8ELc67ELc78ELc76ELb0ELb0EddPKPKdPKPdEviT_T9_T10_S7_lS9_S7_lS8_T11_S7_li,@function
_ZL29rocblas_internal_gemmt_kernelIiLi16ELi32ELi8ELc67ELc78ELc76ELb0ELb0EddPKPKdPKPdEviT_T9_T10_S7_lS9_S7_lS8_T11_S7_li: ; @_ZL29rocblas_internal_gemmt_kernelIiLi16ELi32ELi8ELc67ELc78ELc76ELb0ELb0EddPKPKdPKPdEviT_T9_T10_S7_lS9_S7_lS8_T11_S7_li
; %bb.0:
	s_clause 0x2
	s_load_b128 s[4:7], s[0:1], 0x38
	s_load_b64 s[20:21], s[0:1], 0x0
	s_load_b128 s[8:11], s[0:1], 0x8
	s_wait_kmcnt 0x0
	v_cmp_neq_f64_e64 s2, s[6:7], 1.0
	s_and_b32 vcc_lo, exec_lo, s2
	s_cbranch_vccnz .LBB357_2
; %bb.1:
	v_cmp_neq_f64_e64 s2, s[8:9], 0
	s_cmp_lg_u32 s21, 0
	s_cselect_b32 s3, -1, 0
	s_delay_alu instid0(SALU_CYCLE_1)
	s_and_b32 s2, s3, s2
.LBB357_2:
	s_delay_alu instid0(SALU_CYCLE_1)
	s_and_not1_b32 vcc_lo, exec_lo, s2
	s_cbranch_vccnz .LBB357_33
; %bb.3:
	s_load_b32 s19, s[0:1], 0x60
	s_bfe_u32 s2, ttmp6, 0x40014
	s_lshr_b32 s3, ttmp7, 16
	s_add_co_i32 s2, s2, 1
	s_bfe_u32 s12, ttmp6, 0x40008
	s_mul_i32 s2, s3, s2
	s_getreg_b32 s28, hwreg(HW_REG_IB_STS2, 6, 4)
	s_add_co_i32 s12, s12, s2
	s_cmp_eq_u32 s28, 0
	s_mov_b32 s23, 0
	s_cselect_b32 s22, s3, s12
	s_wait_kmcnt 0x0
	s_cmp_ge_u32 s22, s19
	s_cbranch_scc1 .LBB357_33
; %bb.4:
	s_clause 0x3
	s_load_b32 s26, s[0:1], 0x18
	s_load_b32 s2, s[0:1], 0x30
	s_load_b96 s[16:18], s[0:1], 0x48
	s_load_b128 s[12:15], s[0:1], 0x20
	v_and_b32_e32 v2, 0x3ff, v0
	v_bfe_u32 v3, v0, 10, 10
	s_load_b64 s[24:25], s[0:1], 0x58
	s_wait_xcnt 0x0
	s_bfe_u32 s1, ttmp6, 0x4000c
	s_bfe_u32 s3, ttmp6, 0x40010
	s_and_b32 s29, ttmp7, 0xffff
	s_add_co_i32 s1, s1, 1
	s_add_co_i32 s3, s3, 1
	v_lshl_add_u32 v4, v3, 4, v2
	s_and_b32 s0, ttmp6, 15
	s_bfe_u32 s30, ttmp6, 0x40004
	s_mul_i32 s31, ttmp9, s1
	s_mul_i32 s33, s29, s3
	s_add_co_i32 s0, s0, s31
	s_add_co_i32 s30, s30, s33
	v_dual_lshrrev_b32 v5, 3, v4 :: v_dual_bitop2_b32 v6, 31, v4 bitop3:0x40
	s_wait_kmcnt 0x0
	s_ashr_i32 s27, s26, 31
	s_ashr_i32 s3, s2, 31
	;; [unrolled: 1-line block ×3, first 2 shown]
	s_cmp_eq_u32 s28, 0
	v_dual_lshlrev_b32 v33, 3, v2 :: v_dual_lshrrev_b32 v35, 5, v4
	s_cselect_b32 s0, ttmp9, s0
	s_cselect_b32 s28, s29, s30
	s_lshl_b32 s29, s0, 5
	s_lshl_b32 s0, s28, 5
	s_delay_alu instid0(SALU_CYCLE_1) | instskip(SKIP_2) | instid1(VALU_DEP_3)
	v_dual_add_nc_u32 v12, s0, v5 :: v_dual_bitop2_b32 v10, s29, v6 bitop3:0x54
	v_dual_add_nc_u32 v14, s0, v3 :: v_dual_bitop2_b32 v32, 7, v0 bitop3:0x40
	v_cmp_neq_f64_e64 s33, s[8:9], 0
	v_dual_ashrrev_i32 v11, 31, v10 :: v_dual_ashrrev_i32 v13, 31, v12
	s_delay_alu instid0(VALU_DEP_3) | instskip(NEXT) | instid1(VALU_DEP_4)
	v_dual_mov_b32 v1, 0 :: v_dual_lshlrev_b32 v20, 3, v32
	v_dual_add_nc_u32 v22, 16, v14 :: v_dual_ashrrev_i32 v15, 31, v14
	s_delay_alu instid0(VALU_DEP_3) | instskip(NEXT) | instid1(VALU_DEP_4)
	v_mul_u64_e32 v[16:17], s[26:27], v[10:11]
	v_mul_u64_e32 v[18:19], s[2:3], v[12:13]
	s_delay_alu instid0(VALU_DEP_4) | instskip(NEXT) | instid1(VALU_DEP_4)
	v_dual_mov_b32 v21, v1 :: v_dual_lshlrev_b32 v0, 3, v6
	v_ashrrev_i32_e32 v23, 31, v22
	s_mov_b32 s0, s18
	v_cmp_neq_f64_e64 s28, s[6:7], 0
	v_lshl_add_u32 v34, v3, 6, 0x800
	v_lshl_or_b32 v3, v5, 6, v20
	v_mul_u64_e32 v[4:5], s[0:1], v[14:15]
	v_lshl_or_b32 v36, v35, 8, v0
	v_lshlrev_b32_e32 v0, 3, v35
	v_mul_u64_e32 v[6:7], s[0:1], v[22:23]
	v_add_nc_u32_e32 v2, s29, v2
	s_cmp_gt_i32 s21, 0
	v_add_nc_u32_e32 v37, 0x800, v3
	s_cselect_b32 s18, -1, 0
	s_lshl_b64 s[26:27], s[12:13], 3
	v_add_nc_u32_e32 v8, 16, v2
	s_lshl_b64 s[30:31], s[4:5], 3
	v_cmp_gt_i32_e64 s0, s20, v10
	v_cmp_gt_i32_e64 s1, s20, v12
	s_delay_alu instid0(VALU_DEP_3)
	v_ashrrev_i32_e32 v9, 31, v8
	v_cmp_le_i32_e32 vcc_lo, v14, v2
	v_cmp_gt_i32_e64 s2, s20, v2
	v_ashrrev_i32_e32 v3, 31, v2
	v_cmp_le_i32_e64 s3, v14, v8
	v_cmp_gt_i32_e64 s4, s20, v8
	s_and_b32 s13, s33, s18
	s_and_b32 s5, vcc_lo, s2
	v_cmp_le_i32_e32 vcc_lo, v22, v2
	v_lshl_add_u64 v[10:11], v[16:17], 3, s[26:27]
	v_lshl_add_u64 v[12:13], v[18:19], 3, s[30:31]
	s_and_b32 s12, s3, s4
	v_cmp_le_i32_e64 s3, v22, v8
	s_and_b32 s18, vcc_lo, s2
	v_add_nc_u64_e32 v[10:11], v[10:11], v[0:1]
	v_add_nc_u64_e32 v[12:13], v[12:13], v[20:21]
	s_and_b32 s4, s3, s4
	s_lshl_b64 s[2:3], s[24:25], 3
	s_branch .LBB357_6
.LBB357_5:                              ;   in Loop: Header=BB357_6 Depth=1
	s_wait_xcnt 0x0
	s_or_b32 exec_lo, exec_lo, s20
	s_add_co_i32 s22, s22, 0x10000
	s_delay_alu instid0(SALU_CYCLE_1)
	s_cmp_lt_u32 s22, s19
	s_cbranch_scc0 .LBB357_33
.LBB357_6:                              ; =>This Loop Header: Depth=1
                                        ;     Child Loop BB357_9 Depth 2
	v_mov_b32_e32 v0, s22
	v_mov_b64_e32 v[22:23], 0
	v_mov_b64_e32 v[18:19], 0
	;; [unrolled: 1-line block ×4, first 2 shown]
	global_load_b64 v[20:21], v0, s[16:17] scale_offset
	s_and_not1_b32 vcc_lo, exec_lo, s13
	s_cbranch_vccnz .LBB357_13
; %bb.7:                                ;   in Loop: Header=BB357_6 Depth=1
	s_lshl_b64 s[24:25], s[22:23], 3
	v_mov_b64_e32 v[14:15], 0
	s_add_nc_u64 s[26:27], s[10:11], s[24:25]
	s_add_nc_u64 s[24:25], s[14:15], s[24:25]
	s_clause 0x1
	global_load_b64 v[22:23], v1, s[26:27]
	global_load_b64 v[26:27], v1, s[24:25]
	v_mov_b64_e32 v[16:17], 0
	v_mov_b64_e32 v[18:19], 0
	s_mov_b32 s20, 0
	s_wait_loadcnt 0x1
	v_add_nc_u64_e32 v[24:25], v[22:23], v[10:11]
	s_wait_loadcnt 0x0
	v_add_nc_u64_e32 v[26:27], v[26:27], v[12:13]
	v_mov_b64_e32 v[22:23], 0
	s_branch .LBB357_9
.LBB357_8:                              ;   in Loop: Header=BB357_9 Depth=2
	s_wait_xcnt 0x0
	s_or_b32 exec_lo, exec_lo, s24
	s_wait_loadcnt_dscnt 0x0
	ds_store_b64 v37, v[30:31]
	s_wait_dscnt 0x0
	s_barrier_signal -1
	s_barrier_wait -1
	ds_load_b128 v[28:31], v34
	ds_load_2addr_b64 v[38:41], v33 offset1:16
	ds_load_b128 v[42:45], v34 offset:1024
	ds_load_b128 v[46:49], v34 offset:16
	;; [unrolled: 1-line block ×3, first 2 shown]
	v_add_nc_u64_e32 v[24:25], 64, v[24:25]
	v_add_nc_u64_e32 v[26:27], 64, v[26:27]
	s_add_co_i32 s20, s20, 8
	s_delay_alu instid0(SALU_CYCLE_1)
	s_cmp_lt_i32 s20, s21
	s_wait_dscnt 0x3
	v_fmac_f64_e32 v[22:23], v[38:39], v[28:29]
	v_fmac_f64_e32 v[18:19], v[40:41], v[28:29]
	s_wait_dscnt 0x2
	v_fmac_f64_e32 v[16:17], v[38:39], v[42:43]
	v_fmac_f64_e32 v[14:15], v[40:41], v[42:43]
	ds_load_2addr_b64 v[38:41], v33 offset0:32 offset1:48
	s_wait_dscnt 0x0
	v_fmac_f64_e32 v[22:23], v[38:39], v[30:31]
	v_fmac_f64_e32 v[18:19], v[40:41], v[30:31]
	v_fmac_f64_e32 v[16:17], v[38:39], v[44:45]
	v_fmac_f64_e32 v[14:15], v[40:41], v[44:45]
	ds_load_2addr_b64 v[28:31], v33 offset0:64 offset1:80
	s_wait_dscnt 0x0
	v_fmac_f64_e32 v[22:23], v[28:29], v[46:47]
	v_fmac_f64_e32 v[18:19], v[30:31], v[46:47]
	;; [unrolled: 6-line block ×3, first 2 shown]
	v_fmac_f64_e32 v[16:17], v[28:29], v[52:53]
	v_fmac_f64_e32 v[14:15], v[30:31], v[52:53]
	ds_load_b128 v[28:31], v34 offset:32
	ds_load_2addr_b64 v[38:41], v33 offset0:128 offset1:144
	ds_load_b128 v[42:45], v34 offset:1056
	ds_load_b128 v[46:49], v34 offset:48
	;; [unrolled: 1-line block ×3, first 2 shown]
	s_wait_dscnt 0x3
	v_fmac_f64_e32 v[22:23], v[38:39], v[28:29]
	v_fmac_f64_e32 v[18:19], v[40:41], v[28:29]
	s_wait_dscnt 0x2
	v_fmac_f64_e32 v[16:17], v[38:39], v[42:43]
	v_fmac_f64_e32 v[14:15], v[40:41], v[42:43]
	ds_load_2addr_b64 v[38:41], v33 offset0:160 offset1:176
	s_wait_dscnt 0x0
	v_fmac_f64_e32 v[22:23], v[38:39], v[30:31]
	v_fmac_f64_e32 v[18:19], v[40:41], v[30:31]
	;; [unrolled: 1-line block ×4, first 2 shown]
	ds_load_2addr_b64 v[28:31], v33 offset0:192 offset1:208
	s_wait_dscnt 0x0
	v_fmac_f64_e32 v[22:23], v[28:29], v[46:47]
	v_fmac_f64_e32 v[18:19], v[30:31], v[46:47]
	;; [unrolled: 1-line block ×4, first 2 shown]
	ds_load_2addr_b64 v[28:31], v33 offset0:224 offset1:240
	s_wait_dscnt 0x0
	s_barrier_signal -1
	s_barrier_wait -1
	v_fmac_f64_e32 v[22:23], v[28:29], v[48:49]
	v_fmac_f64_e32 v[18:19], v[30:31], v[48:49]
	;; [unrolled: 1-line block ×4, first 2 shown]
	s_cbranch_scc0 .LBB357_13
.LBB357_9:                              ;   Parent Loop BB357_6 Depth=1
                                        ; =>  This Inner Loop Header: Depth=2
	s_wait_xcnt 0x2
	v_add_nc_u32_e32 v0, s20, v35
	v_mov_b64_e32 v[28:29], 0
	s_delay_alu instid0(VALU_DEP_2) | instskip(SKIP_2) | instid1(SALU_CYCLE_1)
	v_cmp_gt_i32_e32 vcc_lo, s21, v0
	s_wait_xcnt 0x0
	s_and_b32 s25, s0, vcc_lo
	s_and_saveexec_b32 s24, s25
	s_cbranch_execz .LBB357_11
; %bb.10:                               ;   in Loop: Header=BB357_9 Depth=2
	flat_load_b64 v[28:29], v[24:25]
.LBB357_11:                             ;   in Loop: Header=BB357_9 Depth=2
	s_wait_xcnt 0x0
	s_or_b32 exec_lo, exec_lo, s24
	v_add_nc_u32_e32 v0, s20, v32
	v_mov_b64_e32 v[30:31], 0
	s_wait_loadcnt_dscnt 0x0
	ds_store_b64 v36, v[28:29]
	v_cmp_gt_i32_e32 vcc_lo, s21, v0
	s_and_b32 s25, vcc_lo, s1
	s_delay_alu instid0(SALU_CYCLE_1)
	s_and_saveexec_b32 s24, s25
	s_cbranch_execz .LBB357_8
; %bb.12:                               ;   in Loop: Header=BB357_9 Depth=2
	flat_load_b64 v[30:31], v[26:27]
	s_branch .LBB357_8
.LBB357_13:                             ;   in Loop: Header=BB357_6 Depth=1
	s_wait_loadcnt 0x0
	v_add_nc_u64_e32 v[20:21], s[2:3], v[20:21]
	s_delay_alu instid0(VALU_DEP_1)
	v_lshl_add_u64 v[24:25], v[4:5], 3, v[20:21]
	s_wait_xcnt 0x0
	s_and_saveexec_b32 s20, s5
	s_cbranch_execz .LBB357_17
; %bb.14:                               ;   in Loop: Header=BB357_6 Depth=1
	v_mul_f64_e32 v[22:23], s[8:9], v[22:23]
	v_lshl_add_u64 v[26:27], v[2:3], 3, v[24:25]
	s_and_b32 vcc_lo, exec_lo, s28
	s_cbranch_vccz .LBB357_28
; %bb.15:                               ;   in Loop: Header=BB357_6 Depth=1
	flat_load_b64 v[28:29], v[26:27]
	s_wait_loadcnt_dscnt 0x0
	v_fma_f64 v[28:29], s[6:7], v[28:29], v[22:23]
	flat_store_b64 v[26:27], v[28:29]
	s_cbranch_execnz .LBB357_17
.LBB357_16:                             ;   in Loop: Header=BB357_6 Depth=1
	flat_store_b64 v[26:27], v[22:23]
.LBB357_17:                             ;   in Loop: Header=BB357_6 Depth=1
	s_wait_xcnt 0x0
	s_or_b32 exec_lo, exec_lo, s20
	s_and_saveexec_b32 s20, s12
	s_cbranch_execz .LBB357_21
; %bb.18:                               ;   in Loop: Header=BB357_6 Depth=1
	v_mul_f64_e32 v[18:19], s[8:9], v[18:19]
	v_lshl_add_u64 v[22:23], v[8:9], 3, v[24:25]
	s_and_not1_b32 vcc_lo, exec_lo, s28
	s_cbranch_vccnz .LBB357_29
; %bb.19:                               ;   in Loop: Header=BB357_6 Depth=1
	flat_load_b64 v[24:25], v[22:23]
	s_wait_loadcnt_dscnt 0x0
	v_fma_f64 v[24:25], s[6:7], v[24:25], v[18:19]
	flat_store_b64 v[22:23], v[24:25]
	s_cbranch_execnz .LBB357_21
.LBB357_20:                             ;   in Loop: Header=BB357_6 Depth=1
	flat_store_b64 v[22:23], v[18:19]
.LBB357_21:                             ;   in Loop: Header=BB357_6 Depth=1
	s_wait_xcnt 0x0
	s_or_b32 exec_lo, exec_lo, s20
	v_lshl_add_u64 v[18:19], v[6:7], 3, v[20:21]
	s_and_saveexec_b32 s20, s18
	s_cbranch_execz .LBB357_25
; %bb.22:                               ;   in Loop: Header=BB357_6 Depth=1
	v_mul_f64_e32 v[16:17], s[8:9], v[16:17]
	s_delay_alu instid0(VALU_DEP_2)
	v_lshl_add_u64 v[20:21], v[2:3], 3, v[18:19]
	s_and_not1_b32 vcc_lo, exec_lo, s28
	s_cbranch_vccnz .LBB357_30
; %bb.23:                               ;   in Loop: Header=BB357_6 Depth=1
	flat_load_b64 v[22:23], v[20:21]
	s_wait_loadcnt_dscnt 0x0
	v_fma_f64 v[22:23], s[6:7], v[22:23], v[16:17]
	flat_store_b64 v[20:21], v[22:23]
	s_cbranch_execnz .LBB357_25
.LBB357_24:                             ;   in Loop: Header=BB357_6 Depth=1
	flat_store_b64 v[20:21], v[16:17]
.LBB357_25:                             ;   in Loop: Header=BB357_6 Depth=1
	s_wait_xcnt 0x0
	s_or_b32 exec_lo, exec_lo, s20
	s_and_saveexec_b32 s20, s4
	s_cbranch_execz .LBB357_5
; %bb.26:                               ;   in Loop: Header=BB357_6 Depth=1
	s_delay_alu instid0(VALU_DEP_4)
	v_mul_f64_e32 v[14:15], s[8:9], v[14:15]
	v_lshl_add_u64 v[16:17], v[8:9], 3, v[18:19]
	s_and_not1_b32 vcc_lo, exec_lo, s28
	s_cbranch_vccnz .LBB357_31
; %bb.27:                               ;   in Loop: Header=BB357_6 Depth=1
	flat_load_b64 v[18:19], v[16:17]
	s_wait_loadcnt_dscnt 0x0
	v_fma_f64 v[18:19], s[6:7], v[18:19], v[14:15]
	flat_store_b64 v[16:17], v[18:19]
	s_cbranch_execnz .LBB357_5
	s_branch .LBB357_32
.LBB357_28:                             ;   in Loop: Header=BB357_6 Depth=1
	s_branch .LBB357_16
.LBB357_29:                             ;   in Loop: Header=BB357_6 Depth=1
	s_branch .LBB357_20
.LBB357_30:                             ;   in Loop: Header=BB357_6 Depth=1
	s_branch .LBB357_24
.LBB357_31:                             ;   in Loop: Header=BB357_6 Depth=1
.LBB357_32:                             ;   in Loop: Header=BB357_6 Depth=1
	flat_store_b64 v[16:17], v[14:15]
	s_branch .LBB357_5
.LBB357_33:
	s_endpgm
	.section	.rodata,"a",@progbits
	.p2align	6, 0x0
	.amdhsa_kernel _ZL29rocblas_internal_gemmt_kernelIiLi16ELi32ELi8ELc67ELc78ELc76ELb0ELb0EddPKPKdPKPdEviT_T9_T10_S7_lS9_S7_lS8_T11_S7_li
		.amdhsa_group_segment_fixed_size 4096
		.amdhsa_private_segment_fixed_size 0
		.amdhsa_kernarg_size 100
		.amdhsa_user_sgpr_count 2
		.amdhsa_user_sgpr_dispatch_ptr 0
		.amdhsa_user_sgpr_queue_ptr 0
		.amdhsa_user_sgpr_kernarg_segment_ptr 1
		.amdhsa_user_sgpr_dispatch_id 0
		.amdhsa_user_sgpr_kernarg_preload_length 0
		.amdhsa_user_sgpr_kernarg_preload_offset 0
		.amdhsa_user_sgpr_private_segment_size 0
		.amdhsa_wavefront_size32 1
		.amdhsa_uses_dynamic_stack 0
		.amdhsa_enable_private_segment 0
		.amdhsa_system_sgpr_workgroup_id_x 1
		.amdhsa_system_sgpr_workgroup_id_y 1
		.amdhsa_system_sgpr_workgroup_id_z 1
		.amdhsa_system_sgpr_workgroup_info 0
		.amdhsa_system_vgpr_workitem_id 1
		.amdhsa_next_free_vgpr 54
		.amdhsa_next_free_sgpr 34
		.amdhsa_named_barrier_count 0
		.amdhsa_reserve_vcc 1
		.amdhsa_float_round_mode_32 0
		.amdhsa_float_round_mode_16_64 0
		.amdhsa_float_denorm_mode_32 3
		.amdhsa_float_denorm_mode_16_64 3
		.amdhsa_fp16_overflow 0
		.amdhsa_memory_ordered 1
		.amdhsa_forward_progress 1
		.amdhsa_inst_pref_size 14
		.amdhsa_round_robin_scheduling 0
		.amdhsa_exception_fp_ieee_invalid_op 0
		.amdhsa_exception_fp_denorm_src 0
		.amdhsa_exception_fp_ieee_div_zero 0
		.amdhsa_exception_fp_ieee_overflow 0
		.amdhsa_exception_fp_ieee_underflow 0
		.amdhsa_exception_fp_ieee_inexact 0
		.amdhsa_exception_int_div_zero 0
	.end_amdhsa_kernel
	.section	.text._ZL29rocblas_internal_gemmt_kernelIiLi16ELi32ELi8ELc67ELc78ELc76ELb0ELb0EddPKPKdPKPdEviT_T9_T10_S7_lS9_S7_lS8_T11_S7_li,"axG",@progbits,_ZL29rocblas_internal_gemmt_kernelIiLi16ELi32ELi8ELc67ELc78ELc76ELb0ELb0EddPKPKdPKPdEviT_T9_T10_S7_lS9_S7_lS8_T11_S7_li,comdat
.Lfunc_end357:
	.size	_ZL29rocblas_internal_gemmt_kernelIiLi16ELi32ELi8ELc67ELc78ELc76ELb0ELb0EddPKPKdPKPdEviT_T9_T10_S7_lS9_S7_lS8_T11_S7_li, .Lfunc_end357-_ZL29rocblas_internal_gemmt_kernelIiLi16ELi32ELi8ELc67ELc78ELc76ELb0ELb0EddPKPKdPKPdEviT_T9_T10_S7_lS9_S7_lS8_T11_S7_li
                                        ; -- End function
	.set _ZL29rocblas_internal_gemmt_kernelIiLi16ELi32ELi8ELc67ELc78ELc76ELb0ELb0EddPKPKdPKPdEviT_T9_T10_S7_lS9_S7_lS8_T11_S7_li.num_vgpr, 54
	.set _ZL29rocblas_internal_gemmt_kernelIiLi16ELi32ELi8ELc67ELc78ELc76ELb0ELb0EddPKPKdPKPdEviT_T9_T10_S7_lS9_S7_lS8_T11_S7_li.num_agpr, 0
	.set _ZL29rocblas_internal_gemmt_kernelIiLi16ELi32ELi8ELc67ELc78ELc76ELb0ELb0EddPKPKdPKPdEviT_T9_T10_S7_lS9_S7_lS8_T11_S7_li.numbered_sgpr, 34
	.set _ZL29rocblas_internal_gemmt_kernelIiLi16ELi32ELi8ELc67ELc78ELc76ELb0ELb0EddPKPKdPKPdEviT_T9_T10_S7_lS9_S7_lS8_T11_S7_li.num_named_barrier, 0
	.set _ZL29rocblas_internal_gemmt_kernelIiLi16ELi32ELi8ELc67ELc78ELc76ELb0ELb0EddPKPKdPKPdEviT_T9_T10_S7_lS9_S7_lS8_T11_S7_li.private_seg_size, 0
	.set _ZL29rocblas_internal_gemmt_kernelIiLi16ELi32ELi8ELc67ELc78ELc76ELb0ELb0EddPKPKdPKPdEviT_T9_T10_S7_lS9_S7_lS8_T11_S7_li.uses_vcc, 1
	.set _ZL29rocblas_internal_gemmt_kernelIiLi16ELi32ELi8ELc67ELc78ELc76ELb0ELb0EddPKPKdPKPdEviT_T9_T10_S7_lS9_S7_lS8_T11_S7_li.uses_flat_scratch, 0
	.set _ZL29rocblas_internal_gemmt_kernelIiLi16ELi32ELi8ELc67ELc78ELc76ELb0ELb0EddPKPKdPKPdEviT_T9_T10_S7_lS9_S7_lS8_T11_S7_li.has_dyn_sized_stack, 0
	.set _ZL29rocblas_internal_gemmt_kernelIiLi16ELi32ELi8ELc67ELc78ELc76ELb0ELb0EddPKPKdPKPdEviT_T9_T10_S7_lS9_S7_lS8_T11_S7_li.has_recursion, 0
	.set _ZL29rocblas_internal_gemmt_kernelIiLi16ELi32ELi8ELc67ELc78ELc76ELb0ELb0EddPKPKdPKPdEviT_T9_T10_S7_lS9_S7_lS8_T11_S7_li.has_indirect_call, 0
	.section	.AMDGPU.csdata,"",@progbits
; Kernel info:
; codeLenInByte = 1676
; TotalNumSgprs: 36
; NumVgprs: 54
; ScratchSize: 0
; MemoryBound: 0
; FloatMode: 240
; IeeeMode: 1
; LDSByteSize: 4096 bytes/workgroup (compile time only)
; SGPRBlocks: 0
; VGPRBlocks: 3
; NumSGPRsForWavesPerEU: 36
; NumVGPRsForWavesPerEU: 54
; NamedBarCnt: 0
; Occupancy: 16
; WaveLimiterHint : 1
; COMPUTE_PGM_RSRC2:SCRATCH_EN: 0
; COMPUTE_PGM_RSRC2:USER_SGPR: 2
; COMPUTE_PGM_RSRC2:TRAP_HANDLER: 0
; COMPUTE_PGM_RSRC2:TGID_X_EN: 1
; COMPUTE_PGM_RSRC2:TGID_Y_EN: 1
; COMPUTE_PGM_RSRC2:TGID_Z_EN: 1
; COMPUTE_PGM_RSRC2:TIDIG_COMP_CNT: 1
	.section	.text._ZL29rocblas_internal_gemmt_kernelIiLi16ELi32ELi8ELc67ELc84ELc76ELb0ELb0EddPKPKdPKPdEviT_T9_T10_S7_lS9_S7_lS8_T11_S7_li,"axG",@progbits,_ZL29rocblas_internal_gemmt_kernelIiLi16ELi32ELi8ELc67ELc84ELc76ELb0ELb0EddPKPKdPKPdEviT_T9_T10_S7_lS9_S7_lS8_T11_S7_li,comdat
	.globl	_ZL29rocblas_internal_gemmt_kernelIiLi16ELi32ELi8ELc67ELc84ELc76ELb0ELb0EddPKPKdPKPdEviT_T9_T10_S7_lS9_S7_lS8_T11_S7_li ; -- Begin function _ZL29rocblas_internal_gemmt_kernelIiLi16ELi32ELi8ELc67ELc84ELc76ELb0ELb0EddPKPKdPKPdEviT_T9_T10_S7_lS9_S7_lS8_T11_S7_li
	.p2align	8
	.type	_ZL29rocblas_internal_gemmt_kernelIiLi16ELi32ELi8ELc67ELc84ELc76ELb0ELb0EddPKPKdPKPdEviT_T9_T10_S7_lS9_S7_lS8_T11_S7_li,@function
_ZL29rocblas_internal_gemmt_kernelIiLi16ELi32ELi8ELc67ELc84ELc76ELb0ELb0EddPKPKdPKPdEviT_T9_T10_S7_lS9_S7_lS8_T11_S7_li: ; @_ZL29rocblas_internal_gemmt_kernelIiLi16ELi32ELi8ELc67ELc84ELc76ELb0ELb0EddPKPKdPKPdEviT_T9_T10_S7_lS9_S7_lS8_T11_S7_li
; %bb.0:
	s_clause 0x2
	s_load_b128 s[8:11], s[0:1], 0x38
	s_load_b64 s[4:5], s[0:1], 0x0
	s_load_b128 s[12:15], s[0:1], 0x8
	s_wait_kmcnt 0x0
	v_cmp_neq_f64_e64 s2, s[10:11], 1.0
	s_and_b32 vcc_lo, exec_lo, s2
	s_cbranch_vccnz .LBB358_2
; %bb.1:
	v_cmp_neq_f64_e64 s2, s[12:13], 0
	s_cmp_lg_u32 s5, 0
	s_cselect_b32 s3, -1, 0
	s_delay_alu instid0(SALU_CYCLE_1)
	s_and_b32 s2, s3, s2
.LBB358_2:
	s_delay_alu instid0(SALU_CYCLE_1)
	s_and_not1_b32 vcc_lo, exec_lo, s2
	s_cbranch_vccnz .LBB358_33
; %bb.3:
	s_load_b32 s23, s[0:1], 0x60
	s_bfe_u32 s2, ttmp6, 0x40014
	s_lshr_b32 s3, ttmp7, 16
	s_add_co_i32 s2, s2, 1
	s_bfe_u32 s6, ttmp6, 0x40008
	s_mul_i32 s2, s3, s2
	s_getreg_b32 s28, hwreg(HW_REG_IB_STS2, 6, 4)
	s_add_co_i32 s6, s6, s2
	s_cmp_eq_u32 s28, 0
	s_mov_b32 s7, 0
	s_cselect_b32 s6, s3, s6
	s_wait_kmcnt 0x0
	s_cmp_ge_u32 s6, s23
	s_cbranch_scc1 .LBB358_33
; %bb.4:
	s_clause 0x3
	s_load_b32 s2, s[0:1], 0x18
	s_load_b32 s24, s[0:1], 0x30
	s_load_b96 s[20:22], s[0:1], 0x48
	s_load_b128 s[16:19], s[0:1], 0x20
	v_and_b32_e32 v2, 0x3ff, v0
	v_bfe_u32 v11, v0, 10, 10
	s_load_b64 s[26:27], s[0:1], 0x58
	s_wait_xcnt 0x0
	s_bfe_u32 s1, ttmp6, 0x4000c
	s_bfe_u32 s3, ttmp6, 0x40010
	s_and_b32 s30, ttmp7, 0xffff
	s_add_co_i32 s1, s1, 1
	s_add_co_i32 s3, s3, 1
	v_lshl_add_u32 v1, v11, 4, v2
	s_and_b32 s0, ttmp6, 15
	s_bfe_u32 s31, ttmp6, 0x40004
	s_mul_i32 s1, ttmp9, s1
	s_mul_i32 s33, s30, s3
	s_add_co_i32 s0, s0, s1
	s_add_co_i32 s31, s31, s33
	v_dual_lshrrev_b32 v34, 5, v1 :: v_dual_bitop2_b32 v6, 31, v1 bitop3:0x40
	s_wait_kmcnt 0x0
	s_ashr_i32 s3, s2, 31
	s_ashr_i32 s25, s24, 31
	;; [unrolled: 1-line block ×3, first 2 shown]
	s_cmp_eq_u32 s28, 0
	v_dual_mov_b32 v3, 0 :: v_dual_bitop2_b32 v0, 7, v0 bitop3:0x40
	s_cselect_b32 s0, ttmp9, s0
	s_cselect_b32 s1, s30, s31
	s_lshl_b32 s30, s0, 5
	s_delay_alu instid0(SALU_CYCLE_1) | instskip(SKIP_1) | instid1(SALU_CYCLE_1)
	v_dual_lshrrev_b32 v7, 3, v1 :: v_dual_bitop2_b32 v4, s30, v6 bitop3:0x54
	s_lshl_b32 s0, s1, 5
	v_dual_mov_b32 v1, v3 :: v_dual_add_nc_u32 v12, s0, v11
	s_delay_alu instid0(VALU_DEP_2) | instskip(SKIP_1) | instid1(VALU_DEP_3)
	v_dual_add_nc_u32 v14, s0, v7 :: v_dual_ashrrev_i32 v5, 31, v4
	v_cmp_gt_i32_e64 s0, s4, v4
	v_mul_u64_e32 v[18:19], s[24:25], v[0:1]
	s_delay_alu instid0(VALU_DEP_4) | instskip(SKIP_3) | instid1(VALU_DEP_4)
	v_add_nc_u32_e32 v20, 16, v12
	v_lshlrev_b32_e32 v1, 3, v0
	v_mul_u64_e32 v[16:17], s[2:3], v[4:5]
	v_dual_lshlrev_b32 v5, 3, v6 :: v_dual_ashrrev_i32 v13, 31, v12
	v_dual_ashrrev_i32 v21, 31, v20 :: v_dual_lshlrev_b32 v36, 3, v2
	v_add_nc_u32_e32 v4, s30, v2
	v_lshl_or_b32 v15, v7, 6, v1
	s_mov_b32 s28, s22
	v_cmp_neq_f64_e64 s31, s[12:13], 0
	v_cmp_neq_f64_e64 s22, s[10:11], 0
	v_mul_u64_e32 v[8:9], s[28:29], v[20:21]
	v_add_nc_u32_e32 v35, 0x800, v15
	v_ashrrev_i32_e32 v15, 31, v14
	v_mul_u64_e32 v[6:7], s[28:29], v[12:13]
	v_add_nc_u32_e32 v10, 16, v4
	v_cmp_le_i32_e32 vcc_lo, v12, v4
	v_cmp_gt_i32_e64 s2, s4, v4
	s_cmp_gt_i32 s5, 0
	v_lshl_or_b32 v1, v34, 8, v5
	s_cselect_b32 s33, -1, 0
	s_lshl_b64 s[16:17], s[16:17], 3
	s_and_b32 s28, vcc_lo, s2
	v_ashrrev_i32_e32 v5, 31, v4
	v_cmp_le_i32_e64 s3, v12, v10
	v_cmp_le_i32_e32 vcc_lo, v20, v4
	s_lshl_b64 s[8:9], s[8:9], 3
	v_lshlrev_b32_e32 v2, 3, v34
	v_cmp_gt_i32_e64 s1, s4, v14
	v_cmp_gt_i32_e64 s4, s4, v10
	v_lshl_add_u32 v37, v11, 6, 0x800
	v_ashrrev_i32_e32 v11, 31, v10
	v_lshl_add_u64 v[12:13], v[16:17], 3, s[16:17]
	v_lshl_add_u64 v[16:17], v[18:19], 3, s[8:9]
	s_and_b32 s16, vcc_lo, s2
	v_cmp_le_i32_e32 vcc_lo, v20, v10
	s_and_b32 s29, s3, s4
	v_add_nc_u64_e32 v[12:13], v[12:13], v[2:3]
	v_lshl_add_u64 v[14:15], v[14:15], 3, v[16:17]
	s_lshl_b64 s[2:3], s[24:25], 6
	s_and_b32 s17, s31, s33
	s_and_b32 s4, vcc_lo, s4
	s_lshl_b64 s[8:9], s[26:27], 3
	s_branch .LBB358_6
.LBB358_5:                              ;   in Loop: Header=BB358_6 Depth=1
	s_wait_xcnt 0x0
	s_or_b32 exec_lo, exec_lo, s24
	s_add_co_i32 s6, s6, 0x10000
	s_delay_alu instid0(SALU_CYCLE_1)
	s_cmp_lt_u32 s6, s23
	s_cbranch_scc0 .LBB358_33
.LBB358_6:                              ; =>This Loop Header: Depth=1
                                        ;     Child Loop BB358_9 Depth 2
	v_mov_b32_e32 v2, s6
	v_mov_b64_e32 v[24:25], 0
	v_mov_b64_e32 v[20:21], 0
	;; [unrolled: 1-line block ×4, first 2 shown]
	global_load_b64 v[22:23], v2, s[20:21] scale_offset
	s_and_not1_b32 vcc_lo, exec_lo, s17
	s_cbranch_vccnz .LBB358_13
; %bb.7:                                ;   in Loop: Header=BB358_6 Depth=1
	s_lshl_b64 s[24:25], s[6:7], 3
	v_mov_b64_e32 v[16:17], 0
	s_add_nc_u64 s[26:27], s[14:15], s[24:25]
	s_add_nc_u64 s[24:25], s[18:19], s[24:25]
	s_clause 0x1
	global_load_b64 v[24:25], v3, s[26:27]
	global_load_b64 v[28:29], v3, s[24:25]
	v_mov_b64_e32 v[18:19], 0
	v_mov_b64_e32 v[20:21], 0
	s_wait_xcnt 0x0
	s_mov_b32 s24, 0
	s_wait_loadcnt 0x1
	v_add_nc_u64_e32 v[26:27], v[24:25], v[12:13]
	s_wait_loadcnt 0x0
	v_add_nc_u64_e32 v[28:29], v[28:29], v[14:15]
	v_mov_b64_e32 v[24:25], 0
	s_branch .LBB358_9
.LBB358_8:                              ;   in Loop: Header=BB358_9 Depth=2
	s_wait_xcnt 0x0
	s_or_b32 exec_lo, exec_lo, s25
	s_wait_loadcnt_dscnt 0x0
	ds_store_b64 v35, v[32:33]
	s_wait_dscnt 0x0
	s_barrier_signal -1
	s_barrier_wait -1
	ds_load_b128 v[30:33], v37
	ds_load_2addr_b64 v[38:41], v36 offset1:16
	ds_load_b128 v[42:45], v37 offset:1024
	ds_load_b128 v[46:49], v37 offset:16
	;; [unrolled: 1-line block ×3, first 2 shown]
	v_add_nc_u64_e32 v[26:27], 64, v[26:27]
	v_add_nc_u64_e32 v[28:29], s[2:3], v[28:29]
	s_add_co_i32 s24, s24, 8
	s_delay_alu instid0(SALU_CYCLE_1)
	s_cmp_lt_i32 s24, s5
	s_wait_dscnt 0x3
	v_fmac_f64_e32 v[24:25], v[38:39], v[30:31]
	v_fmac_f64_e32 v[20:21], v[40:41], v[30:31]
	s_wait_dscnt 0x2
	v_fmac_f64_e32 v[18:19], v[38:39], v[42:43]
	v_fmac_f64_e32 v[16:17], v[40:41], v[42:43]
	ds_load_2addr_b64 v[38:41], v36 offset0:32 offset1:48
	s_wait_dscnt 0x0
	v_fmac_f64_e32 v[24:25], v[38:39], v[32:33]
	v_fmac_f64_e32 v[20:21], v[40:41], v[32:33]
	v_fmac_f64_e32 v[18:19], v[38:39], v[44:45]
	v_fmac_f64_e32 v[16:17], v[40:41], v[44:45]
	ds_load_2addr_b64 v[30:33], v36 offset0:64 offset1:80
	s_wait_dscnt 0x0
	v_fmac_f64_e32 v[24:25], v[30:31], v[46:47]
	v_fmac_f64_e32 v[20:21], v[32:33], v[46:47]
	;; [unrolled: 6-line block ×3, first 2 shown]
	v_fmac_f64_e32 v[18:19], v[30:31], v[52:53]
	v_fmac_f64_e32 v[16:17], v[32:33], v[52:53]
	ds_load_b128 v[30:33], v37 offset:32
	ds_load_2addr_b64 v[38:41], v36 offset0:128 offset1:144
	ds_load_b128 v[42:45], v37 offset:1056
	ds_load_b128 v[46:49], v37 offset:48
	ds_load_b128 v[50:53], v37 offset:1072
	s_wait_dscnt 0x3
	v_fmac_f64_e32 v[24:25], v[38:39], v[30:31]
	v_fmac_f64_e32 v[20:21], v[40:41], v[30:31]
	s_wait_dscnt 0x2
	v_fmac_f64_e32 v[18:19], v[38:39], v[42:43]
	v_fmac_f64_e32 v[16:17], v[40:41], v[42:43]
	ds_load_2addr_b64 v[38:41], v36 offset0:160 offset1:176
	s_wait_dscnt 0x0
	v_fmac_f64_e32 v[24:25], v[38:39], v[32:33]
	v_fmac_f64_e32 v[20:21], v[40:41], v[32:33]
	;; [unrolled: 1-line block ×4, first 2 shown]
	ds_load_2addr_b64 v[30:33], v36 offset0:192 offset1:208
	s_wait_dscnt 0x0
	v_fmac_f64_e32 v[24:25], v[30:31], v[46:47]
	v_fmac_f64_e32 v[20:21], v[32:33], v[46:47]
	;; [unrolled: 1-line block ×4, first 2 shown]
	ds_load_2addr_b64 v[30:33], v36 offset0:224 offset1:240
	s_wait_dscnt 0x0
	s_barrier_signal -1
	s_barrier_wait -1
	v_fmac_f64_e32 v[24:25], v[30:31], v[48:49]
	v_fmac_f64_e32 v[20:21], v[32:33], v[48:49]
	;; [unrolled: 1-line block ×4, first 2 shown]
	s_cbranch_scc0 .LBB358_13
.LBB358_9:                              ;   Parent Loop BB358_6 Depth=1
                                        ; =>  This Inner Loop Header: Depth=2
	v_add_nc_u32_e32 v2, s24, v34
	v_mov_b64_e32 v[30:31], 0
	s_delay_alu instid0(VALU_DEP_2) | instskip(SKIP_1) | instid1(SALU_CYCLE_1)
	v_cmp_gt_i32_e32 vcc_lo, s5, v2
	s_and_b32 s26, s0, vcc_lo
	s_and_saveexec_b32 s25, s26
	s_cbranch_execz .LBB358_11
; %bb.10:                               ;   in Loop: Header=BB358_9 Depth=2
	flat_load_b64 v[30:31], v[26:27]
.LBB358_11:                             ;   in Loop: Header=BB358_9 Depth=2
	s_wait_xcnt 0x0
	s_or_b32 exec_lo, exec_lo, s25
	v_add_nc_u32_e32 v2, s24, v0
	v_mov_b64_e32 v[32:33], 0
	s_wait_loadcnt_dscnt 0x0
	ds_store_b64 v1, v[30:31]
	v_cmp_gt_i32_e32 vcc_lo, s5, v2
	s_and_b32 s26, vcc_lo, s1
	s_delay_alu instid0(SALU_CYCLE_1)
	s_and_saveexec_b32 s25, s26
	s_cbranch_execz .LBB358_8
; %bb.12:                               ;   in Loop: Header=BB358_9 Depth=2
	flat_load_b64 v[32:33], v[28:29]
	s_branch .LBB358_8
.LBB358_13:                             ;   in Loop: Header=BB358_6 Depth=1
	s_wait_loadcnt 0x0
	v_add_nc_u64_e32 v[22:23], s[8:9], v[22:23]
	s_delay_alu instid0(VALU_DEP_1)
	v_lshl_add_u64 v[26:27], v[6:7], 3, v[22:23]
	s_wait_xcnt 0x0
	s_and_saveexec_b32 s24, s28
	s_cbranch_execz .LBB358_17
; %bb.14:                               ;   in Loop: Header=BB358_6 Depth=1
	v_mul_f64_e32 v[24:25], s[12:13], v[24:25]
	v_lshl_add_u64 v[28:29], v[4:5], 3, v[26:27]
	s_and_b32 vcc_lo, exec_lo, s22
	s_cbranch_vccz .LBB358_28
; %bb.15:                               ;   in Loop: Header=BB358_6 Depth=1
	flat_load_b64 v[30:31], v[28:29]
	s_wait_loadcnt_dscnt 0x0
	v_fma_f64 v[30:31], s[10:11], v[30:31], v[24:25]
	flat_store_b64 v[28:29], v[30:31]
	s_cbranch_execnz .LBB358_17
.LBB358_16:                             ;   in Loop: Header=BB358_6 Depth=1
	flat_store_b64 v[28:29], v[24:25]
.LBB358_17:                             ;   in Loop: Header=BB358_6 Depth=1
	s_wait_xcnt 0x0
	s_or_b32 exec_lo, exec_lo, s24
	s_and_saveexec_b32 s24, s29
	s_cbranch_execz .LBB358_21
; %bb.18:                               ;   in Loop: Header=BB358_6 Depth=1
	v_mul_f64_e32 v[20:21], s[12:13], v[20:21]
	v_lshl_add_u64 v[24:25], v[10:11], 3, v[26:27]
	s_and_not1_b32 vcc_lo, exec_lo, s22
	s_cbranch_vccnz .LBB358_29
; %bb.19:                               ;   in Loop: Header=BB358_6 Depth=1
	flat_load_b64 v[26:27], v[24:25]
	s_wait_loadcnt_dscnt 0x0
	v_fma_f64 v[26:27], s[10:11], v[26:27], v[20:21]
	flat_store_b64 v[24:25], v[26:27]
	s_cbranch_execnz .LBB358_21
.LBB358_20:                             ;   in Loop: Header=BB358_6 Depth=1
	flat_store_b64 v[24:25], v[20:21]
.LBB358_21:                             ;   in Loop: Header=BB358_6 Depth=1
	s_wait_xcnt 0x0
	s_or_b32 exec_lo, exec_lo, s24
	v_lshl_add_u64 v[20:21], v[8:9], 3, v[22:23]
	s_and_saveexec_b32 s24, s16
	s_cbranch_execz .LBB358_25
; %bb.22:                               ;   in Loop: Header=BB358_6 Depth=1
	v_mul_f64_e32 v[18:19], s[12:13], v[18:19]
	s_delay_alu instid0(VALU_DEP_2)
	v_lshl_add_u64 v[22:23], v[4:5], 3, v[20:21]
	s_and_not1_b32 vcc_lo, exec_lo, s22
	s_cbranch_vccnz .LBB358_30
; %bb.23:                               ;   in Loop: Header=BB358_6 Depth=1
	flat_load_b64 v[24:25], v[22:23]
	s_wait_loadcnt_dscnt 0x0
	v_fma_f64 v[24:25], s[10:11], v[24:25], v[18:19]
	flat_store_b64 v[22:23], v[24:25]
	s_cbranch_execnz .LBB358_25
.LBB358_24:                             ;   in Loop: Header=BB358_6 Depth=1
	flat_store_b64 v[22:23], v[18:19]
.LBB358_25:                             ;   in Loop: Header=BB358_6 Depth=1
	s_wait_xcnt 0x0
	s_or_b32 exec_lo, exec_lo, s24
	s_and_saveexec_b32 s24, s4
	s_cbranch_execz .LBB358_5
; %bb.26:                               ;   in Loop: Header=BB358_6 Depth=1
	s_delay_alu instid0(VALU_DEP_4)
	v_mul_f64_e32 v[16:17], s[12:13], v[16:17]
	v_lshl_add_u64 v[18:19], v[10:11], 3, v[20:21]
	s_and_not1_b32 vcc_lo, exec_lo, s22
	s_cbranch_vccnz .LBB358_31
; %bb.27:                               ;   in Loop: Header=BB358_6 Depth=1
	flat_load_b64 v[20:21], v[18:19]
	s_wait_loadcnt_dscnt 0x0
	v_fma_f64 v[20:21], s[10:11], v[20:21], v[16:17]
	flat_store_b64 v[18:19], v[20:21]
	s_cbranch_execnz .LBB358_5
	s_branch .LBB358_32
.LBB358_28:                             ;   in Loop: Header=BB358_6 Depth=1
	s_branch .LBB358_16
.LBB358_29:                             ;   in Loop: Header=BB358_6 Depth=1
	s_branch .LBB358_20
.LBB358_30:                             ;   in Loop: Header=BB358_6 Depth=1
	s_branch .LBB358_24
.LBB358_31:                             ;   in Loop: Header=BB358_6 Depth=1
.LBB358_32:                             ;   in Loop: Header=BB358_6 Depth=1
	flat_store_b64 v[18:19], v[16:17]
	s_branch .LBB358_5
.LBB358_33:
	s_endpgm
	.section	.rodata,"a",@progbits
	.p2align	6, 0x0
	.amdhsa_kernel _ZL29rocblas_internal_gemmt_kernelIiLi16ELi32ELi8ELc67ELc84ELc76ELb0ELb0EddPKPKdPKPdEviT_T9_T10_S7_lS9_S7_lS8_T11_S7_li
		.amdhsa_group_segment_fixed_size 4096
		.amdhsa_private_segment_fixed_size 0
		.amdhsa_kernarg_size 100
		.amdhsa_user_sgpr_count 2
		.amdhsa_user_sgpr_dispatch_ptr 0
		.amdhsa_user_sgpr_queue_ptr 0
		.amdhsa_user_sgpr_kernarg_segment_ptr 1
		.amdhsa_user_sgpr_dispatch_id 0
		.amdhsa_user_sgpr_kernarg_preload_length 0
		.amdhsa_user_sgpr_kernarg_preload_offset 0
		.amdhsa_user_sgpr_private_segment_size 0
		.amdhsa_wavefront_size32 1
		.amdhsa_uses_dynamic_stack 0
		.amdhsa_enable_private_segment 0
		.amdhsa_system_sgpr_workgroup_id_x 1
		.amdhsa_system_sgpr_workgroup_id_y 1
		.amdhsa_system_sgpr_workgroup_id_z 1
		.amdhsa_system_sgpr_workgroup_info 0
		.amdhsa_system_vgpr_workitem_id 1
		.amdhsa_next_free_vgpr 54
		.amdhsa_next_free_sgpr 34
		.amdhsa_named_barrier_count 0
		.amdhsa_reserve_vcc 1
		.amdhsa_float_round_mode_32 0
		.amdhsa_float_round_mode_16_64 0
		.amdhsa_float_denorm_mode_32 3
		.amdhsa_float_denorm_mode_16_64 3
		.amdhsa_fp16_overflow 0
		.amdhsa_memory_ordered 1
		.amdhsa_forward_progress 1
		.amdhsa_inst_pref_size 14
		.amdhsa_round_robin_scheduling 0
		.amdhsa_exception_fp_ieee_invalid_op 0
		.amdhsa_exception_fp_denorm_src 0
		.amdhsa_exception_fp_ieee_div_zero 0
		.amdhsa_exception_fp_ieee_overflow 0
		.amdhsa_exception_fp_ieee_underflow 0
		.amdhsa_exception_fp_ieee_inexact 0
		.amdhsa_exception_int_div_zero 0
	.end_amdhsa_kernel
	.section	.text._ZL29rocblas_internal_gemmt_kernelIiLi16ELi32ELi8ELc67ELc84ELc76ELb0ELb0EddPKPKdPKPdEviT_T9_T10_S7_lS9_S7_lS8_T11_S7_li,"axG",@progbits,_ZL29rocblas_internal_gemmt_kernelIiLi16ELi32ELi8ELc67ELc84ELc76ELb0ELb0EddPKPKdPKPdEviT_T9_T10_S7_lS9_S7_lS8_T11_S7_li,comdat
.Lfunc_end358:
	.size	_ZL29rocblas_internal_gemmt_kernelIiLi16ELi32ELi8ELc67ELc84ELc76ELb0ELb0EddPKPKdPKPdEviT_T9_T10_S7_lS9_S7_lS8_T11_S7_li, .Lfunc_end358-_ZL29rocblas_internal_gemmt_kernelIiLi16ELi32ELi8ELc67ELc84ELc76ELb0ELb0EddPKPKdPKPdEviT_T9_T10_S7_lS9_S7_lS8_T11_S7_li
                                        ; -- End function
	.set _ZL29rocblas_internal_gemmt_kernelIiLi16ELi32ELi8ELc67ELc84ELc76ELb0ELb0EddPKPKdPKPdEviT_T9_T10_S7_lS9_S7_lS8_T11_S7_li.num_vgpr, 54
	.set _ZL29rocblas_internal_gemmt_kernelIiLi16ELi32ELi8ELc67ELc84ELc76ELb0ELb0EddPKPKdPKPdEviT_T9_T10_S7_lS9_S7_lS8_T11_S7_li.num_agpr, 0
	.set _ZL29rocblas_internal_gemmt_kernelIiLi16ELi32ELi8ELc67ELc84ELc76ELb0ELb0EddPKPKdPKPdEviT_T9_T10_S7_lS9_S7_lS8_T11_S7_li.numbered_sgpr, 34
	.set _ZL29rocblas_internal_gemmt_kernelIiLi16ELi32ELi8ELc67ELc84ELc76ELb0ELb0EddPKPKdPKPdEviT_T9_T10_S7_lS9_S7_lS8_T11_S7_li.num_named_barrier, 0
	.set _ZL29rocblas_internal_gemmt_kernelIiLi16ELi32ELi8ELc67ELc84ELc76ELb0ELb0EddPKPKdPKPdEviT_T9_T10_S7_lS9_S7_lS8_T11_S7_li.private_seg_size, 0
	.set _ZL29rocblas_internal_gemmt_kernelIiLi16ELi32ELi8ELc67ELc84ELc76ELb0ELb0EddPKPKdPKPdEviT_T9_T10_S7_lS9_S7_lS8_T11_S7_li.uses_vcc, 1
	.set _ZL29rocblas_internal_gemmt_kernelIiLi16ELi32ELi8ELc67ELc84ELc76ELb0ELb0EddPKPKdPKPdEviT_T9_T10_S7_lS9_S7_lS8_T11_S7_li.uses_flat_scratch, 0
	.set _ZL29rocblas_internal_gemmt_kernelIiLi16ELi32ELi8ELc67ELc84ELc76ELb0ELb0EddPKPKdPKPdEviT_T9_T10_S7_lS9_S7_lS8_T11_S7_li.has_dyn_sized_stack, 0
	.set _ZL29rocblas_internal_gemmt_kernelIiLi16ELi32ELi8ELc67ELc84ELc76ELb0ELb0EddPKPKdPKPdEviT_T9_T10_S7_lS9_S7_lS8_T11_S7_li.has_recursion, 0
	.set _ZL29rocblas_internal_gemmt_kernelIiLi16ELi32ELi8ELc67ELc84ELc76ELb0ELb0EddPKPKdPKPdEviT_T9_T10_S7_lS9_S7_lS8_T11_S7_li.has_indirect_call, 0
	.section	.AMDGPU.csdata,"",@progbits
; Kernel info:
; codeLenInByte = 1668
; TotalNumSgprs: 36
; NumVgprs: 54
; ScratchSize: 0
; MemoryBound: 0
; FloatMode: 240
; IeeeMode: 1
; LDSByteSize: 4096 bytes/workgroup (compile time only)
; SGPRBlocks: 0
; VGPRBlocks: 3
; NumSGPRsForWavesPerEU: 36
; NumVGPRsForWavesPerEU: 54
; NamedBarCnt: 0
; Occupancy: 16
; WaveLimiterHint : 1
; COMPUTE_PGM_RSRC2:SCRATCH_EN: 0
; COMPUTE_PGM_RSRC2:USER_SGPR: 2
; COMPUTE_PGM_RSRC2:TRAP_HANDLER: 0
; COMPUTE_PGM_RSRC2:TGID_X_EN: 1
; COMPUTE_PGM_RSRC2:TGID_Y_EN: 1
; COMPUTE_PGM_RSRC2:TGID_Z_EN: 1
; COMPUTE_PGM_RSRC2:TIDIG_COMP_CNT: 1
	.section	.text._ZL29rocblas_internal_gemmt_kernelIiLi16ELi32ELi8ELc67ELc67ELc76ELb0ELb0EddPKPKdPKPdEviT_T9_T10_S7_lS9_S7_lS8_T11_S7_li,"axG",@progbits,_ZL29rocblas_internal_gemmt_kernelIiLi16ELi32ELi8ELc67ELc67ELc76ELb0ELb0EddPKPKdPKPdEviT_T9_T10_S7_lS9_S7_lS8_T11_S7_li,comdat
	.globl	_ZL29rocblas_internal_gemmt_kernelIiLi16ELi32ELi8ELc67ELc67ELc76ELb0ELb0EddPKPKdPKPdEviT_T9_T10_S7_lS9_S7_lS8_T11_S7_li ; -- Begin function _ZL29rocblas_internal_gemmt_kernelIiLi16ELi32ELi8ELc67ELc67ELc76ELb0ELb0EddPKPKdPKPdEviT_T9_T10_S7_lS9_S7_lS8_T11_S7_li
	.p2align	8
	.type	_ZL29rocblas_internal_gemmt_kernelIiLi16ELi32ELi8ELc67ELc67ELc76ELb0ELb0EddPKPKdPKPdEviT_T9_T10_S7_lS9_S7_lS8_T11_S7_li,@function
_ZL29rocblas_internal_gemmt_kernelIiLi16ELi32ELi8ELc67ELc67ELc76ELb0ELb0EddPKPKdPKPdEviT_T9_T10_S7_lS9_S7_lS8_T11_S7_li: ; @_ZL29rocblas_internal_gemmt_kernelIiLi16ELi32ELi8ELc67ELc67ELc76ELb0ELb0EddPKPKdPKPdEviT_T9_T10_S7_lS9_S7_lS8_T11_S7_li
; %bb.0:
	s_clause 0x2
	s_load_b128 s[8:11], s[0:1], 0x38
	s_load_b64 s[4:5], s[0:1], 0x0
	s_load_b128 s[12:15], s[0:1], 0x8
	s_wait_kmcnt 0x0
	v_cmp_neq_f64_e64 s2, s[10:11], 1.0
	s_and_b32 vcc_lo, exec_lo, s2
	s_cbranch_vccnz .LBB359_2
; %bb.1:
	v_cmp_neq_f64_e64 s2, s[12:13], 0
	s_cmp_lg_u32 s5, 0
	s_cselect_b32 s3, -1, 0
	s_delay_alu instid0(SALU_CYCLE_1)
	s_and_b32 s2, s3, s2
.LBB359_2:
	s_delay_alu instid0(SALU_CYCLE_1)
	s_and_not1_b32 vcc_lo, exec_lo, s2
	s_cbranch_vccnz .LBB359_33
; %bb.3:
	s_load_b32 s23, s[0:1], 0x60
	s_bfe_u32 s2, ttmp6, 0x40014
	s_lshr_b32 s3, ttmp7, 16
	s_add_co_i32 s2, s2, 1
	s_bfe_u32 s6, ttmp6, 0x40008
	s_mul_i32 s2, s3, s2
	s_getreg_b32 s28, hwreg(HW_REG_IB_STS2, 6, 4)
	s_add_co_i32 s6, s6, s2
	s_cmp_eq_u32 s28, 0
	s_mov_b32 s7, 0
	s_cselect_b32 s6, s3, s6
	s_wait_kmcnt 0x0
	s_cmp_ge_u32 s6, s23
	s_cbranch_scc1 .LBB359_33
; %bb.4:
	s_clause 0x3
	s_load_b32 s2, s[0:1], 0x18
	s_load_b32 s24, s[0:1], 0x30
	s_load_b96 s[20:22], s[0:1], 0x48
	s_load_b128 s[16:19], s[0:1], 0x20
	v_and_b32_e32 v2, 0x3ff, v0
	v_bfe_u32 v11, v0, 10, 10
	s_load_b64 s[26:27], s[0:1], 0x58
	s_wait_xcnt 0x0
	s_bfe_u32 s1, ttmp6, 0x4000c
	s_bfe_u32 s3, ttmp6, 0x40010
	s_and_b32 s30, ttmp7, 0xffff
	s_add_co_i32 s1, s1, 1
	s_add_co_i32 s3, s3, 1
	v_lshl_add_u32 v1, v11, 4, v2
	s_and_b32 s0, ttmp6, 15
	s_bfe_u32 s31, ttmp6, 0x40004
	s_mul_i32 s1, ttmp9, s1
	s_mul_i32 s33, s30, s3
	s_add_co_i32 s0, s0, s1
	s_add_co_i32 s31, s31, s33
	v_dual_lshrrev_b32 v34, 5, v1 :: v_dual_bitop2_b32 v6, 31, v1 bitop3:0x40
	s_wait_kmcnt 0x0
	s_ashr_i32 s3, s2, 31
	s_ashr_i32 s25, s24, 31
	;; [unrolled: 1-line block ×3, first 2 shown]
	s_cmp_eq_u32 s28, 0
	v_dual_mov_b32 v3, 0 :: v_dual_bitop2_b32 v0, 7, v0 bitop3:0x40
	s_cselect_b32 s0, ttmp9, s0
	s_cselect_b32 s1, s30, s31
	s_lshl_b32 s30, s0, 5
	s_delay_alu instid0(SALU_CYCLE_1) | instskip(SKIP_1) | instid1(SALU_CYCLE_1)
	v_dual_lshrrev_b32 v7, 3, v1 :: v_dual_bitop2_b32 v4, s30, v6 bitop3:0x54
	s_lshl_b32 s0, s1, 5
	v_dual_mov_b32 v1, v3 :: v_dual_add_nc_u32 v12, s0, v11
	s_delay_alu instid0(VALU_DEP_2) | instskip(SKIP_1) | instid1(VALU_DEP_3)
	v_dual_add_nc_u32 v14, s0, v7 :: v_dual_ashrrev_i32 v5, 31, v4
	v_cmp_gt_i32_e64 s0, s4, v4
	v_mul_u64_e32 v[18:19], s[24:25], v[0:1]
	s_delay_alu instid0(VALU_DEP_4) | instskip(SKIP_3) | instid1(VALU_DEP_4)
	v_add_nc_u32_e32 v20, 16, v12
	v_lshlrev_b32_e32 v1, 3, v0
	v_mul_u64_e32 v[16:17], s[2:3], v[4:5]
	v_dual_lshlrev_b32 v5, 3, v6 :: v_dual_ashrrev_i32 v13, 31, v12
	v_dual_ashrrev_i32 v21, 31, v20 :: v_dual_lshlrev_b32 v36, 3, v2
	v_add_nc_u32_e32 v4, s30, v2
	v_lshl_or_b32 v15, v7, 6, v1
	s_mov_b32 s28, s22
	v_cmp_neq_f64_e64 s31, s[12:13], 0
	v_cmp_neq_f64_e64 s22, s[10:11], 0
	v_mul_u64_e32 v[8:9], s[28:29], v[20:21]
	v_add_nc_u32_e32 v35, 0x800, v15
	v_ashrrev_i32_e32 v15, 31, v14
	v_mul_u64_e32 v[6:7], s[28:29], v[12:13]
	v_add_nc_u32_e32 v10, 16, v4
	v_cmp_le_i32_e32 vcc_lo, v12, v4
	v_cmp_gt_i32_e64 s2, s4, v4
	s_cmp_gt_i32 s5, 0
	v_lshl_or_b32 v1, v34, 8, v5
	s_cselect_b32 s33, -1, 0
	s_lshl_b64 s[16:17], s[16:17], 3
	s_and_b32 s28, vcc_lo, s2
	v_ashrrev_i32_e32 v5, 31, v4
	v_cmp_le_i32_e64 s3, v12, v10
	v_cmp_le_i32_e32 vcc_lo, v20, v4
	s_lshl_b64 s[8:9], s[8:9], 3
	v_lshlrev_b32_e32 v2, 3, v34
	v_cmp_gt_i32_e64 s1, s4, v14
	v_cmp_gt_i32_e64 s4, s4, v10
	v_lshl_add_u32 v37, v11, 6, 0x800
	v_ashrrev_i32_e32 v11, 31, v10
	v_lshl_add_u64 v[12:13], v[16:17], 3, s[16:17]
	v_lshl_add_u64 v[16:17], v[18:19], 3, s[8:9]
	s_and_b32 s16, vcc_lo, s2
	v_cmp_le_i32_e32 vcc_lo, v20, v10
	s_and_b32 s29, s3, s4
	v_add_nc_u64_e32 v[12:13], v[12:13], v[2:3]
	v_lshl_add_u64 v[14:15], v[14:15], 3, v[16:17]
	s_lshl_b64 s[2:3], s[24:25], 6
	s_and_b32 s17, s31, s33
	s_and_b32 s4, vcc_lo, s4
	s_lshl_b64 s[8:9], s[26:27], 3
	s_branch .LBB359_6
.LBB359_5:                              ;   in Loop: Header=BB359_6 Depth=1
	s_wait_xcnt 0x0
	s_or_b32 exec_lo, exec_lo, s24
	s_add_co_i32 s6, s6, 0x10000
	s_delay_alu instid0(SALU_CYCLE_1)
	s_cmp_lt_u32 s6, s23
	s_cbranch_scc0 .LBB359_33
.LBB359_6:                              ; =>This Loop Header: Depth=1
                                        ;     Child Loop BB359_9 Depth 2
	v_mov_b32_e32 v2, s6
	v_mov_b64_e32 v[24:25], 0
	v_mov_b64_e32 v[20:21], 0
	;; [unrolled: 1-line block ×4, first 2 shown]
	global_load_b64 v[22:23], v2, s[20:21] scale_offset
	s_and_not1_b32 vcc_lo, exec_lo, s17
	s_cbranch_vccnz .LBB359_13
; %bb.7:                                ;   in Loop: Header=BB359_6 Depth=1
	s_lshl_b64 s[24:25], s[6:7], 3
	v_mov_b64_e32 v[16:17], 0
	s_add_nc_u64 s[26:27], s[14:15], s[24:25]
	s_add_nc_u64 s[24:25], s[18:19], s[24:25]
	s_clause 0x1
	global_load_b64 v[24:25], v3, s[26:27]
	global_load_b64 v[28:29], v3, s[24:25]
	v_mov_b64_e32 v[18:19], 0
	v_mov_b64_e32 v[20:21], 0
	s_wait_xcnt 0x0
	s_mov_b32 s24, 0
	s_wait_loadcnt 0x1
	v_add_nc_u64_e32 v[26:27], v[24:25], v[12:13]
	s_wait_loadcnt 0x0
	v_add_nc_u64_e32 v[28:29], v[28:29], v[14:15]
	v_mov_b64_e32 v[24:25], 0
	s_branch .LBB359_9
.LBB359_8:                              ;   in Loop: Header=BB359_9 Depth=2
	s_wait_xcnt 0x0
	s_or_b32 exec_lo, exec_lo, s25
	s_wait_loadcnt_dscnt 0x0
	ds_store_b64 v35, v[32:33]
	s_wait_dscnt 0x0
	s_barrier_signal -1
	s_barrier_wait -1
	ds_load_b128 v[30:33], v37
	ds_load_2addr_b64 v[38:41], v36 offset1:16
	ds_load_b128 v[42:45], v37 offset:1024
	ds_load_b128 v[46:49], v37 offset:16
	;; [unrolled: 1-line block ×3, first 2 shown]
	v_add_nc_u64_e32 v[26:27], 64, v[26:27]
	v_add_nc_u64_e32 v[28:29], s[2:3], v[28:29]
	s_add_co_i32 s24, s24, 8
	s_delay_alu instid0(SALU_CYCLE_1)
	s_cmp_lt_i32 s24, s5
	s_wait_dscnt 0x3
	v_fmac_f64_e32 v[24:25], v[38:39], v[30:31]
	v_fmac_f64_e32 v[20:21], v[40:41], v[30:31]
	s_wait_dscnt 0x2
	v_fmac_f64_e32 v[18:19], v[38:39], v[42:43]
	v_fmac_f64_e32 v[16:17], v[40:41], v[42:43]
	ds_load_2addr_b64 v[38:41], v36 offset0:32 offset1:48
	s_wait_dscnt 0x0
	v_fmac_f64_e32 v[24:25], v[38:39], v[32:33]
	v_fmac_f64_e32 v[20:21], v[40:41], v[32:33]
	v_fmac_f64_e32 v[18:19], v[38:39], v[44:45]
	v_fmac_f64_e32 v[16:17], v[40:41], v[44:45]
	ds_load_2addr_b64 v[30:33], v36 offset0:64 offset1:80
	s_wait_dscnt 0x0
	v_fmac_f64_e32 v[24:25], v[30:31], v[46:47]
	v_fmac_f64_e32 v[20:21], v[32:33], v[46:47]
	;; [unrolled: 6-line block ×3, first 2 shown]
	v_fmac_f64_e32 v[18:19], v[30:31], v[52:53]
	v_fmac_f64_e32 v[16:17], v[32:33], v[52:53]
	ds_load_b128 v[30:33], v37 offset:32
	ds_load_2addr_b64 v[38:41], v36 offset0:128 offset1:144
	ds_load_b128 v[42:45], v37 offset:1056
	ds_load_b128 v[46:49], v37 offset:48
	;; [unrolled: 1-line block ×3, first 2 shown]
	s_wait_dscnt 0x3
	v_fmac_f64_e32 v[24:25], v[38:39], v[30:31]
	v_fmac_f64_e32 v[20:21], v[40:41], v[30:31]
	s_wait_dscnt 0x2
	v_fmac_f64_e32 v[18:19], v[38:39], v[42:43]
	v_fmac_f64_e32 v[16:17], v[40:41], v[42:43]
	ds_load_2addr_b64 v[38:41], v36 offset0:160 offset1:176
	s_wait_dscnt 0x0
	v_fmac_f64_e32 v[24:25], v[38:39], v[32:33]
	v_fmac_f64_e32 v[20:21], v[40:41], v[32:33]
	;; [unrolled: 1-line block ×4, first 2 shown]
	ds_load_2addr_b64 v[30:33], v36 offset0:192 offset1:208
	s_wait_dscnt 0x0
	v_fmac_f64_e32 v[24:25], v[30:31], v[46:47]
	v_fmac_f64_e32 v[20:21], v[32:33], v[46:47]
	;; [unrolled: 1-line block ×4, first 2 shown]
	ds_load_2addr_b64 v[30:33], v36 offset0:224 offset1:240
	s_wait_dscnt 0x0
	s_barrier_signal -1
	s_barrier_wait -1
	v_fmac_f64_e32 v[24:25], v[30:31], v[48:49]
	v_fmac_f64_e32 v[20:21], v[32:33], v[48:49]
	;; [unrolled: 1-line block ×4, first 2 shown]
	s_cbranch_scc0 .LBB359_13
.LBB359_9:                              ;   Parent Loop BB359_6 Depth=1
                                        ; =>  This Inner Loop Header: Depth=2
	v_add_nc_u32_e32 v2, s24, v34
	v_mov_b64_e32 v[30:31], 0
	s_delay_alu instid0(VALU_DEP_2) | instskip(SKIP_1) | instid1(SALU_CYCLE_1)
	v_cmp_gt_i32_e32 vcc_lo, s5, v2
	s_and_b32 s26, s0, vcc_lo
	s_and_saveexec_b32 s25, s26
	s_cbranch_execz .LBB359_11
; %bb.10:                               ;   in Loop: Header=BB359_9 Depth=2
	flat_load_b64 v[30:31], v[26:27]
.LBB359_11:                             ;   in Loop: Header=BB359_9 Depth=2
	s_wait_xcnt 0x0
	s_or_b32 exec_lo, exec_lo, s25
	v_add_nc_u32_e32 v2, s24, v0
	v_mov_b64_e32 v[32:33], 0
	s_wait_loadcnt_dscnt 0x0
	ds_store_b64 v1, v[30:31]
	v_cmp_gt_i32_e32 vcc_lo, s5, v2
	s_and_b32 s26, vcc_lo, s1
	s_delay_alu instid0(SALU_CYCLE_1)
	s_and_saveexec_b32 s25, s26
	s_cbranch_execz .LBB359_8
; %bb.12:                               ;   in Loop: Header=BB359_9 Depth=2
	flat_load_b64 v[32:33], v[28:29]
	s_branch .LBB359_8
.LBB359_13:                             ;   in Loop: Header=BB359_6 Depth=1
	s_wait_loadcnt 0x0
	v_add_nc_u64_e32 v[22:23], s[8:9], v[22:23]
	s_delay_alu instid0(VALU_DEP_1)
	v_lshl_add_u64 v[26:27], v[6:7], 3, v[22:23]
	s_wait_xcnt 0x0
	s_and_saveexec_b32 s24, s28
	s_cbranch_execz .LBB359_17
; %bb.14:                               ;   in Loop: Header=BB359_6 Depth=1
	v_mul_f64_e32 v[24:25], s[12:13], v[24:25]
	v_lshl_add_u64 v[28:29], v[4:5], 3, v[26:27]
	s_and_b32 vcc_lo, exec_lo, s22
	s_cbranch_vccz .LBB359_28
; %bb.15:                               ;   in Loop: Header=BB359_6 Depth=1
	flat_load_b64 v[30:31], v[28:29]
	s_wait_loadcnt_dscnt 0x0
	v_fma_f64 v[30:31], s[10:11], v[30:31], v[24:25]
	flat_store_b64 v[28:29], v[30:31]
	s_cbranch_execnz .LBB359_17
.LBB359_16:                             ;   in Loop: Header=BB359_6 Depth=1
	flat_store_b64 v[28:29], v[24:25]
.LBB359_17:                             ;   in Loop: Header=BB359_6 Depth=1
	s_wait_xcnt 0x0
	s_or_b32 exec_lo, exec_lo, s24
	s_and_saveexec_b32 s24, s29
	s_cbranch_execz .LBB359_21
; %bb.18:                               ;   in Loop: Header=BB359_6 Depth=1
	v_mul_f64_e32 v[20:21], s[12:13], v[20:21]
	v_lshl_add_u64 v[24:25], v[10:11], 3, v[26:27]
	s_and_not1_b32 vcc_lo, exec_lo, s22
	s_cbranch_vccnz .LBB359_29
; %bb.19:                               ;   in Loop: Header=BB359_6 Depth=1
	flat_load_b64 v[26:27], v[24:25]
	s_wait_loadcnt_dscnt 0x0
	v_fma_f64 v[26:27], s[10:11], v[26:27], v[20:21]
	flat_store_b64 v[24:25], v[26:27]
	s_cbranch_execnz .LBB359_21
.LBB359_20:                             ;   in Loop: Header=BB359_6 Depth=1
	flat_store_b64 v[24:25], v[20:21]
.LBB359_21:                             ;   in Loop: Header=BB359_6 Depth=1
	s_wait_xcnt 0x0
	s_or_b32 exec_lo, exec_lo, s24
	v_lshl_add_u64 v[20:21], v[8:9], 3, v[22:23]
	s_and_saveexec_b32 s24, s16
	s_cbranch_execz .LBB359_25
; %bb.22:                               ;   in Loop: Header=BB359_6 Depth=1
	v_mul_f64_e32 v[18:19], s[12:13], v[18:19]
	s_delay_alu instid0(VALU_DEP_2)
	v_lshl_add_u64 v[22:23], v[4:5], 3, v[20:21]
	s_and_not1_b32 vcc_lo, exec_lo, s22
	s_cbranch_vccnz .LBB359_30
; %bb.23:                               ;   in Loop: Header=BB359_6 Depth=1
	flat_load_b64 v[24:25], v[22:23]
	s_wait_loadcnt_dscnt 0x0
	v_fma_f64 v[24:25], s[10:11], v[24:25], v[18:19]
	flat_store_b64 v[22:23], v[24:25]
	s_cbranch_execnz .LBB359_25
.LBB359_24:                             ;   in Loop: Header=BB359_6 Depth=1
	flat_store_b64 v[22:23], v[18:19]
.LBB359_25:                             ;   in Loop: Header=BB359_6 Depth=1
	s_wait_xcnt 0x0
	s_or_b32 exec_lo, exec_lo, s24
	s_and_saveexec_b32 s24, s4
	s_cbranch_execz .LBB359_5
; %bb.26:                               ;   in Loop: Header=BB359_6 Depth=1
	s_delay_alu instid0(VALU_DEP_4)
	v_mul_f64_e32 v[16:17], s[12:13], v[16:17]
	v_lshl_add_u64 v[18:19], v[10:11], 3, v[20:21]
	s_and_not1_b32 vcc_lo, exec_lo, s22
	s_cbranch_vccnz .LBB359_31
; %bb.27:                               ;   in Loop: Header=BB359_6 Depth=1
	flat_load_b64 v[20:21], v[18:19]
	s_wait_loadcnt_dscnt 0x0
	v_fma_f64 v[20:21], s[10:11], v[20:21], v[16:17]
	flat_store_b64 v[18:19], v[20:21]
	s_cbranch_execnz .LBB359_5
	s_branch .LBB359_32
.LBB359_28:                             ;   in Loop: Header=BB359_6 Depth=1
	s_branch .LBB359_16
.LBB359_29:                             ;   in Loop: Header=BB359_6 Depth=1
	s_branch .LBB359_20
.LBB359_30:                             ;   in Loop: Header=BB359_6 Depth=1
	s_branch .LBB359_24
.LBB359_31:                             ;   in Loop: Header=BB359_6 Depth=1
.LBB359_32:                             ;   in Loop: Header=BB359_6 Depth=1
	flat_store_b64 v[18:19], v[16:17]
	s_branch .LBB359_5
.LBB359_33:
	s_endpgm
	.section	.rodata,"a",@progbits
	.p2align	6, 0x0
	.amdhsa_kernel _ZL29rocblas_internal_gemmt_kernelIiLi16ELi32ELi8ELc67ELc67ELc76ELb0ELb0EddPKPKdPKPdEviT_T9_T10_S7_lS9_S7_lS8_T11_S7_li
		.amdhsa_group_segment_fixed_size 4096
		.amdhsa_private_segment_fixed_size 0
		.amdhsa_kernarg_size 100
		.amdhsa_user_sgpr_count 2
		.amdhsa_user_sgpr_dispatch_ptr 0
		.amdhsa_user_sgpr_queue_ptr 0
		.amdhsa_user_sgpr_kernarg_segment_ptr 1
		.amdhsa_user_sgpr_dispatch_id 0
		.amdhsa_user_sgpr_kernarg_preload_length 0
		.amdhsa_user_sgpr_kernarg_preload_offset 0
		.amdhsa_user_sgpr_private_segment_size 0
		.amdhsa_wavefront_size32 1
		.amdhsa_uses_dynamic_stack 0
		.amdhsa_enable_private_segment 0
		.amdhsa_system_sgpr_workgroup_id_x 1
		.amdhsa_system_sgpr_workgroup_id_y 1
		.amdhsa_system_sgpr_workgroup_id_z 1
		.amdhsa_system_sgpr_workgroup_info 0
		.amdhsa_system_vgpr_workitem_id 1
		.amdhsa_next_free_vgpr 54
		.amdhsa_next_free_sgpr 34
		.amdhsa_named_barrier_count 0
		.amdhsa_reserve_vcc 1
		.amdhsa_float_round_mode_32 0
		.amdhsa_float_round_mode_16_64 0
		.amdhsa_float_denorm_mode_32 3
		.amdhsa_float_denorm_mode_16_64 3
		.amdhsa_fp16_overflow 0
		.amdhsa_memory_ordered 1
		.amdhsa_forward_progress 1
		.amdhsa_inst_pref_size 14
		.amdhsa_round_robin_scheduling 0
		.amdhsa_exception_fp_ieee_invalid_op 0
		.amdhsa_exception_fp_denorm_src 0
		.amdhsa_exception_fp_ieee_div_zero 0
		.amdhsa_exception_fp_ieee_overflow 0
		.amdhsa_exception_fp_ieee_underflow 0
		.amdhsa_exception_fp_ieee_inexact 0
		.amdhsa_exception_int_div_zero 0
	.end_amdhsa_kernel
	.section	.text._ZL29rocblas_internal_gemmt_kernelIiLi16ELi32ELi8ELc67ELc67ELc76ELb0ELb0EddPKPKdPKPdEviT_T9_T10_S7_lS9_S7_lS8_T11_S7_li,"axG",@progbits,_ZL29rocblas_internal_gemmt_kernelIiLi16ELi32ELi8ELc67ELc67ELc76ELb0ELb0EddPKPKdPKPdEviT_T9_T10_S7_lS9_S7_lS8_T11_S7_li,comdat
.Lfunc_end359:
	.size	_ZL29rocblas_internal_gemmt_kernelIiLi16ELi32ELi8ELc67ELc67ELc76ELb0ELb0EddPKPKdPKPdEviT_T9_T10_S7_lS9_S7_lS8_T11_S7_li, .Lfunc_end359-_ZL29rocblas_internal_gemmt_kernelIiLi16ELi32ELi8ELc67ELc67ELc76ELb0ELb0EddPKPKdPKPdEviT_T9_T10_S7_lS9_S7_lS8_T11_S7_li
                                        ; -- End function
	.set _ZL29rocblas_internal_gemmt_kernelIiLi16ELi32ELi8ELc67ELc67ELc76ELb0ELb0EddPKPKdPKPdEviT_T9_T10_S7_lS9_S7_lS8_T11_S7_li.num_vgpr, 54
	.set _ZL29rocblas_internal_gemmt_kernelIiLi16ELi32ELi8ELc67ELc67ELc76ELb0ELb0EddPKPKdPKPdEviT_T9_T10_S7_lS9_S7_lS8_T11_S7_li.num_agpr, 0
	.set _ZL29rocblas_internal_gemmt_kernelIiLi16ELi32ELi8ELc67ELc67ELc76ELb0ELb0EddPKPKdPKPdEviT_T9_T10_S7_lS9_S7_lS8_T11_S7_li.numbered_sgpr, 34
	.set _ZL29rocblas_internal_gemmt_kernelIiLi16ELi32ELi8ELc67ELc67ELc76ELb0ELb0EddPKPKdPKPdEviT_T9_T10_S7_lS9_S7_lS8_T11_S7_li.num_named_barrier, 0
	.set _ZL29rocblas_internal_gemmt_kernelIiLi16ELi32ELi8ELc67ELc67ELc76ELb0ELb0EddPKPKdPKPdEviT_T9_T10_S7_lS9_S7_lS8_T11_S7_li.private_seg_size, 0
	.set _ZL29rocblas_internal_gemmt_kernelIiLi16ELi32ELi8ELc67ELc67ELc76ELb0ELb0EddPKPKdPKPdEviT_T9_T10_S7_lS9_S7_lS8_T11_S7_li.uses_vcc, 1
	.set _ZL29rocblas_internal_gemmt_kernelIiLi16ELi32ELi8ELc67ELc67ELc76ELb0ELb0EddPKPKdPKPdEviT_T9_T10_S7_lS9_S7_lS8_T11_S7_li.uses_flat_scratch, 0
	.set _ZL29rocblas_internal_gemmt_kernelIiLi16ELi32ELi8ELc67ELc67ELc76ELb0ELb0EddPKPKdPKPdEviT_T9_T10_S7_lS9_S7_lS8_T11_S7_li.has_dyn_sized_stack, 0
	.set _ZL29rocblas_internal_gemmt_kernelIiLi16ELi32ELi8ELc67ELc67ELc76ELb0ELb0EddPKPKdPKPdEviT_T9_T10_S7_lS9_S7_lS8_T11_S7_li.has_recursion, 0
	.set _ZL29rocblas_internal_gemmt_kernelIiLi16ELi32ELi8ELc67ELc67ELc76ELb0ELb0EddPKPKdPKPdEviT_T9_T10_S7_lS9_S7_lS8_T11_S7_li.has_indirect_call, 0
	.section	.AMDGPU.csdata,"",@progbits
; Kernel info:
; codeLenInByte = 1668
; TotalNumSgprs: 36
; NumVgprs: 54
; ScratchSize: 0
; MemoryBound: 0
; FloatMode: 240
; IeeeMode: 1
; LDSByteSize: 4096 bytes/workgroup (compile time only)
; SGPRBlocks: 0
; VGPRBlocks: 3
; NumSGPRsForWavesPerEU: 36
; NumVGPRsForWavesPerEU: 54
; NamedBarCnt: 0
; Occupancy: 16
; WaveLimiterHint : 1
; COMPUTE_PGM_RSRC2:SCRATCH_EN: 0
; COMPUTE_PGM_RSRC2:USER_SGPR: 2
; COMPUTE_PGM_RSRC2:TRAP_HANDLER: 0
; COMPUTE_PGM_RSRC2:TGID_X_EN: 1
; COMPUTE_PGM_RSRC2:TGID_Y_EN: 1
; COMPUTE_PGM_RSRC2:TGID_Z_EN: 1
; COMPUTE_PGM_RSRC2:TIDIG_COMP_CNT: 1
	.section	.text._ZL29rocblas_internal_gemmt_kernelIiLi16ELi32ELi8ELc78ELc78ELc85ELb0ELb0E19rocblas_complex_numIfEPKS1_PKS3_PKPS1_EviT_T9_T10_S9_lSB_S9_lSA_T11_S9_li,"axG",@progbits,_ZL29rocblas_internal_gemmt_kernelIiLi16ELi32ELi8ELc78ELc78ELc85ELb0ELb0E19rocblas_complex_numIfEPKS1_PKS3_PKPS1_EviT_T9_T10_S9_lSB_S9_lSA_T11_S9_li,comdat
	.globl	_ZL29rocblas_internal_gemmt_kernelIiLi16ELi32ELi8ELc78ELc78ELc85ELb0ELb0E19rocblas_complex_numIfEPKS1_PKS3_PKPS1_EviT_T9_T10_S9_lSB_S9_lSA_T11_S9_li ; -- Begin function _ZL29rocblas_internal_gemmt_kernelIiLi16ELi32ELi8ELc78ELc78ELc85ELb0ELb0E19rocblas_complex_numIfEPKS1_PKS3_PKPS1_EviT_T9_T10_S9_lSB_S9_lSA_T11_S9_li
	.p2align	8
	.type	_ZL29rocblas_internal_gemmt_kernelIiLi16ELi32ELi8ELc78ELc78ELc85ELb0ELb0E19rocblas_complex_numIfEPKS1_PKS3_PKPS1_EviT_T9_T10_S9_lSB_S9_lSA_T11_S9_li,@function
_ZL29rocblas_internal_gemmt_kernelIiLi16ELi32ELi8ELc78ELc78ELc85ELb0ELb0E19rocblas_complex_numIfEPKS1_PKS3_PKPS1_EviT_T9_T10_S9_lSB_S9_lSA_T11_S9_li: ; @_ZL29rocblas_internal_gemmt_kernelIiLi16ELi32ELi8ELc78ELc78ELc85ELb0ELb0E19rocblas_complex_numIfEPKS1_PKS3_PKPS1_EviT_T9_T10_S9_lSB_S9_lSA_T11_S9_li
; %bb.0:
	s_load_b128 s[12:15], s[0:1], 0x38
	s_wait_kmcnt 0x0
	s_load_b64 s[20:21], s[14:15], 0x0
	s_clause 0x1
	s_load_b128 s[4:7], s[0:1], 0x8
	s_load_b64 s[22:23], s[0:1], 0x0
	s_wait_kmcnt 0x0
	s_cmp_neq_f32 s20, 1.0
	s_load_b64 s[14:15], s[4:5], 0x0
	s_cselect_b32 s2, -1, 0
	s_and_b32 s3, s21, 0x7fffffff
	s_delay_alu instid0(SALU_CYCLE_1) | instskip(SKIP_3) | instid1(SALU_CYCLE_1)
	s_cmp_eq_u32 s3, 0
	s_cselect_b32 s30, -1, 0
	s_cmp_lg_u32 s3, 0
	s_cselect_b32 s3, -1, 0
	s_or_b32 s2, s2, s3
	s_delay_alu instid0(SALU_CYCLE_1)
	s_and_b32 vcc_lo, exec_lo, s2
	s_cbranch_vccnz .LBB360_2
; %bb.1:
	s_cmp_lg_u32 s23, 0
	s_cselect_b32 s2, -1, 0
	s_wait_kmcnt 0x0
	s_cmp_neq_f32 s14, 0
	s_cselect_b32 s3, -1, 0
	s_cmp_neq_f32 s15, 0
	s_cselect_b32 s4, -1, 0
	s_delay_alu instid0(SALU_CYCLE_1) | instskip(NEXT) | instid1(SALU_CYCLE_1)
	s_or_b32 s3, s3, s4
	s_and_b32 s2, s2, s3
.LBB360_2:
	s_delay_alu instid0(SALU_CYCLE_1)
	s_and_not1_b32 vcc_lo, exec_lo, s2
	s_cbranch_vccnz .LBB360_33
; %bb.3:
	s_load_b32 s19, s[0:1], 0x60
	s_bfe_u32 s2, ttmp6, 0x40014
	s_lshr_b32 s3, ttmp7, 16
	s_add_co_i32 s2, s2, 1
	s_wait_xcnt 0x0
	s_bfe_u32 s5, ttmp6, 0x40008
	s_mul_i32 s2, s3, s2
	s_getreg_b32 s4, hwreg(HW_REG_IB_STS2, 6, 4)
	s_add_co_i32 s5, s5, s2
	s_cmp_eq_u32 s4, 0
	s_mov_b32 s25, 0
	s_cselect_b32 s24, s3, s5
	s_wait_kmcnt 0x0
	s_cmp_ge_u32 s24, s19
	s_cbranch_scc1 .LBB360_33
; %bb.4:
	s_clause 0x3
	s_load_b32 s26, s[0:1], 0x18
	s_load_b32 s2, s[0:1], 0x30
	s_load_b96 s[16:18], s[0:1], 0x48
	s_load_b128 s[8:11], s[0:1], 0x20
	v_and_b32_e32 v4, 0x3ff, v0
	v_bfe_u32 v7, v0, 10, 10
	s_load_b64 s[28:29], s[0:1], 0x58
	s_wait_xcnt 0x0
	s_bfe_u32 s1, ttmp6, 0x4000c
	s_bfe_u32 s3, ttmp6, 0x40010
	s_and_b32 s31, ttmp7, 0xffff
	s_add_co_i32 s1, s1, 1
	s_add_co_i32 s3, s3, 1
	v_lshl_add_u32 v1, v7, 4, v4
	s_and_b32 s0, ttmp6, 15
	s_bfe_u32 s5, ttmp6, 0x40004
	s_mul_i32 s1, ttmp9, s1
	s_mul_i32 s3, s31, s3
	s_add_co_i32 s0, s0, s1
	s_add_co_i32 s1, s5, s3
	v_dual_lshrrev_b32 v2, 5, v1 :: v_dual_lshrrev_b32 v5, 3, v1
	s_wait_kmcnt 0x0
	s_ashr_i32 s27, s26, 31
	s_ashr_i32 s3, s2, 31
	;; [unrolled: 1-line block ×3, first 2 shown]
	s_cmp_eq_u32 s4, 0
	v_dual_mov_b32 v3, 0 :: v_dual_bitop2_b32 v1, 31, v1 bitop3:0x40
	s_cselect_b32 s0, ttmp9, s0
	s_cselect_b32 s1, s31, s1
	s_lshl_b32 s31, s0, 5
	s_lshl_b32 s1, s1, 5
	s_delay_alu instid0(SALU_CYCLE_1) | instskip(SKIP_2) | instid1(VALU_DEP_3)
	v_dual_add_nc_u32 v0, s1, v5 :: v_dual_bitop2_b32 v21, 7, v0 bitop3:0x40
	v_dual_lshlrev_b32 v1, 3, v1 :: v_dual_bitop2_b32 v10, s31, v1 bitop3:0x54
	v_dual_add_nc_u32 v16, s1, v7 :: v_dual_lshlrev_b32 v27, 3, v4
	v_lshlrev_b32_e32 v12, 3, v21
	v_mul_u64_e32 v[14:15], s[26:27], v[2:3]
	s_delay_alu instid0(VALU_DEP_4) | instskip(SKIP_4) | instid1(VALU_DEP_3)
	v_lshl_or_b32 v23, v2, 8, v1
	v_ashrrev_i32_e32 v1, 31, v0
	v_dual_add_nc_u32 v28, 16, v16 :: v_dual_ashrrev_i32 v17, 31, v16
	s_cmp_neq_f32 s14, 0
	v_lshl_or_b32 v5, v5, 6, v12
	v_mul_u64_e32 v[18:19], s[2:3], v[0:1]
	s_delay_alu instid0(VALU_DEP_3)
	v_dual_ashrrev_i32 v29, 31, v28 :: v_dual_ashrrev_i32 v11, 31, v10
	s_cselect_b32 s0, -1, 0
	s_cmp_neq_f32 s15, 0
	s_mov_b32 s4, s18
	v_cmp_gt_i32_e64 s1, s22, v0
	v_add_nc_u32_e32 v25, 0x800, v5
	s_cselect_b32 s18, -1, 0
	v_add_nc_u32_e32 v0, s31, v4
	v_mul_u64_e32 v[4:5], s[4:5], v[16:17]
	v_mul_u64_e32 v[8:9], s[4:5], v[28:29]
	s_or_b32 s34, s0, s18
	s_cmp_gt_i32 s23, 0
	v_add_nc_u32_e32 v6, 16, v0
	s_cselect_b32 s35, -1, 0
	s_cmp_neq_f32 s20, 0
	v_lshl_add_u32 v29, v7, 6, 0x800
	v_cmp_gt_i32_e32 vcc_lo, s22, v16
	v_ashrrev_i32_e32 v7, 31, v6
	s_cselect_b32 s3, -1, 0
	s_xor_b32 s4, s30, -1
	v_ashrrev_i32_e32 v1, 31, v0
	s_or_b32 s18, s3, s4
	v_cmp_gt_i32_e64 s3, s22, v28
	v_cmp_le_i32_e64 s4, v0, v28
	v_cmp_le_i32_e64 s5, v6, v28
	;; [unrolled: 1-line block ×3, first 2 shown]
	v_mov_b32_e32 v13, v3
	v_cmp_gt_i32_e64 s0, s22, v10
	s_and_b32 s31, s3, s4
	s_and_b32 s33, s3, s5
	s_lshl_b64 s[4:5], s[8:9], 3
	s_and_b32 s30, vcc_lo, s2
	v_lshl_add_u64 v[14:15], v[14:15], 3, s[4:5]
	s_lshl_b64 s[4:5], s[12:13], 3
	v_cmp_le_i32_e64 s2, v6, v16
	v_lshl_add_u64 v[16:17], v[18:19], 3, s[4:5]
	s_mov_b32 s3, s20
	v_lshl_add_u64 v[10:11], v[10:11], 3, v[14:15]
	s_mov_b32 s4, s15
	s_and_b32 s22, vcc_lo, s2
	v_add_nc_u64_e32 v[12:13], v[16:17], v[12:13]
	s_mov_b32 s2, s20
	s_mov_b32 s20, s21
	s_and_b32 s34, s34, s35
	s_mov_b32 s5, s14
	s_lshl_b64 s[8:9], s[26:27], 6
	s_lshl_b64 s[12:13], s[28:29], 3
	s_branch .LBB360_6
.LBB360_5:                              ;   in Loop: Header=BB360_6 Depth=1
	s_wait_xcnt 0x0
	s_or_b32 exec_lo, exec_lo, s26
	s_add_co_i32 s24, s24, 0x10000
	s_delay_alu instid0(SALU_CYCLE_1)
	s_cmp_lt_u32 s24, s19
	s_cbranch_scc0 .LBB360_33
.LBB360_6:                              ; =>This Loop Header: Depth=1
                                        ;     Child Loop BB360_9 Depth 2
	v_dual_mov_b32 v14, s24 :: v_dual_mov_b32 v32, 0
	v_dual_mov_b32 v34, 0 :: v_dual_mov_b32 v28, 0
	;; [unrolled: 1-line block ×3, first 2 shown]
	global_load_b64 v[14:15], v14, s[16:17] scale_offset
	v_dual_mov_b32 v26, 0 :: v_dual_mov_b32 v20, 0
	v_mov_b32_e32 v22, 0
	s_and_not1_b32 vcc_lo, exec_lo, s34
	s_cbranch_vccnz .LBB360_13
; %bb.7:                                ;   in Loop: Header=BB360_6 Depth=1
	s_lshl_b64 s[26:27], s[24:25], 3
	v_dual_mov_b32 v22, 0 :: v_dual_mov_b32 v20, 0
	s_add_nc_u64 s[28:29], s[6:7], s[26:27]
	s_add_nc_u64 s[26:27], s[10:11], s[26:27]
	s_clause 0x1
	global_load_b64 v[16:17], v3, s[28:29]
	global_load_b64 v[18:19], v3, s[26:27]
	v_dual_mov_b32 v26, 0 :: v_dual_mov_b32 v24, 0
	v_dual_mov_b32 v30, 0 :: v_dual_mov_b32 v28, 0
	;; [unrolled: 1-line block ×3, first 2 shown]
	s_wait_xcnt 0x0
	s_mov_b32 s26, 0
	s_wait_loadcnt 0x1
	v_add_nc_u64_e32 v[16:17], v[16:17], v[10:11]
	s_wait_loadcnt 0x0
	v_add_nc_u64_e32 v[18:19], v[18:19], v[12:13]
	s_branch .LBB360_9
.LBB360_8:                              ;   in Loop: Header=BB360_9 Depth=2
	s_wait_xcnt 0x0
	s_or_b32 exec_lo, exec_lo, s27
	s_wait_loadcnt_dscnt 0x0
	ds_store_b64 v25, v[38:39]
	s_wait_dscnt 0x0
	s_barrier_signal -1
	s_barrier_wait -1
	ds_load_b128 v[36:39], v29
	ds_load_2addr_b64 v[40:43], v27 offset1:16
	ds_load_b128 v[44:47], v29 offset:1024
	ds_load_b128 v[48:51], v29 offset:16
	ds_load_2addr_b64 v[52:55], v27 offset0:32 offset1:48
	ds_load_b128 v[56:59], v29 offset:32
	ds_load_b128 v[60:63], v29 offset:48
	;; [unrolled: 1-line block ×3, first 2 shown]
	v_add_nc_u64_e32 v[16:17], s[8:9], v[16:17]
	v_add_nc_u64_e32 v[18:19], 64, v[18:19]
	s_add_co_i32 s26, s26, 8
	s_delay_alu instid0(SALU_CYCLE_1)
	s_cmp_lt_i32 s26, s23
	s_wait_dscnt 0x6
	v_dual_mul_f32 v31, v37, v41 :: v_dual_mul_f32 v33, v36, v41
	v_dual_mul_f32 v35, v37, v43 :: v_dual_mul_f32 v68, v36, v43
	s_wait_dscnt 0x5
	v_dual_mul_f32 v69, v45, v41 :: v_dual_mul_f32 v41, v44, v41
	v_dual_mul_f32 v70, v45, v43 :: v_dual_mul_f32 v43, v44, v43
	v_dual_fma_f32 v31, v36, v40, -v31 :: v_dual_fmac_f32 v33, v37, v40
	v_dual_fma_f32 v35, v36, v42, -v35 :: v_dual_fmac_f32 v68, v37, v42
	s_delay_alu instid0(VALU_DEP_3) | instskip(NEXT) | instid1(VALU_DEP_3)
	v_dual_fma_f32 v36, v44, v40, -v69 :: v_dual_fma_f32 v37, v44, v42, -v70
	v_dual_fmac_f32 v41, v45, v40 :: v_dual_add_f32 v40, v32, v31
	s_delay_alu instid0(VALU_DEP_3) | instskip(NEXT) | instid1(VALU_DEP_4)
	v_dual_add_f32 v34, v34, v33 :: v_dual_add_f32 v28, v28, v35
	v_add_f32_e32 v35, v30, v68
	s_delay_alu instid0(VALU_DEP_3)
	v_dual_add_f32 v24, v24, v36 :: v_dual_add_f32 v26, v26, v41
	s_wait_dscnt 0x3
	v_mul_f32_e32 v36, v39, v53
	ds_load_2addr_b64 v[30:33], v27 offset0:64 offset1:80
	v_dual_fmac_f32 v43, v45, v42 :: v_dual_add_f32 v20, v20, v37
	v_dual_mul_f32 v37, v38, v53 :: v_dual_fma_f32 v36, v38, v52, -v36
	v_mul_f32_e32 v41, v39, v55
	s_delay_alu instid0(VALU_DEP_2) | instskip(NEXT) | instid1(VALU_DEP_3)
	v_dual_add_f32 v22, v22, v43 :: v_dual_fmac_f32 v37, v39, v52
	v_dual_mul_f32 v42, v38, v55 :: v_dual_add_f32 v40, v40, v36
	s_delay_alu instid0(VALU_DEP_3) | instskip(NEXT) | instid1(VALU_DEP_2)
	v_dual_fma_f32 v36, v38, v54, -v41 :: v_dual_mul_f32 v38, v47, v53
	v_dual_add_f32 v41, v34, v37 :: v_dual_fmac_f32 v42, v39, v54
	s_delay_alu instid0(VALU_DEP_2) | instskip(NEXT) | instid1(VALU_DEP_3)
	v_dual_mul_f32 v34, v46, v53 :: v_dual_add_f32 v28, v28, v36
	v_dual_mul_f32 v37, v47, v55 :: v_dual_fma_f32 v36, v46, v52, -v38
	s_delay_alu instid0(VALU_DEP_3) | instskip(NEXT) | instid1(VALU_DEP_3)
	v_add_f32_e32 v38, v35, v42
	v_dual_fmac_f32 v34, v47, v52 :: v_dual_mul_f32 v39, v46, v55
	s_delay_alu instid0(VALU_DEP_3) | instskip(SKIP_1) | instid1(VALU_DEP_2)
	v_dual_fma_f32 v35, v46, v54, -v37 :: v_dual_add_f32 v24, v24, v36
	s_wait_dscnt 0x0
	v_dual_mul_f32 v36, v49, v31 :: v_dual_add_f32 v26, v26, v34
	s_delay_alu instid0(VALU_DEP_3) | instskip(NEXT) | instid1(VALU_DEP_3)
	v_dual_fmac_f32 v39, v47, v54 :: v_dual_mul_f32 v42, v48, v31
	v_dual_add_f32 v20, v20, v35 :: v_dual_mul_f32 v44, v49, v33
	s_delay_alu instid0(VALU_DEP_3) | instskip(SKIP_4) | instid1(VALU_DEP_3)
	v_fma_f32 v43, v48, v30, -v36
	ds_load_2addr_b64 v[34:37], v27 offset0:96 offset1:112
	v_dual_fmac_f32 v42, v49, v30 :: v_dual_add_f32 v22, v22, v39
	v_add_f32_e32 v39, v40, v43
	v_dual_fma_f32 v43, v48, v32, -v44 :: v_dual_mul_f32 v40, v48, v33
	v_add_f32_e32 v41, v41, v42
	v_dual_mul_f32 v42, v65, v31 :: v_dual_mul_f32 v31, v64, v31
	s_delay_alu instid0(VALU_DEP_3) | instskip(NEXT) | instid1(VALU_DEP_2)
	v_dual_add_f32 v28, v28, v43 :: v_dual_mul_f32 v43, v65, v33
	v_dual_fmac_f32 v40, v49, v32 :: v_dual_fma_f32 v42, v64, v30, -v42
	s_delay_alu instid0(VALU_DEP_3) | instskip(NEXT) | instid1(VALU_DEP_3)
	v_dual_fmac_f32 v31, v65, v30 :: v_dual_mul_f32 v44, v64, v33
	v_fma_f32 v30, v64, v32, -v43
	s_delay_alu instid0(VALU_DEP_3) | instskip(NEXT) | instid1(VALU_DEP_3)
	v_dual_add_f32 v45, v38, v40 :: v_dual_add_f32 v24, v24, v42
	v_dual_add_f32 v26, v26, v31 :: v_dual_fmac_f32 v44, v65, v32
	s_wait_dscnt 0x0
	s_delay_alu instid0(VALU_DEP_3) | instskip(SKIP_3) | instid1(VALU_DEP_2)
	v_dual_mul_f32 v38, v51, v35 :: v_dual_add_f32 v20, v20, v30
	ds_load_2addr_b64 v[30:33], v27 offset0:128 offset1:144
	v_dual_mul_f32 v40, v50, v35 :: v_dual_mul_f32 v42, v51, v37
	v_dual_fma_f32 v38, v50, v34, -v38 :: v_dual_mul_f32 v43, v50, v37
	v_dual_fmac_f32 v40, v51, v34 :: v_dual_add_f32 v22, v22, v44
	s_delay_alu instid0(VALU_DEP_2) | instskip(NEXT) | instid1(VALU_DEP_2)
	v_dual_add_f32 v44, v39, v38 :: v_dual_fma_f32 v42, v50, v36, -v42
	v_dual_mul_f32 v38, v67, v35 :: v_dual_add_f32 v46, v41, v40
	s_delay_alu instid0(VALU_DEP_4) | instskip(NEXT) | instid1(VALU_DEP_3)
	v_dual_fmac_f32 v43, v51, v36 :: v_dual_mul_f32 v35, v66, v35
	v_add_f32_e32 v28, v28, v42
	s_delay_alu instid0(VALU_DEP_3) | instskip(NEXT) | instid1(VALU_DEP_3)
	v_dual_fma_f32 v42, v66, v34, -v38 :: v_dual_mul_f32 v47, v67, v37
	v_add_f32_e32 v48, v45, v43
	ds_load_b128 v[38:41], v29 offset:1056
	v_dual_fmac_f32 v35, v67, v34 :: v_dual_mul_f32 v43, v66, v37
	v_dual_fma_f32 v34, v66, v36, -v47 :: v_dual_add_f32 v24, v24, v42
	s_wait_dscnt 0x1
	v_mul_f32_e32 v37, v57, v31
	s_delay_alu instid0(VALU_DEP_3) | instskip(NEXT) | instid1(VALU_DEP_3)
	v_dual_add_f32 v26, v26, v35 :: v_dual_fmac_f32 v43, v67, v36
	v_add_f32_e32 v20, v20, v34
	s_delay_alu instid0(VALU_DEP_3) | instskip(SKIP_4) | instid1(VALU_DEP_3)
	v_dual_mul_f32 v47, v56, v31 :: v_dual_fma_f32 v42, v56, v30, -v37
	ds_load_2addr_b64 v[34:37], v27 offset0:160 offset1:176
	v_dual_mul_f32 v45, v57, v33 :: v_dual_add_f32 v22, v22, v43
	v_dual_fmac_f32 v47, v57, v30 :: v_dual_mul_f32 v50, v56, v33
	v_add_f32_e32 v49, v44, v42
	v_fma_f32 v51, v56, v32, -v45
	ds_load_b128 v[42:45], v29 offset:1072
	v_add_f32_e32 v46, v46, v47
	s_wait_dscnt 0x2
	v_dual_mul_f32 v52, v39, v31 :: v_dual_fmac_f32 v50, v57, v32
	v_mul_f32_e32 v31, v38, v31
	v_dual_add_f32 v28, v28, v51 :: v_dual_mul_f32 v51, v39, v33
	s_delay_alu instid0(VALU_DEP_3) | instskip(NEXT) | instid1(VALU_DEP_4)
	v_fma_f32 v47, v38, v30, -v52
	v_add_f32_e32 v48, v48, v50
	s_delay_alu instid0(VALU_DEP_4) | instskip(NEXT) | instid1(VALU_DEP_3)
	v_dual_fmac_f32 v31, v39, v30 :: v_dual_mul_f32 v50, v38, v33
	v_dual_fma_f32 v30, v38, v32, -v51 :: v_dual_add_f32 v24, v24, v47
	s_wait_dscnt 0x1
	v_dual_mul_f32 v33, v59, v35 :: v_dual_mul_f32 v38, v58, v35
	s_delay_alu instid0(VALU_DEP_3) | instskip(NEXT) | instid1(VALU_DEP_3)
	v_dual_add_f32 v26, v26, v31 :: v_dual_fmac_f32 v50, v39, v32
	v_dual_add_f32 v20, v20, v30 :: v_dual_mul_f32 v47, v59, v37
	s_delay_alu instid0(VALU_DEP_3)
	v_dual_fma_f32 v39, v58, v34, -v33 :: v_dual_fmac_f32 v38, v59, v34
	ds_load_2addr_b64 v[30:33], v27 offset0:192 offset1:208
	v_add_f32_e32 v22, v22, v50
	v_dual_fma_f32 v47, v58, v36, -v47 :: v_dual_add_f32 v49, v49, v39
	v_mul_f32_e32 v39, v58, v37
	v_dual_add_f32 v46, v46, v38 :: v_dual_mul_f32 v38, v41, v35
	v_mul_f32_e32 v35, v40, v35
	s_delay_alu instid0(VALU_DEP_4) | instskip(NEXT) | instid1(VALU_DEP_3)
	v_dual_add_f32 v28, v28, v47 :: v_dual_mul_f32 v47, v41, v37
	v_dual_fmac_f32 v39, v59, v36 :: v_dual_fma_f32 v38, v40, v34, -v38
	s_delay_alu instid0(VALU_DEP_1) | instskip(NEXT) | instid1(VALU_DEP_3)
	v_dual_fmac_f32 v35, v41, v34 :: v_dual_add_f32 v34, v48, v39
	v_dual_mul_f32 v48, v40, v37 :: v_dual_fma_f32 v37, v40, v36, -v47
	s_delay_alu instid0(VALU_DEP_2) | instskip(SKIP_2) | instid1(VALU_DEP_3)
	v_dual_add_f32 v24, v24, v38 :: v_dual_add_f32 v26, v26, v35
	s_wait_dscnt 0x0
	v_mul_f32_e32 v35, v61, v31
	v_dual_fmac_f32 v48, v41, v36 :: v_dual_add_f32 v20, v20, v37
	ds_load_2addr_b64 v[36:39], v27 offset0:224 offset1:240
	v_dual_mul_f32 v40, v60, v31 :: v_dual_fma_f32 v35, v60, v30, -v35
	v_dual_add_f32 v22, v22, v48 :: v_dual_mul_f32 v41, v61, v33
	s_delay_alu instid0(VALU_DEP_2) | instskip(NEXT) | instid1(VALU_DEP_3)
	v_dual_mul_f32 v47, v60, v33 :: v_dual_fmac_f32 v40, v61, v30
	v_add_f32_e32 v35, v49, v35
	s_delay_alu instid0(VALU_DEP_3) | instskip(NEXT) | instid1(VALU_DEP_3)
	v_dual_mul_f32 v48, v43, v31 :: v_dual_fma_f32 v41, v60, v32, -v41
	v_dual_fmac_f32 v47, v61, v32 :: v_dual_mul_f32 v31, v42, v31
	s_delay_alu instid0(VALU_DEP_4) | instskip(NEXT) | instid1(VALU_DEP_3)
	v_add_f32_e32 v40, v46, v40
	v_dual_fma_f32 v46, v42, v30, -v48 :: v_dual_add_f32 v28, v28, v41
	s_delay_alu instid0(VALU_DEP_3) | instskip(NEXT) | instid1(VALU_DEP_4)
	v_dual_mul_f32 v41, v43, v33 :: v_dual_add_f32 v47, v34, v47
	v_dual_fmac_f32 v31, v43, v30 :: v_dual_mul_f32 v30, v42, v33
	s_delay_alu instid0(VALU_DEP_2) | instskip(SKIP_2) | instid1(VALU_DEP_3)
	v_dual_add_f32 v24, v24, v46 :: v_dual_fma_f32 v33, v42, v32, -v41
	s_wait_dscnt 0x0
	v_dual_mul_f32 v34, v63, v37 :: v_dual_mul_f32 v41, v62, v37
	v_dual_add_f32 v26, v26, v31 :: v_dual_fmac_f32 v30, v43, v32
	s_delay_alu instid0(VALU_DEP_2) | instskip(NEXT) | instid1(VALU_DEP_3)
	v_dual_add_f32 v20, v20, v33 :: v_dual_fma_f32 v31, v62, v36, -v34
	v_dual_fmac_f32 v41, v63, v36 :: v_dual_mul_f32 v33, v63, v39
	v_mul_f32_e32 v42, v62, v39
	s_delay_alu instid0(VALU_DEP_3) | instskip(NEXT) | instid1(VALU_DEP_3)
	v_dual_add_f32 v22, v22, v30 :: v_dual_add_f32 v32, v35, v31
	v_dual_add_f32 v34, v40, v41 :: v_dual_fma_f32 v30, v62, v38, -v33
	s_delay_alu instid0(VALU_DEP_3) | instskip(SKIP_2) | instid1(VALU_DEP_4)
	v_dual_fmac_f32 v42, v63, v38 :: v_dual_mul_f32 v31, v45, v37
	v_dual_mul_f32 v33, v44, v37 :: v_dual_mul_f32 v35, v45, v39
	v_mul_f32_e32 v37, v44, v39
	v_add_f32_e32 v28, v28, v30
	s_delay_alu instid0(VALU_DEP_3) | instskip(NEXT) | instid1(VALU_DEP_3)
	v_dual_fma_f32 v31, v44, v36, -v31 :: v_dual_fmac_f32 v33, v45, v36
	v_dual_fma_f32 v35, v44, v38, -v35 :: v_dual_fmac_f32 v37, v45, v38
	s_delay_alu instid0(VALU_DEP_2) | instskip(NEXT) | instid1(VALU_DEP_2)
	v_dual_add_f32 v30, v47, v42 :: v_dual_add_f32 v24, v24, v31
	v_dual_add_f32 v26, v26, v33 :: v_dual_add_f32 v20, v20, v35
	s_delay_alu instid0(VALU_DEP_3)
	v_add_f32_e32 v22, v22, v37
	s_barrier_signal -1
	s_barrier_wait -1
	s_cbranch_scc0 .LBB360_13
.LBB360_9:                              ;   Parent Loop BB360_6 Depth=1
                                        ; =>  This Inner Loop Header: Depth=2
	v_dual_mov_b32 v36, 0 :: v_dual_add_nc_u32 v31, s26, v2
	v_mov_b32_e32 v37, 0
	s_delay_alu instid0(VALU_DEP_2) | instskip(SKIP_1) | instid1(SALU_CYCLE_1)
	v_cmp_gt_i32_e32 vcc_lo, s23, v31
	s_and_b32 s28, s0, vcc_lo
	s_and_saveexec_b32 s27, s28
	s_cbranch_execz .LBB360_11
; %bb.10:                               ;   in Loop: Header=BB360_9 Depth=2
	flat_load_b64 v[36:37], v[16:17]
.LBB360_11:                             ;   in Loop: Header=BB360_9 Depth=2
	s_wait_xcnt 0x0
	s_or_b32 exec_lo, exec_lo, s27
	v_dual_mov_b32 v38, 0 :: v_dual_add_nc_u32 v31, s26, v21
	v_mov_b32_e32 v39, 0
	s_wait_loadcnt_dscnt 0x0
	ds_store_b64 v23, v[36:37]
	v_cmp_gt_i32_e32 vcc_lo, s23, v31
	s_and_b32 s28, vcc_lo, s1
	s_delay_alu instid0(SALU_CYCLE_1)
	s_and_saveexec_b32 s27, s28
	s_cbranch_execz .LBB360_8
; %bb.12:                               ;   in Loop: Header=BB360_9 Depth=2
	flat_load_b64 v[38:39], v[18:19]
	s_branch .LBB360_8
.LBB360_13:                             ;   in Loop: Header=BB360_6 Depth=1
	s_wait_loadcnt 0x0
	s_wait_xcnt 0x0
	v_add_nc_u64_e32 v[14:15], s[12:13], v[14:15]
	s_delay_alu instid0(VALU_DEP_1)
	v_lshl_add_u64 v[16:17], v[4:5], 3, v[14:15]
	s_and_saveexec_b32 s26, s30
	s_cbranch_execz .LBB360_18
; %bb.14:                               ;   in Loop: Header=BB360_6 Depth=1
	v_mov_b64_e32 v[18:19], s[4:5]
	v_mov_b64_e32 v[36:37], s[14:15]
	s_and_b32 vcc_lo, exec_lo, s18
	s_mov_b32 s27, -1
	s_delay_alu instid0(VALU_DEP_2) | instskip(NEXT) | instid1(VALU_DEP_1)
	v_pk_mul_f32 v[18:19], v[34:35], v[18:19] op_sel_hi:[0,1]
	v_pk_fma_f32 v[34:35], v[32:33], v[36:37], v[18:19] op_sel_hi:[0,1,1]
	v_pk_fma_f32 v[18:19], v[32:33], v[36:37], v[18:19] neg_lo:[0,0,1] neg_hi:[0,0,1]
	v_lshl_add_u64 v[32:33], v[0:1], 3, v[16:17]
	s_delay_alu instid0(VALU_DEP_3)
	v_mov_b32_e32 v19, v35
	s_cbranch_vccz .LBB360_16
; %bb.15:                               ;   in Loop: Header=BB360_6 Depth=1
	flat_load_b64 v[34:35], v[32:33]
	v_mov_b64_e32 v[36:37], s[20:21]
	v_mov_b64_e32 v[38:39], s[2:3]
	s_mov_b32 s27, 0
	s_wait_loadcnt_dscnt 0x0
	s_delay_alu instid0(VALU_DEP_2) | instskip(NEXT) | instid1(VALU_DEP_1)
	v_pk_mul_f32 v[36:37], v[34:35], v[36:37]
	v_pk_fma_f32 v[40:41], v[34:35], v[38:39], v[36:37] op_sel:[0,0,1] op_sel_hi:[1,1,0]
	v_pk_fma_f32 v[34:35], v[34:35], v[38:39], v[36:37] op_sel:[0,0,1] op_sel_hi:[1,1,0] neg_lo:[0,0,1] neg_hi:[0,0,1]
	s_delay_alu instid0(VALU_DEP_2) | instskip(NEXT) | instid1(VALU_DEP_1)
	v_mov_b32_e32 v35, v41
	v_pk_add_f32 v[34:35], v[18:19], v[34:35]
	flat_store_b64 v[32:33], v[34:35]
.LBB360_16:                             ;   in Loop: Header=BB360_6 Depth=1
	s_and_not1_b32 vcc_lo, exec_lo, s27
	s_cbranch_vccnz .LBB360_18
; %bb.17:                               ;   in Loop: Header=BB360_6 Depth=1
	flat_store_b64 v[32:33], v[18:19]
.LBB360_18:                             ;   in Loop: Header=BB360_6 Depth=1
	s_wait_xcnt 0x0
	s_or_b32 exec_lo, exec_lo, s26
	s_and_saveexec_b32 s26, s22
	s_cbranch_execz .LBB360_23
; %bb.19:                               ;   in Loop: Header=BB360_6 Depth=1
	v_mov_b64_e32 v[18:19], s[4:5]
	v_mov_b64_e32 v[32:33], s[14:15]
	v_lshl_add_u64 v[16:17], v[6:7], 3, v[16:17]
	s_and_not1_b32 vcc_lo, exec_lo, s18
	s_mov_b32 s27, -1
	s_delay_alu instid0(VALU_DEP_3) | instskip(NEXT) | instid1(VALU_DEP_1)
	v_pk_mul_f32 v[18:19], v[30:31], v[18:19] op_sel_hi:[0,1]
	v_pk_fma_f32 v[30:31], v[28:29], v[32:33], v[18:19] op_sel_hi:[0,1,1]
	v_pk_fma_f32 v[18:19], v[28:29], v[32:33], v[18:19] neg_lo:[0,0,1] neg_hi:[0,0,1]
	s_delay_alu instid0(VALU_DEP_2)
	v_mov_b32_e32 v19, v31
	s_cbranch_vccnz .LBB360_21
; %bb.20:                               ;   in Loop: Header=BB360_6 Depth=1
	flat_load_b64 v[30:31], v[16:17]
	v_mov_b64_e32 v[32:33], s[20:21]
	v_mov_b64_e32 v[34:35], s[2:3]
	s_mov_b32 s27, 0
	s_wait_loadcnt_dscnt 0x0
	s_delay_alu instid0(VALU_DEP_2) | instskip(NEXT) | instid1(VALU_DEP_1)
	v_pk_mul_f32 v[32:33], v[30:31], v[32:33]
	v_pk_fma_f32 v[36:37], v[30:31], v[34:35], v[32:33] op_sel:[0,0,1] op_sel_hi:[1,1,0]
	v_pk_fma_f32 v[30:31], v[30:31], v[34:35], v[32:33] op_sel:[0,0,1] op_sel_hi:[1,1,0] neg_lo:[0,0,1] neg_hi:[0,0,1]
	s_delay_alu instid0(VALU_DEP_2) | instskip(NEXT) | instid1(VALU_DEP_1)
	v_mov_b32_e32 v31, v37
	v_pk_add_f32 v[30:31], v[18:19], v[30:31]
	flat_store_b64 v[16:17], v[30:31]
.LBB360_21:                             ;   in Loop: Header=BB360_6 Depth=1
	s_and_not1_b32 vcc_lo, exec_lo, s27
	s_cbranch_vccnz .LBB360_23
; %bb.22:                               ;   in Loop: Header=BB360_6 Depth=1
	flat_store_b64 v[16:17], v[18:19]
.LBB360_23:                             ;   in Loop: Header=BB360_6 Depth=1
	s_wait_xcnt 0x0
	s_or_b32 exec_lo, exec_lo, s26
	v_lshl_add_u64 v[14:15], v[8:9], 3, v[14:15]
	s_and_saveexec_b32 s26, s31
	s_cbranch_execz .LBB360_28
; %bb.24:                               ;   in Loop: Header=BB360_6 Depth=1
	v_mov_b64_e32 v[16:17], s[4:5]
	v_mov_b64_e32 v[18:19], s[14:15]
	s_and_not1_b32 vcc_lo, exec_lo, s18
	s_mov_b32 s27, -1
	s_delay_alu instid0(VALU_DEP_2) | instskip(NEXT) | instid1(VALU_DEP_1)
	v_pk_mul_f32 v[16:17], v[26:27], v[16:17] op_sel_hi:[0,1]
	v_pk_fma_f32 v[30:31], v[24:25], v[18:19], v[16:17] op_sel_hi:[0,1,1]
	v_pk_fma_f32 v[16:17], v[24:25], v[18:19], v[16:17] neg_lo:[0,0,1] neg_hi:[0,0,1]
	v_lshl_add_u64 v[18:19], v[0:1], 3, v[14:15]
	s_delay_alu instid0(VALU_DEP_3)
	v_mov_b32_e32 v17, v31
	s_cbranch_vccnz .LBB360_26
; %bb.25:                               ;   in Loop: Header=BB360_6 Depth=1
	flat_load_b64 v[30:31], v[18:19]
	v_mov_b64_e32 v[32:33], s[20:21]
	v_mov_b64_e32 v[34:35], s[2:3]
	s_mov_b32 s27, 0
	s_wait_loadcnt_dscnt 0x0
	s_delay_alu instid0(VALU_DEP_2) | instskip(NEXT) | instid1(VALU_DEP_1)
	v_pk_mul_f32 v[32:33], v[30:31], v[32:33]
	v_pk_fma_f32 v[36:37], v[30:31], v[34:35], v[32:33] op_sel:[0,0,1] op_sel_hi:[1,1,0]
	v_pk_fma_f32 v[30:31], v[30:31], v[34:35], v[32:33] op_sel:[0,0,1] op_sel_hi:[1,1,0] neg_lo:[0,0,1] neg_hi:[0,0,1]
	s_delay_alu instid0(VALU_DEP_2) | instskip(NEXT) | instid1(VALU_DEP_1)
	v_mov_b32_e32 v31, v37
	v_pk_add_f32 v[30:31], v[16:17], v[30:31]
	flat_store_b64 v[18:19], v[30:31]
.LBB360_26:                             ;   in Loop: Header=BB360_6 Depth=1
	s_and_not1_b32 vcc_lo, exec_lo, s27
	s_cbranch_vccnz .LBB360_28
; %bb.27:                               ;   in Loop: Header=BB360_6 Depth=1
	flat_store_b64 v[18:19], v[16:17]
.LBB360_28:                             ;   in Loop: Header=BB360_6 Depth=1
	s_wait_xcnt 0x0
	s_or_b32 exec_lo, exec_lo, s26
	s_and_saveexec_b32 s26, s33
	s_cbranch_execz .LBB360_5
; %bb.29:                               ;   in Loop: Header=BB360_6 Depth=1
	v_mov_b64_e32 v[16:17], s[4:5]
	v_mov_b64_e32 v[18:19], s[14:15]
	v_lshl_add_u64 v[14:15], v[6:7], 3, v[14:15]
	s_and_not1_b32 vcc_lo, exec_lo, s18
	s_mov_b32 s27, -1
	s_delay_alu instid0(VALU_DEP_3) | instskip(NEXT) | instid1(VALU_DEP_1)
	v_pk_mul_f32 v[16:17], v[22:23], v[16:17] op_sel_hi:[0,1]
	v_pk_fma_f32 v[30:31], v[20:21], v[18:19], v[16:17] op_sel_hi:[0,1,1]
	v_pk_fma_f32 v[16:17], v[20:21], v[18:19], v[16:17] neg_lo:[0,0,1] neg_hi:[0,0,1]
	s_delay_alu instid0(VALU_DEP_2)
	v_mov_b32_e32 v17, v31
	s_cbranch_vccnz .LBB360_31
; %bb.30:                               ;   in Loop: Header=BB360_6 Depth=1
	flat_load_b64 v[18:19], v[14:15]
	v_mov_b64_e32 v[30:31], s[20:21]
	v_mov_b64_e32 v[32:33], s[2:3]
	s_mov_b32 s27, 0
	s_wait_loadcnt_dscnt 0x0
	s_delay_alu instid0(VALU_DEP_2) | instskip(NEXT) | instid1(VALU_DEP_1)
	v_pk_mul_f32 v[30:31], v[18:19], v[30:31]
	v_pk_fma_f32 v[34:35], v[18:19], v[32:33], v[30:31] op_sel:[0,0,1] op_sel_hi:[1,1,0]
	v_pk_fma_f32 v[18:19], v[18:19], v[32:33], v[30:31] op_sel:[0,0,1] op_sel_hi:[1,1,0] neg_lo:[0,0,1] neg_hi:[0,0,1]
	s_delay_alu instid0(VALU_DEP_2) | instskip(NEXT) | instid1(VALU_DEP_1)
	v_mov_b32_e32 v19, v35
	v_pk_add_f32 v[18:19], v[16:17], v[18:19]
	flat_store_b64 v[14:15], v[18:19]
.LBB360_31:                             ;   in Loop: Header=BB360_6 Depth=1
	s_and_not1_b32 vcc_lo, exec_lo, s27
	s_cbranch_vccnz .LBB360_5
; %bb.32:                               ;   in Loop: Header=BB360_6 Depth=1
	flat_store_b64 v[14:15], v[16:17]
	s_branch .LBB360_5
.LBB360_33:
	s_sendmsg sendmsg(MSG_DEALLOC_VGPRS)
	s_endpgm
	.section	.rodata,"a",@progbits
	.p2align	6, 0x0
	.amdhsa_kernel _ZL29rocblas_internal_gemmt_kernelIiLi16ELi32ELi8ELc78ELc78ELc85ELb0ELb0E19rocblas_complex_numIfEPKS1_PKS3_PKPS1_EviT_T9_T10_S9_lSB_S9_lSA_T11_S9_li
		.amdhsa_group_segment_fixed_size 4096
		.amdhsa_private_segment_fixed_size 0
		.amdhsa_kernarg_size 100
		.amdhsa_user_sgpr_count 2
		.amdhsa_user_sgpr_dispatch_ptr 0
		.amdhsa_user_sgpr_queue_ptr 0
		.amdhsa_user_sgpr_kernarg_segment_ptr 1
		.amdhsa_user_sgpr_dispatch_id 0
		.amdhsa_user_sgpr_kernarg_preload_length 0
		.amdhsa_user_sgpr_kernarg_preload_offset 0
		.amdhsa_user_sgpr_private_segment_size 0
		.amdhsa_wavefront_size32 1
		.amdhsa_uses_dynamic_stack 0
		.amdhsa_enable_private_segment 0
		.amdhsa_system_sgpr_workgroup_id_x 1
		.amdhsa_system_sgpr_workgroup_id_y 1
		.amdhsa_system_sgpr_workgroup_id_z 1
		.amdhsa_system_sgpr_workgroup_info 0
		.amdhsa_system_vgpr_workitem_id 1
		.amdhsa_next_free_vgpr 71
		.amdhsa_next_free_sgpr 36
		.amdhsa_named_barrier_count 0
		.amdhsa_reserve_vcc 1
		.amdhsa_float_round_mode_32 0
		.amdhsa_float_round_mode_16_64 0
		.amdhsa_float_denorm_mode_32 3
		.amdhsa_float_denorm_mode_16_64 3
		.amdhsa_fp16_overflow 0
		.amdhsa_memory_ordered 1
		.amdhsa_forward_progress 1
		.amdhsa_inst_pref_size 26
		.amdhsa_round_robin_scheduling 0
		.amdhsa_exception_fp_ieee_invalid_op 0
		.amdhsa_exception_fp_denorm_src 0
		.amdhsa_exception_fp_ieee_div_zero 0
		.amdhsa_exception_fp_ieee_overflow 0
		.amdhsa_exception_fp_ieee_underflow 0
		.amdhsa_exception_fp_ieee_inexact 0
		.amdhsa_exception_int_div_zero 0
	.end_amdhsa_kernel
	.section	.text._ZL29rocblas_internal_gemmt_kernelIiLi16ELi32ELi8ELc78ELc78ELc85ELb0ELb0E19rocblas_complex_numIfEPKS1_PKS3_PKPS1_EviT_T9_T10_S9_lSB_S9_lSA_T11_S9_li,"axG",@progbits,_ZL29rocblas_internal_gemmt_kernelIiLi16ELi32ELi8ELc78ELc78ELc85ELb0ELb0E19rocblas_complex_numIfEPKS1_PKS3_PKPS1_EviT_T9_T10_S9_lSB_S9_lSA_T11_S9_li,comdat
.Lfunc_end360:
	.size	_ZL29rocblas_internal_gemmt_kernelIiLi16ELi32ELi8ELc78ELc78ELc85ELb0ELb0E19rocblas_complex_numIfEPKS1_PKS3_PKPS1_EviT_T9_T10_S9_lSB_S9_lSA_T11_S9_li, .Lfunc_end360-_ZL29rocblas_internal_gemmt_kernelIiLi16ELi32ELi8ELc78ELc78ELc85ELb0ELb0E19rocblas_complex_numIfEPKS1_PKS3_PKPS1_EviT_T9_T10_S9_lSB_S9_lSA_T11_S9_li
                                        ; -- End function
	.set _ZL29rocblas_internal_gemmt_kernelIiLi16ELi32ELi8ELc78ELc78ELc85ELb0ELb0E19rocblas_complex_numIfEPKS1_PKS3_PKPS1_EviT_T9_T10_S9_lSB_S9_lSA_T11_S9_li.num_vgpr, 71
	.set _ZL29rocblas_internal_gemmt_kernelIiLi16ELi32ELi8ELc78ELc78ELc85ELb0ELb0E19rocblas_complex_numIfEPKS1_PKS3_PKPS1_EviT_T9_T10_S9_lSB_S9_lSA_T11_S9_li.num_agpr, 0
	.set _ZL29rocblas_internal_gemmt_kernelIiLi16ELi32ELi8ELc78ELc78ELc85ELb0ELb0E19rocblas_complex_numIfEPKS1_PKS3_PKPS1_EviT_T9_T10_S9_lSB_S9_lSA_T11_S9_li.numbered_sgpr, 36
	.set _ZL29rocblas_internal_gemmt_kernelIiLi16ELi32ELi8ELc78ELc78ELc85ELb0ELb0E19rocblas_complex_numIfEPKS1_PKS3_PKPS1_EviT_T9_T10_S9_lSB_S9_lSA_T11_S9_li.num_named_barrier, 0
	.set _ZL29rocblas_internal_gemmt_kernelIiLi16ELi32ELi8ELc78ELc78ELc85ELb0ELb0E19rocblas_complex_numIfEPKS1_PKS3_PKPS1_EviT_T9_T10_S9_lSB_S9_lSA_T11_S9_li.private_seg_size, 0
	.set _ZL29rocblas_internal_gemmt_kernelIiLi16ELi32ELi8ELc78ELc78ELc85ELb0ELb0E19rocblas_complex_numIfEPKS1_PKS3_PKPS1_EviT_T9_T10_S9_lSB_S9_lSA_T11_S9_li.uses_vcc, 1
	.set _ZL29rocblas_internal_gemmt_kernelIiLi16ELi32ELi8ELc78ELc78ELc85ELb0ELb0E19rocblas_complex_numIfEPKS1_PKS3_PKPS1_EviT_T9_T10_S9_lSB_S9_lSA_T11_S9_li.uses_flat_scratch, 0
	.set _ZL29rocblas_internal_gemmt_kernelIiLi16ELi32ELi8ELc78ELc78ELc85ELb0ELb0E19rocblas_complex_numIfEPKS1_PKS3_PKPS1_EviT_T9_T10_S9_lSB_S9_lSA_T11_S9_li.has_dyn_sized_stack, 0
	.set _ZL29rocblas_internal_gemmt_kernelIiLi16ELi32ELi8ELc78ELc78ELc85ELb0ELb0E19rocblas_complex_numIfEPKS1_PKS3_PKPS1_EviT_T9_T10_S9_lSB_S9_lSA_T11_S9_li.has_recursion, 0
	.set _ZL29rocblas_internal_gemmt_kernelIiLi16ELi32ELi8ELc78ELc78ELc85ELb0ELb0E19rocblas_complex_numIfEPKS1_PKS3_PKPS1_EviT_T9_T10_S9_lSB_S9_lSA_T11_S9_li.has_indirect_call, 0
	.section	.AMDGPU.csdata,"",@progbits
; Kernel info:
; codeLenInByte = 3256
; TotalNumSgprs: 38
; NumVgprs: 71
; ScratchSize: 0
; MemoryBound: 0
; FloatMode: 240
; IeeeMode: 1
; LDSByteSize: 4096 bytes/workgroup (compile time only)
; SGPRBlocks: 0
; VGPRBlocks: 4
; NumSGPRsForWavesPerEU: 38
; NumVGPRsForWavesPerEU: 71
; NamedBarCnt: 0
; Occupancy: 12
; WaveLimiterHint : 1
; COMPUTE_PGM_RSRC2:SCRATCH_EN: 0
; COMPUTE_PGM_RSRC2:USER_SGPR: 2
; COMPUTE_PGM_RSRC2:TRAP_HANDLER: 0
; COMPUTE_PGM_RSRC2:TGID_X_EN: 1
; COMPUTE_PGM_RSRC2:TGID_Y_EN: 1
; COMPUTE_PGM_RSRC2:TGID_Z_EN: 1
; COMPUTE_PGM_RSRC2:TIDIG_COMP_CNT: 1
	.section	.text._ZL29rocblas_internal_gemmt_kernelIiLi16ELi32ELi8ELc78ELc84ELc85ELb0ELb0E19rocblas_complex_numIfEPKS1_PKS3_PKPS1_EviT_T9_T10_S9_lSB_S9_lSA_T11_S9_li,"axG",@progbits,_ZL29rocblas_internal_gemmt_kernelIiLi16ELi32ELi8ELc78ELc84ELc85ELb0ELb0E19rocblas_complex_numIfEPKS1_PKS3_PKPS1_EviT_T9_T10_S9_lSB_S9_lSA_T11_S9_li,comdat
	.globl	_ZL29rocblas_internal_gemmt_kernelIiLi16ELi32ELi8ELc78ELc84ELc85ELb0ELb0E19rocblas_complex_numIfEPKS1_PKS3_PKPS1_EviT_T9_T10_S9_lSB_S9_lSA_T11_S9_li ; -- Begin function _ZL29rocblas_internal_gemmt_kernelIiLi16ELi32ELi8ELc78ELc84ELc85ELb0ELb0E19rocblas_complex_numIfEPKS1_PKS3_PKPS1_EviT_T9_T10_S9_lSB_S9_lSA_T11_S9_li
	.p2align	8
	.type	_ZL29rocblas_internal_gemmt_kernelIiLi16ELi32ELi8ELc78ELc84ELc85ELb0ELb0E19rocblas_complex_numIfEPKS1_PKS3_PKPS1_EviT_T9_T10_S9_lSB_S9_lSA_T11_S9_li,@function
_ZL29rocblas_internal_gemmt_kernelIiLi16ELi32ELi8ELc78ELc84ELc85ELb0ELb0E19rocblas_complex_numIfEPKS1_PKS3_PKPS1_EviT_T9_T10_S9_lSB_S9_lSA_T11_S9_li: ; @_ZL29rocblas_internal_gemmt_kernelIiLi16ELi32ELi8ELc78ELc84ELc85ELb0ELb0E19rocblas_complex_numIfEPKS1_PKS3_PKPS1_EviT_T9_T10_S9_lSB_S9_lSA_T11_S9_li
; %bb.0:
	s_load_b128 s[12:15], s[0:1], 0x38
	s_wait_kmcnt 0x0
	s_load_b64 s[20:21], s[14:15], 0x0
	s_clause 0x1
	s_load_b128 s[4:7], s[0:1], 0x8
	s_load_b64 s[22:23], s[0:1], 0x0
	s_wait_kmcnt 0x0
	s_cmp_neq_f32 s20, 1.0
	s_load_b64 s[14:15], s[4:5], 0x0
	s_cselect_b32 s2, -1, 0
	s_wait_xcnt 0x0
	s_and_b32 s4, s21, 0x7fffffff
	s_delay_alu instid0(SALU_CYCLE_1) | instskip(SKIP_3) | instid1(SALU_CYCLE_1)
	s_cmp_eq_u32 s4, 0
	s_cselect_b32 s3, -1, 0
	s_cmp_lg_u32 s4, 0
	s_cselect_b32 s4, -1, 0
	s_or_b32 s2, s2, s4
	s_delay_alu instid0(SALU_CYCLE_1)
	s_and_b32 vcc_lo, exec_lo, s2
	s_cbranch_vccnz .LBB361_2
; %bb.1:
	s_cmp_lg_u32 s23, 0
	s_cselect_b32 s2, -1, 0
	s_wait_kmcnt 0x0
	s_cmp_neq_f32 s14, 0
	s_cselect_b32 s4, -1, 0
	s_cmp_neq_f32 s15, 0
	s_cselect_b32 s5, -1, 0
	s_delay_alu instid0(SALU_CYCLE_1) | instskip(NEXT) | instid1(SALU_CYCLE_1)
	s_or_b32 s4, s4, s5
	s_and_b32 s2, s2, s4
.LBB361_2:
	s_delay_alu instid0(SALU_CYCLE_1)
	s_and_not1_b32 vcc_lo, exec_lo, s2
	s_cbranch_vccnz .LBB361_33
; %bb.3:
	s_load_b32 s33, s[0:1], 0x60
	s_bfe_u32 s2, ttmp6, 0x40014
	s_lshr_b32 s4, ttmp7, 16
	s_add_co_i32 s2, s2, 1
	s_bfe_u32 s8, ttmp6, 0x40008
	s_mul_i32 s5, s4, s2
	s_getreg_b32 s2, hwreg(HW_REG_IB_STS2, 6, 4)
	s_add_co_i32 s8, s8, s5
	s_cmp_eq_u32 s2, 0
	s_mov_b32 s25, 0
	s_cselect_b32 s24, s4, s8
	s_wait_kmcnt 0x0
	s_cmp_ge_u32 s24, s33
	s_cbranch_scc1 .LBB361_33
; %bb.4:
	s_clause 0x4
	s_load_b32 s26, s[0:1], 0x18
	s_load_b32 s28, s[0:1], 0x30
	s_load_b96 s[16:18], s[0:1], 0x48
	s_load_b128 s[8:11], s[0:1], 0x20
	s_load_b64 s[30:31], s[0:1], 0x58
	s_wait_xcnt 0x0
	s_bfe_u32 s1, ttmp6, 0x4000c
	s_bfe_u32 s5, ttmp6, 0x40010
	v_and_b32_e32 v4, 0x3ff, v0
	v_bfe_u32 v5, v0, 10, 10
	s_and_b32 s4, ttmp7, 0xffff
	s_add_co_i32 s1, s1, 1
	s_add_co_i32 s5, s5, 1
	s_and_b32 s0, ttmp6, 15
	s_bfe_u32 s19, ttmp6, 0x40004
	s_mul_i32 s1, ttmp9, s1
	s_mul_i32 s5, s4, s5
	s_add_co_i32 s0, s0, s1
	s_add_co_i32 s19, s19, s5
	v_lshl_add_u32 v1, v5, 4, v4
	s_wait_kmcnt 0x0
	s_ashr_i32 s27, s26, 31
	s_ashr_i32 s29, s28, 31
	;; [unrolled: 1-line block ×3, first 2 shown]
	s_cmp_eq_u32 s2, 0
	v_dual_lshrrev_b32 v2, 5, v1 :: v_dual_lshrrev_b32 v6, 3, v1
	s_cselect_b32 s1, s4, s19
	s_cselect_b32 s0, ttmp9, s0
	s_lshl_b32 s19, s1, 5
	s_delay_alu instid0(VALU_DEP_1) | instid1(SALU_CYCLE_1)
	v_dual_add_nc_u32 v14, s19, v6 :: v_dual_bitop2_b32 v1, 31, v1 bitop3:0x40
	s_lshl_b32 s2, s0, 5
	v_dual_mov_b32 v3, 0 :: v_dual_bitop2_b32 v0, 7, v0 bitop3:0x40
	v_add_nc_u32_e32 v16, s19, v5
	s_delay_alu instid0(VALU_DEP_3) | instskip(NEXT) | instid1(VALU_DEP_3)
	v_dual_lshlrev_b32 v1, 3, v1 :: v_dual_bitop2_b32 v12, s2, v1 bitop3:0x54
	v_lshlrev_b32_e32 v7, 3, v0
	s_delay_alu instid0(VALU_DEP_4) | instskip(NEXT) | instid1(VALU_DEP_4)
	v_mul_u64_e32 v[18:19], s[26:27], v[2:3]
	v_dual_ashrrev_i32 v15, 31, v14 :: v_dual_add_nc_u32 v26, 16, v16
	v_ashrrev_i32_e32 v17, 31, v16
	v_lshl_or_b32 v23, v2, 8, v1
	v_mov_b32_e32 v1, v3
	s_cmp_neq_f32 s14, 0
	v_lshl_or_b32 v6, v6, 6, v7
	s_mov_b32 s4, s18
	v_cmp_gt_i32_e32 vcc_lo, s22, v16
	v_mul_u64_e32 v[20:21], s[28:29], v[0:1]
	v_dual_lshlrev_b32 v1, 3, v4 :: v_dual_add_nc_u32 v4, s2, v4
	v_ashrrev_i32_e32 v27, 31, v26
	s_cselect_b32 s0, -1, 0
	s_cmp_neq_f32 s15, 0
	v_add_nc_u32_e32 v25, 0x800, v6
	v_mul_u64_e32 v[6:7], s[4:5], v[16:17]
	v_add_nc_u32_e32 v8, 16, v4
	v_mul_u64_e32 v[10:11], s[4:5], v[26:27]
	s_cselect_b32 s1, -1, 0
	v_cmp_le_i32_e64 s4, v4, v26
	s_or_b32 s18, s0, s1
	s_cmp_gt_i32 s23, 0
	v_cmp_le_i32_e64 s5, v8, v26
	s_cselect_b32 s38, -1, 0
	s_cmp_neq_f32 s20, 0
	v_cmp_le_i32_e64 s2, v4, v16
	v_ashrrev_i32_e32 v13, 31, v12
	v_cmp_gt_i32_e64 s0, s22, v12
	s_cselect_b32 s19, -1, 0
	s_xor_b32 s3, s3, -1
	s_and_b32 s35, vcc_lo, s2
	s_or_b32 s34, s19, s3
	v_cmp_gt_i32_e64 s3, s22, v26
	v_cmp_le_i32_e64 s2, v8, v16
	v_cmp_gt_i32_e64 s1, s22, v14
	v_lshl_add_u32 v27, v5, 6, 0x800
	v_ashrrev_i32_e32 v5, 31, v4
	s_and_b32 s36, s3, s4
	s_and_b32 s37, s3, s5
	s_lshl_b64 s[4:5], s[8:9], 3
	v_ashrrev_i32_e32 v9, 31, v8
	v_lshl_add_u64 v[16:17], v[18:19], 3, s[4:5]
	s_lshl_b64 s[4:5], s[12:13], 3
	s_and_b32 s22, vcc_lo, s2
	v_lshl_add_u64 v[18:19], v[20:21], 3, s[4:5]
	s_mov_b32 s2, s20
	v_lshl_add_u64 v[12:13], v[12:13], 3, v[16:17]
	s_mov_b32 s3, s20
	s_mov_b32 s20, s21
	v_lshl_add_u64 v[14:15], v[14:15], 3, v[18:19]
	s_mov_b32 s4, s15
	s_mov_b32 s5, s14
	s_and_b32 s38, s18, s38
	s_lshl_b64 s[8:9], s[26:27], 6
	s_lshl_b64 s[12:13], s[28:29], 6
	;; [unrolled: 1-line block ×3, first 2 shown]
	s_branch .LBB361_6
.LBB361_5:                              ;   in Loop: Header=BB361_6 Depth=1
	s_wait_xcnt 0x0
	s_or_b32 exec_lo, exec_lo, s26
	s_add_co_i32 s24, s24, 0x10000
	s_delay_alu instid0(SALU_CYCLE_1)
	s_cmp_lt_u32 s24, s33
	s_cbranch_scc0 .LBB361_33
.LBB361_6:                              ; =>This Loop Header: Depth=1
                                        ;     Child Loop BB361_9 Depth 2
	v_dual_mov_b32 v16, s24 :: v_dual_mov_b32 v34, 0
	v_dual_mov_b32 v36, 0 :: v_dual_mov_b32 v30, 0
	;; [unrolled: 1-line block ×3, first 2 shown]
	global_load_b64 v[16:17], v16, s[16:17] scale_offset
	v_dual_mov_b32 v28, 0 :: v_dual_mov_b32 v22, 0
	v_mov_b32_e32 v24, 0
	s_and_not1_b32 vcc_lo, exec_lo, s38
	s_cbranch_vccnz .LBB361_13
; %bb.7:                                ;   in Loop: Header=BB361_6 Depth=1
	s_lshl_b64 s[26:27], s[24:25], 3
	v_dual_mov_b32 v24, 0 :: v_dual_mov_b32 v22, 0
	s_add_nc_u64 s[28:29], s[6:7], s[26:27]
	s_add_nc_u64 s[26:27], s[10:11], s[26:27]
	s_clause 0x1
	global_load_b64 v[18:19], v3, s[28:29]
	global_load_b64 v[20:21], v3, s[26:27]
	v_dual_mov_b32 v28, 0 :: v_dual_mov_b32 v26, 0
	v_dual_mov_b32 v32, 0 :: v_dual_mov_b32 v30, 0
	;; [unrolled: 1-line block ×3, first 2 shown]
	s_wait_xcnt 0x0
	s_mov_b32 s26, 0
	s_wait_loadcnt 0x1
	v_add_nc_u64_e32 v[18:19], v[18:19], v[12:13]
	s_wait_loadcnt 0x0
	v_add_nc_u64_e32 v[20:21], v[20:21], v[14:15]
	s_branch .LBB361_9
.LBB361_8:                              ;   in Loop: Header=BB361_9 Depth=2
	s_wait_xcnt 0x0
	s_or_b32 exec_lo, exec_lo, s27
	s_wait_loadcnt_dscnt 0x0
	ds_store_b64 v25, v[40:41]
	s_wait_dscnt 0x0
	s_barrier_signal -1
	s_barrier_wait -1
	ds_load_b128 v[38:41], v27
	ds_load_2addr_b64 v[42:45], v1 offset1:16
	ds_load_b128 v[46:49], v27 offset:1024
	ds_load_b128 v[50:53], v27 offset:16
	ds_load_2addr_b64 v[54:57], v1 offset0:32 offset1:48
	ds_load_b128 v[58:61], v27 offset:32
	ds_load_b128 v[62:65], v27 offset:48
	ds_load_b128 v[66:69], v27 offset:1040
	v_add_nc_u64_e32 v[18:19], s[8:9], v[18:19]
	v_add_nc_u64_e32 v[20:21], s[12:13], v[20:21]
	s_add_co_i32 s26, s26, 8
	s_delay_alu instid0(SALU_CYCLE_1)
	s_cmp_lt_i32 s26, s23
	s_wait_dscnt 0x6
	v_dual_mul_f32 v29, v39, v43 :: v_dual_mul_f32 v31, v38, v43
	v_dual_mul_f32 v33, v39, v45 :: v_dual_mul_f32 v35, v38, v45
	s_wait_dscnt 0x5
	v_dual_mul_f32 v37, v47, v43 :: v_dual_mul_f32 v43, v46, v43
	v_dual_mul_f32 v70, v47, v45 :: v_dual_mul_f32 v45, v46, v45
	v_dual_fma_f32 v29, v38, v42, -v29 :: v_dual_fmac_f32 v31, v39, v42
	v_dual_fma_f32 v33, v38, v44, -v33 :: v_dual_fmac_f32 v35, v39, v44
	s_delay_alu instid0(VALU_DEP_4) | instskip(NEXT) | instid1(VALU_DEP_3)
	v_dual_fma_f32 v37, v46, v42, -v37 :: v_dual_fmac_f32 v43, v47, v42
	v_dual_fma_f32 v38, v46, v44, -v70 :: v_dual_add_f32 v36, v36, v31
	s_delay_alu instid0(VALU_DEP_3) | instskip(NEXT) | instid1(VALU_DEP_3)
	v_dual_add_f32 v34, v34, v29 :: v_dual_add_f32 v32, v32, v35
	v_dual_add_f32 v33, v30, v33 :: v_dual_add_f32 v35, v28, v43
	s_wait_dscnt 0x3
	v_dual_add_f32 v26, v26, v37 :: v_dual_mul_f32 v37, v41, v55
	ds_load_2addr_b64 v[28:31], v1 offset0:64 offset1:80
	v_dual_fmac_f32 v45, v47, v44 :: v_dual_add_f32 v22, v22, v38
	v_dual_mul_f32 v38, v40, v55 :: v_dual_fma_f32 v37, v40, v54, -v37
	v_mul_f32_e32 v39, v41, v57
	s_delay_alu instid0(VALU_DEP_2) | instskip(SKIP_1) | instid1(VALU_DEP_3)
	v_dual_add_f32 v24, v24, v45 :: v_dual_fmac_f32 v38, v41, v54
	v_mul_f32_e32 v42, v40, v57
	v_dual_add_f32 v37, v34, v37 :: v_dual_fma_f32 v34, v40, v56, -v39
	s_delay_alu instid0(VALU_DEP_3) | instskip(NEXT) | instid1(VALU_DEP_3)
	v_dual_mul_f32 v39, v49, v55 :: v_dual_add_f32 v36, v36, v38
	v_dual_fmac_f32 v42, v41, v56 :: v_dual_mul_f32 v38, v48, v55
	s_delay_alu instid0(VALU_DEP_3) | instskip(NEXT) | instid1(VALU_DEP_3)
	v_dual_add_f32 v40, v33, v34 :: v_dual_mul_f32 v41, v48, v57
	v_dual_fma_f32 v33, v48, v54, -v39 :: v_dual_mul_f32 v34, v49, v57
	s_delay_alu instid0(VALU_DEP_3) | instskip(NEXT) | instid1(VALU_DEP_3)
	v_add_f32_e32 v39, v32, v42
	v_dual_fmac_f32 v38, v49, v54 :: v_dual_fmac_f32 v41, v49, v56
	s_wait_dscnt 0x0
	v_mul_f32_e32 v42, v50, v29
	v_add_f32_e32 v26, v26, v33
	v_dual_mul_f32 v33, v51, v29 :: v_dual_fma_f32 v32, v48, v56, -v34
	v_add_f32_e32 v38, v35, v38
	s_delay_alu instid0(VALU_DEP_4) | instskip(NEXT) | instid1(VALU_DEP_3)
	v_dual_mul_f32 v44, v51, v31 :: v_dual_fmac_f32 v42, v51, v28
	v_fma_f32 v43, v50, v28, -v33
	s_delay_alu instid0(VALU_DEP_4) | instskip(SKIP_4) | instid1(VALU_DEP_3)
	v_add_f32_e32 v22, v22, v32
	ds_load_2addr_b64 v[32:35], v1 offset0:96 offset1:112
	v_dual_add_f32 v24, v24, v41 :: v_dual_mul_f32 v41, v50, v31
	v_dual_add_f32 v37, v37, v43 :: v_dual_fma_f32 v43, v50, v30, -v44
	v_dual_add_f32 v36, v36, v42 :: v_dual_mul_f32 v42, v67, v29
	v_dual_mul_f32 v29, v66, v29 :: v_dual_fmac_f32 v41, v51, v30
	s_delay_alu instid0(VALU_DEP_3) | instskip(NEXT) | instid1(VALU_DEP_3)
	v_add_f32_e32 v40, v40, v43
	v_dual_mul_f32 v43, v67, v31 :: v_dual_fma_f32 v42, v66, v28, -v42
	s_delay_alu instid0(VALU_DEP_3) | instskip(NEXT) | instid1(VALU_DEP_2)
	v_dual_fmac_f32 v29, v67, v28 :: v_dual_mul_f32 v44, v66, v31
	v_dual_add_f32 v41, v39, v41 :: v_dual_fma_f32 v28, v66, v30, -v43
	s_delay_alu instid0(VALU_DEP_3) | instskip(NEXT) | instid1(VALU_DEP_3)
	v_add_f32_e32 v26, v26, v42
	v_dual_add_f32 v42, v38, v29 :: v_dual_fmac_f32 v44, v67, v30
	s_wait_dscnt 0x0
	s_delay_alu instid0(VALU_DEP_3)
	v_dual_mul_f32 v38, v53, v33 :: v_dual_add_f32 v22, v22, v28
	v_mul_f32_e32 v39, v52, v33
	ds_load_2addr_b64 v[28:31], v1 offset0:128 offset1:144
	v_dual_mul_f32 v43, v53, v35 :: v_dual_fma_f32 v38, v52, v32, -v38
	v_fmac_f32_e32 v39, v53, v32
	v_add_f32_e32 v24, v24, v44
	s_delay_alu instid0(VALU_DEP_3) | instskip(NEXT) | instid1(VALU_DEP_4)
	v_dual_mul_f32 v44, v52, v35 :: v_dual_fma_f32 v43, v52, v34, -v43
	v_add_f32_e32 v45, v37, v38
	s_delay_alu instid0(VALU_DEP_4) | instskip(NEXT) | instid1(VALU_DEP_3)
	v_dual_mul_f32 v37, v69, v33 :: v_dual_add_f32 v46, v36, v39
	v_dual_fmac_f32 v44, v53, v34 :: v_dual_add_f32 v47, v40, v43
	s_delay_alu instid0(VALU_DEP_2)
	v_dual_mul_f32 v33, v68, v33 :: v_dual_fma_f32 v40, v68, v32, -v37
	v_mul_f32_e32 v43, v69, v35
	ds_load_b128 v[36:39], v27 offset:1056
	v_dual_add_f32 v44, v41, v44 :: v_dual_mul_f32 v41, v68, v35
	v_dual_fmac_f32 v33, v69, v32 :: v_dual_fma_f32 v32, v68, v34, -v43
	s_wait_dscnt 0x1
	v_dual_add_f32 v26, v26, v40 :: v_dual_mul_f32 v35, v59, v29
	s_delay_alu instid0(VALU_DEP_2) | instskip(NEXT) | instid1(VALU_DEP_3)
	v_dual_fmac_f32 v41, v69, v34 :: v_dual_add_f32 v48, v42, v33
	v_dual_mul_f32 v42, v59, v31 :: v_dual_add_f32 v22, v22, v32
	s_delay_alu instid0(VALU_DEP_3)
	v_dual_mul_f32 v49, v58, v29 :: v_dual_fma_f32 v40, v58, v28, -v35
	ds_load_2addr_b64 v[32:35], v1 offset0:160 offset1:176
	v_dual_add_f32 v24, v24, v41 :: v_dual_mul_f32 v50, v58, v31
	v_fmac_f32_e32 v49, v59, v28
	v_dual_add_f32 v45, v45, v40 :: v_dual_fma_f32 v51, v58, v30, -v42
	ds_load_b128 v[40:43], v27 offset:1072
	s_wait_dscnt 0x2
	v_dual_mul_f32 v52, v37, v29 :: v_dual_fmac_f32 v50, v59, v30
	v_dual_add_f32 v46, v46, v49 :: v_dual_add_f32 v47, v47, v51
	s_delay_alu instid0(VALU_DEP_2) | instskip(NEXT) | instid1(VALU_DEP_3)
	v_dual_mul_f32 v29, v36, v29 :: v_dual_fma_f32 v49, v36, v28, -v52
	v_dual_mul_f32 v51, v37, v31 :: v_dual_add_f32 v44, v44, v50
	s_delay_alu instid0(VALU_DEP_2) | instskip(NEXT) | instid1(VALU_DEP_2)
	v_dual_mul_f32 v50, v36, v31 :: v_dual_fmac_f32 v29, v37, v28
	v_dual_add_f32 v26, v26, v49 :: v_dual_fma_f32 v28, v36, v30, -v51
	s_wait_dscnt 0x1
	v_mul_f32_e32 v31, v61, v33
	s_delay_alu instid0(VALU_DEP_3) | instskip(NEXT) | instid1(VALU_DEP_3)
	v_dual_add_f32 v36, v48, v29 :: v_dual_fmac_f32 v50, v37, v30
	v_dual_mul_f32 v37, v60, v33 :: v_dual_add_f32 v22, v22, v28
	s_delay_alu instid0(VALU_DEP_3) | instskip(SKIP_3) | instid1(VALU_DEP_2)
	v_dual_mul_f32 v49, v61, v35 :: v_dual_fma_f32 v48, v60, v32, -v31
	ds_load_2addr_b64 v[28:31], v1 offset0:192 offset1:208
	v_dual_fmac_f32 v37, v61, v32 :: v_dual_add_f32 v24, v24, v50
	v_dual_fma_f32 v49, v60, v34, -v49 :: v_dual_add_f32 v48, v45, v48
	v_dual_mul_f32 v45, v60, v35 :: v_dual_add_f32 v37, v46, v37
	v_dual_mul_f32 v46, v39, v33 :: v_dual_mul_f32 v33, v38, v33
	s_delay_alu instid0(VALU_DEP_2) | instskip(NEXT) | instid1(VALU_DEP_2)
	v_dual_add_f32 v49, v47, v49 :: v_dual_fmac_f32 v45, v61, v34
	v_dual_mul_f32 v47, v39, v35 :: v_dual_fma_f32 v46, v38, v32, -v46
	s_delay_alu instid0(VALU_DEP_3) | instskip(NEXT) | instid1(VALU_DEP_2)
	v_dual_fmac_f32 v33, v39, v32 :: v_dual_mul_f32 v35, v38, v35
	v_dual_add_f32 v32, v44, v45 :: v_dual_fma_f32 v38, v38, v34, -v47
	s_delay_alu instid0(VALU_DEP_2)
	v_dual_add_f32 v26, v26, v46 :: v_dual_add_f32 v33, v36, v33
	ds_load_2addr_b64 v[44:47], v1 offset0:224 offset1:240
	s_wait_dscnt 0x1
	v_mul_f32_e32 v36, v63, v29
	v_dual_fmac_f32 v35, v39, v34 :: v_dual_mul_f32 v34, v62, v29
	v_add_f32_e32 v22, v22, v38
	s_delay_alu instid0(VALU_DEP_3) | instskip(NEXT) | instid1(VALU_DEP_3)
	v_dual_mul_f32 v38, v62, v31 :: v_dual_fma_f32 v36, v62, v28, -v36
	v_add_f32_e32 v24, v24, v35
	s_delay_alu instid0(VALU_DEP_4) | instskip(NEXT) | instid1(VALU_DEP_3)
	v_dual_mul_f32 v35, v63, v31 :: v_dual_fmac_f32 v34, v63, v28
	v_dual_mul_f32 v39, v41, v29 :: v_dual_add_f32 v36, v48, v36
	s_delay_alu instid0(VALU_DEP_2) | instskip(NEXT) | instid1(VALU_DEP_3)
	v_dual_fmac_f32 v38, v63, v30 :: v_dual_fma_f32 v35, v62, v30, -v35
	v_dual_add_f32 v37, v37, v34 :: v_dual_mul_f32 v29, v40, v29
	s_delay_alu instid0(VALU_DEP_3) | instskip(NEXT) | instid1(VALU_DEP_3)
	v_dual_fma_f32 v34, v40, v28, -v39 :: v_dual_mul_f32 v39, v41, v31
	v_dual_add_f32 v32, v32, v38 :: v_dual_add_f32 v35, v49, v35
	s_delay_alu instid0(VALU_DEP_2) | instskip(NEXT) | instid1(VALU_DEP_3)
	v_dual_fmac_f32 v29, v41, v28 :: v_dual_add_f32 v26, v26, v34
	v_dual_mul_f32 v28, v40, v31 :: v_dual_fma_f32 v31, v40, v30, -v39
	s_wait_dscnt 0x0
	v_dual_mul_f32 v34, v65, v45 :: v_dual_mul_f32 v38, v64, v45
	s_delay_alu instid0(VALU_DEP_3) | instskip(NEXT) | instid1(VALU_DEP_3)
	v_add_f32_e32 v29, v33, v29
	v_dual_fmac_f32 v28, v41, v30 :: v_dual_add_f32 v22, v22, v31
	s_delay_alu instid0(VALU_DEP_3) | instskip(NEXT) | instid1(VALU_DEP_4)
	v_fma_f32 v30, v64, v44, -v34
	v_dual_fmac_f32 v38, v65, v44 :: v_dual_mul_f32 v31, v65, v47
	v_dual_mul_f32 v33, v64, v47 :: v_dual_mul_f32 v39, v42, v47
	s_delay_alu instid0(VALU_DEP_3) | instskip(NEXT) | instid1(VALU_DEP_3)
	v_add_f32_e32 v34, v36, v30
	v_dual_add_f32 v36, v37, v38 :: v_dual_add_f32 v24, v24, v28
	s_delay_alu instid0(VALU_DEP_3) | instskip(SKIP_2) | instid1(VALU_DEP_3)
	v_dual_fmac_f32 v33, v65, v46 :: v_dual_fma_f32 v28, v64, v46, -v31
	v_dual_mul_f32 v37, v42, v45 :: v_dual_mul_f32 v31, v43, v45
	v_dual_mul_f32 v38, v43, v47 :: v_dual_fmac_f32 v39, v43, v46
	v_dual_add_f32 v32, v32, v33 :: v_dual_add_f32 v30, v35, v28
	s_delay_alu instid0(VALU_DEP_3) | instskip(NEXT) | instid1(VALU_DEP_3)
	v_dual_fma_f32 v28, v42, v44, -v31 :: v_dual_fmac_f32 v37, v43, v44
	v_dual_fma_f32 v31, v42, v46, -v38 :: v_dual_add_f32 v24, v24, v39
	s_delay_alu instid0(VALU_DEP_2) | instskip(NEXT) | instid1(VALU_DEP_2)
	v_dual_add_f32 v26, v26, v28 :: v_dual_add_f32 v28, v29, v37
	v_add_f32_e32 v22, v22, v31
	s_barrier_signal -1
	s_barrier_wait -1
	s_cbranch_scc0 .LBB361_13
.LBB361_9:                              ;   Parent Loop BB361_6 Depth=1
                                        ; =>  This Inner Loop Header: Depth=2
	v_dual_mov_b32 v38, 0 :: v_dual_add_nc_u32 v29, s26, v2
	v_mov_b32_e32 v39, 0
	s_delay_alu instid0(VALU_DEP_2) | instskip(SKIP_1) | instid1(SALU_CYCLE_1)
	v_cmp_gt_i32_e32 vcc_lo, s23, v29
	s_and_b32 s28, s0, vcc_lo
	s_and_saveexec_b32 s27, s28
	s_cbranch_execz .LBB361_11
; %bb.10:                               ;   in Loop: Header=BB361_9 Depth=2
	flat_load_b64 v[38:39], v[18:19]
.LBB361_11:                             ;   in Loop: Header=BB361_9 Depth=2
	s_wait_xcnt 0x0
	s_or_b32 exec_lo, exec_lo, s27
	v_dual_mov_b32 v40, 0 :: v_dual_add_nc_u32 v29, s26, v0
	v_mov_b32_e32 v41, 0
	s_wait_loadcnt_dscnt 0x0
	ds_store_b64 v23, v[38:39]
	v_cmp_gt_i32_e32 vcc_lo, s23, v29
	s_and_b32 s28, vcc_lo, s1
	s_delay_alu instid0(SALU_CYCLE_1)
	s_and_saveexec_b32 s27, s28
	s_cbranch_execz .LBB361_8
; %bb.12:                               ;   in Loop: Header=BB361_9 Depth=2
	flat_load_b64 v[40:41], v[20:21]
	s_branch .LBB361_8
.LBB361_13:                             ;   in Loop: Header=BB361_6 Depth=1
	s_wait_loadcnt 0x0
	s_wait_xcnt 0x0
	v_add_nc_u64_e32 v[16:17], s[18:19], v[16:17]
	s_delay_alu instid0(VALU_DEP_1)
	v_lshl_add_u64 v[18:19], v[6:7], 3, v[16:17]
	s_and_saveexec_b32 s26, s35
	s_cbranch_execz .LBB361_18
; %bb.14:                               ;   in Loop: Header=BB361_6 Depth=1
	v_mov_b64_e32 v[20:21], s[4:5]
	v_mov_b64_e32 v[38:39], s[14:15]
	s_and_b32 vcc_lo, exec_lo, s34
	s_mov_b32 s27, -1
	s_delay_alu instid0(VALU_DEP_2) | instskip(NEXT) | instid1(VALU_DEP_1)
	v_pk_mul_f32 v[20:21], v[36:37], v[20:21] op_sel_hi:[0,1]
	v_pk_fma_f32 v[36:37], v[34:35], v[38:39], v[20:21] op_sel_hi:[0,1,1]
	v_pk_fma_f32 v[20:21], v[34:35], v[38:39], v[20:21] neg_lo:[0,0,1] neg_hi:[0,0,1]
	v_lshl_add_u64 v[34:35], v[4:5], 3, v[18:19]
	s_delay_alu instid0(VALU_DEP_3)
	v_mov_b32_e32 v21, v37
	s_cbranch_vccz .LBB361_16
; %bb.15:                               ;   in Loop: Header=BB361_6 Depth=1
	flat_load_b64 v[36:37], v[34:35]
	v_mov_b64_e32 v[38:39], s[20:21]
	v_mov_b64_e32 v[40:41], s[2:3]
	s_mov_b32 s27, 0
	s_wait_loadcnt_dscnt 0x0
	s_delay_alu instid0(VALU_DEP_2) | instskip(NEXT) | instid1(VALU_DEP_1)
	v_pk_mul_f32 v[38:39], v[36:37], v[38:39]
	v_pk_fma_f32 v[42:43], v[36:37], v[40:41], v[38:39] op_sel:[0,0,1] op_sel_hi:[1,1,0]
	v_pk_fma_f32 v[36:37], v[36:37], v[40:41], v[38:39] op_sel:[0,0,1] op_sel_hi:[1,1,0] neg_lo:[0,0,1] neg_hi:[0,0,1]
	s_delay_alu instid0(VALU_DEP_2) | instskip(NEXT) | instid1(VALU_DEP_1)
	v_mov_b32_e32 v37, v43
	v_pk_add_f32 v[36:37], v[20:21], v[36:37]
	flat_store_b64 v[34:35], v[36:37]
.LBB361_16:                             ;   in Loop: Header=BB361_6 Depth=1
	s_and_not1_b32 vcc_lo, exec_lo, s27
	s_cbranch_vccnz .LBB361_18
; %bb.17:                               ;   in Loop: Header=BB361_6 Depth=1
	flat_store_b64 v[34:35], v[20:21]
.LBB361_18:                             ;   in Loop: Header=BB361_6 Depth=1
	s_wait_xcnt 0x0
	s_or_b32 exec_lo, exec_lo, s26
	s_and_saveexec_b32 s26, s22
	s_cbranch_execz .LBB361_23
; %bb.19:                               ;   in Loop: Header=BB361_6 Depth=1
	v_mov_b64_e32 v[20:21], s[4:5]
	v_mov_b64_e32 v[34:35], s[14:15]
	v_lshl_add_u64 v[18:19], v[8:9], 3, v[18:19]
	s_and_not1_b32 vcc_lo, exec_lo, s34
	s_mov_b32 s27, -1
	s_delay_alu instid0(VALU_DEP_3) | instskip(NEXT) | instid1(VALU_DEP_1)
	v_pk_mul_f32 v[20:21], v[32:33], v[20:21] op_sel_hi:[0,1]
	v_pk_fma_f32 v[32:33], v[30:31], v[34:35], v[20:21] op_sel_hi:[0,1,1]
	v_pk_fma_f32 v[20:21], v[30:31], v[34:35], v[20:21] neg_lo:[0,0,1] neg_hi:[0,0,1]
	s_delay_alu instid0(VALU_DEP_2)
	v_mov_b32_e32 v21, v33
	s_cbranch_vccnz .LBB361_21
; %bb.20:                               ;   in Loop: Header=BB361_6 Depth=1
	flat_load_b64 v[30:31], v[18:19]
	v_mov_b64_e32 v[32:33], s[20:21]
	v_mov_b64_e32 v[34:35], s[2:3]
	s_mov_b32 s27, 0
	s_wait_loadcnt_dscnt 0x0
	s_delay_alu instid0(VALU_DEP_2) | instskip(NEXT) | instid1(VALU_DEP_1)
	v_pk_mul_f32 v[32:33], v[30:31], v[32:33]
	v_pk_fma_f32 v[36:37], v[30:31], v[34:35], v[32:33] op_sel:[0,0,1] op_sel_hi:[1,1,0]
	v_pk_fma_f32 v[30:31], v[30:31], v[34:35], v[32:33] op_sel:[0,0,1] op_sel_hi:[1,1,0] neg_lo:[0,0,1] neg_hi:[0,0,1]
	s_delay_alu instid0(VALU_DEP_2) | instskip(NEXT) | instid1(VALU_DEP_1)
	v_mov_b32_e32 v31, v37
	v_pk_add_f32 v[30:31], v[20:21], v[30:31]
	flat_store_b64 v[18:19], v[30:31]
.LBB361_21:                             ;   in Loop: Header=BB361_6 Depth=1
	s_and_not1_b32 vcc_lo, exec_lo, s27
	s_cbranch_vccnz .LBB361_23
; %bb.22:                               ;   in Loop: Header=BB361_6 Depth=1
	flat_store_b64 v[18:19], v[20:21]
.LBB361_23:                             ;   in Loop: Header=BB361_6 Depth=1
	s_wait_xcnt 0x0
	s_or_b32 exec_lo, exec_lo, s26
	v_lshl_add_u64 v[16:17], v[10:11], 3, v[16:17]
	s_and_saveexec_b32 s26, s36
	s_cbranch_execz .LBB361_28
; %bb.24:                               ;   in Loop: Header=BB361_6 Depth=1
	v_mov_b64_e32 v[18:19], s[4:5]
	v_mov_b64_e32 v[20:21], s[14:15]
	s_and_not1_b32 vcc_lo, exec_lo, s34
	s_mov_b32 s27, -1
	s_delay_alu instid0(VALU_DEP_2) | instskip(NEXT) | instid1(VALU_DEP_1)
	v_pk_mul_f32 v[18:19], v[28:29], v[18:19] op_sel_hi:[0,1]
	v_pk_fma_f32 v[28:29], v[26:27], v[20:21], v[18:19] op_sel_hi:[0,1,1]
	v_pk_fma_f32 v[18:19], v[26:27], v[20:21], v[18:19] neg_lo:[0,0,1] neg_hi:[0,0,1]
	v_lshl_add_u64 v[20:21], v[4:5], 3, v[16:17]
	s_delay_alu instid0(VALU_DEP_3)
	v_mov_b32_e32 v19, v29
	s_cbranch_vccnz .LBB361_26
; %bb.25:                               ;   in Loop: Header=BB361_6 Depth=1
	flat_load_b64 v[28:29], v[20:21]
	v_mov_b64_e32 v[30:31], s[20:21]
	v_mov_b64_e32 v[32:33], s[2:3]
	s_mov_b32 s27, 0
	s_wait_loadcnt_dscnt 0x0
	s_delay_alu instid0(VALU_DEP_2) | instskip(NEXT) | instid1(VALU_DEP_1)
	v_pk_mul_f32 v[30:31], v[28:29], v[30:31]
	v_pk_fma_f32 v[34:35], v[28:29], v[32:33], v[30:31] op_sel:[0,0,1] op_sel_hi:[1,1,0]
	v_pk_fma_f32 v[28:29], v[28:29], v[32:33], v[30:31] op_sel:[0,0,1] op_sel_hi:[1,1,0] neg_lo:[0,0,1] neg_hi:[0,0,1]
	s_delay_alu instid0(VALU_DEP_2) | instskip(NEXT) | instid1(VALU_DEP_1)
	v_mov_b32_e32 v29, v35
	v_pk_add_f32 v[28:29], v[18:19], v[28:29]
	flat_store_b64 v[20:21], v[28:29]
.LBB361_26:                             ;   in Loop: Header=BB361_6 Depth=1
	s_and_not1_b32 vcc_lo, exec_lo, s27
	s_cbranch_vccnz .LBB361_28
; %bb.27:                               ;   in Loop: Header=BB361_6 Depth=1
	flat_store_b64 v[20:21], v[18:19]
.LBB361_28:                             ;   in Loop: Header=BB361_6 Depth=1
	s_wait_xcnt 0x0
	s_or_b32 exec_lo, exec_lo, s26
	s_and_saveexec_b32 s26, s37
	s_cbranch_execz .LBB361_5
; %bb.29:                               ;   in Loop: Header=BB361_6 Depth=1
	v_mov_b64_e32 v[18:19], s[4:5]
	v_mov_b64_e32 v[20:21], s[14:15]
	v_lshl_add_u64 v[16:17], v[8:9], 3, v[16:17]
	s_and_not1_b32 vcc_lo, exec_lo, s34
	s_mov_b32 s27, -1
	s_delay_alu instid0(VALU_DEP_3) | instskip(NEXT) | instid1(VALU_DEP_1)
	v_pk_mul_f32 v[18:19], v[24:25], v[18:19] op_sel_hi:[0,1]
	v_pk_fma_f32 v[28:29], v[22:23], v[20:21], v[18:19] op_sel_hi:[0,1,1]
	v_pk_fma_f32 v[18:19], v[22:23], v[20:21], v[18:19] neg_lo:[0,0,1] neg_hi:[0,0,1]
	s_delay_alu instid0(VALU_DEP_2)
	v_mov_b32_e32 v19, v29
	s_cbranch_vccnz .LBB361_31
; %bb.30:                               ;   in Loop: Header=BB361_6 Depth=1
	flat_load_b64 v[20:21], v[16:17]
	v_mov_b64_e32 v[28:29], s[20:21]
	v_mov_b64_e32 v[30:31], s[2:3]
	s_mov_b32 s27, 0
	s_wait_loadcnt_dscnt 0x0
	s_delay_alu instid0(VALU_DEP_2) | instskip(NEXT) | instid1(VALU_DEP_1)
	v_pk_mul_f32 v[28:29], v[20:21], v[28:29]
	v_pk_fma_f32 v[32:33], v[20:21], v[30:31], v[28:29] op_sel:[0,0,1] op_sel_hi:[1,1,0]
	v_pk_fma_f32 v[20:21], v[20:21], v[30:31], v[28:29] op_sel:[0,0,1] op_sel_hi:[1,1,0] neg_lo:[0,0,1] neg_hi:[0,0,1]
	s_delay_alu instid0(VALU_DEP_2) | instskip(NEXT) | instid1(VALU_DEP_1)
	v_mov_b32_e32 v21, v33
	v_pk_add_f32 v[20:21], v[18:19], v[20:21]
	flat_store_b64 v[16:17], v[20:21]
.LBB361_31:                             ;   in Loop: Header=BB361_6 Depth=1
	s_and_not1_b32 vcc_lo, exec_lo, s27
	s_cbranch_vccnz .LBB361_5
; %bb.32:                               ;   in Loop: Header=BB361_6 Depth=1
	flat_store_b64 v[16:17], v[18:19]
	s_branch .LBB361_5
.LBB361_33:
	s_sendmsg sendmsg(MSG_DEALLOC_VGPRS)
	s_endpgm
	.section	.rodata,"a",@progbits
	.p2align	6, 0x0
	.amdhsa_kernel _ZL29rocblas_internal_gemmt_kernelIiLi16ELi32ELi8ELc78ELc84ELc85ELb0ELb0E19rocblas_complex_numIfEPKS1_PKS3_PKPS1_EviT_T9_T10_S9_lSB_S9_lSA_T11_S9_li
		.amdhsa_group_segment_fixed_size 4096
		.amdhsa_private_segment_fixed_size 0
		.amdhsa_kernarg_size 100
		.amdhsa_user_sgpr_count 2
		.amdhsa_user_sgpr_dispatch_ptr 0
		.amdhsa_user_sgpr_queue_ptr 0
		.amdhsa_user_sgpr_kernarg_segment_ptr 1
		.amdhsa_user_sgpr_dispatch_id 0
		.amdhsa_user_sgpr_kernarg_preload_length 0
		.amdhsa_user_sgpr_kernarg_preload_offset 0
		.amdhsa_user_sgpr_private_segment_size 0
		.amdhsa_wavefront_size32 1
		.amdhsa_uses_dynamic_stack 0
		.amdhsa_enable_private_segment 0
		.amdhsa_system_sgpr_workgroup_id_x 1
		.amdhsa_system_sgpr_workgroup_id_y 1
		.amdhsa_system_sgpr_workgroup_id_z 1
		.amdhsa_system_sgpr_workgroup_info 0
		.amdhsa_system_vgpr_workitem_id 1
		.amdhsa_next_free_vgpr 71
		.amdhsa_next_free_sgpr 39
		.amdhsa_named_barrier_count 0
		.amdhsa_reserve_vcc 1
		.amdhsa_float_round_mode_32 0
		.amdhsa_float_round_mode_16_64 0
		.amdhsa_float_denorm_mode_32 3
		.amdhsa_float_denorm_mode_16_64 3
		.amdhsa_fp16_overflow 0
		.amdhsa_memory_ordered 1
		.amdhsa_forward_progress 1
		.amdhsa_inst_pref_size 26
		.amdhsa_round_robin_scheduling 0
		.amdhsa_exception_fp_ieee_invalid_op 0
		.amdhsa_exception_fp_denorm_src 0
		.amdhsa_exception_fp_ieee_div_zero 0
		.amdhsa_exception_fp_ieee_overflow 0
		.amdhsa_exception_fp_ieee_underflow 0
		.amdhsa_exception_fp_ieee_inexact 0
		.amdhsa_exception_int_div_zero 0
	.end_amdhsa_kernel
	.section	.text._ZL29rocblas_internal_gemmt_kernelIiLi16ELi32ELi8ELc78ELc84ELc85ELb0ELb0E19rocblas_complex_numIfEPKS1_PKS3_PKPS1_EviT_T9_T10_S9_lSB_S9_lSA_T11_S9_li,"axG",@progbits,_ZL29rocblas_internal_gemmt_kernelIiLi16ELi32ELi8ELc78ELc84ELc85ELb0ELb0E19rocblas_complex_numIfEPKS1_PKS3_PKPS1_EviT_T9_T10_S9_lSB_S9_lSA_T11_S9_li,comdat
.Lfunc_end361:
	.size	_ZL29rocblas_internal_gemmt_kernelIiLi16ELi32ELi8ELc78ELc84ELc85ELb0ELb0E19rocblas_complex_numIfEPKS1_PKS3_PKPS1_EviT_T9_T10_S9_lSB_S9_lSA_T11_S9_li, .Lfunc_end361-_ZL29rocblas_internal_gemmt_kernelIiLi16ELi32ELi8ELc78ELc84ELc85ELb0ELb0E19rocblas_complex_numIfEPKS1_PKS3_PKPS1_EviT_T9_T10_S9_lSB_S9_lSA_T11_S9_li
                                        ; -- End function
	.set _ZL29rocblas_internal_gemmt_kernelIiLi16ELi32ELi8ELc78ELc84ELc85ELb0ELb0E19rocblas_complex_numIfEPKS1_PKS3_PKPS1_EviT_T9_T10_S9_lSB_S9_lSA_T11_S9_li.num_vgpr, 71
	.set _ZL29rocblas_internal_gemmt_kernelIiLi16ELi32ELi8ELc78ELc84ELc85ELb0ELb0E19rocblas_complex_numIfEPKS1_PKS3_PKPS1_EviT_T9_T10_S9_lSB_S9_lSA_T11_S9_li.num_agpr, 0
	.set _ZL29rocblas_internal_gemmt_kernelIiLi16ELi32ELi8ELc78ELc84ELc85ELb0ELb0E19rocblas_complex_numIfEPKS1_PKS3_PKPS1_EviT_T9_T10_S9_lSB_S9_lSA_T11_S9_li.numbered_sgpr, 39
	.set _ZL29rocblas_internal_gemmt_kernelIiLi16ELi32ELi8ELc78ELc84ELc85ELb0ELb0E19rocblas_complex_numIfEPKS1_PKS3_PKPS1_EviT_T9_T10_S9_lSB_S9_lSA_T11_S9_li.num_named_barrier, 0
	.set _ZL29rocblas_internal_gemmt_kernelIiLi16ELi32ELi8ELc78ELc84ELc85ELb0ELb0E19rocblas_complex_numIfEPKS1_PKS3_PKPS1_EviT_T9_T10_S9_lSB_S9_lSA_T11_S9_li.private_seg_size, 0
	.set _ZL29rocblas_internal_gemmt_kernelIiLi16ELi32ELi8ELc78ELc84ELc85ELb0ELb0E19rocblas_complex_numIfEPKS1_PKS3_PKPS1_EviT_T9_T10_S9_lSB_S9_lSA_T11_S9_li.uses_vcc, 1
	.set _ZL29rocblas_internal_gemmt_kernelIiLi16ELi32ELi8ELc78ELc84ELc85ELb0ELb0E19rocblas_complex_numIfEPKS1_PKS3_PKPS1_EviT_T9_T10_S9_lSB_S9_lSA_T11_S9_li.uses_flat_scratch, 0
	.set _ZL29rocblas_internal_gemmt_kernelIiLi16ELi32ELi8ELc78ELc84ELc85ELb0ELb0E19rocblas_complex_numIfEPKS1_PKS3_PKPS1_EviT_T9_T10_S9_lSB_S9_lSA_T11_S9_li.has_dyn_sized_stack, 0
	.set _ZL29rocblas_internal_gemmt_kernelIiLi16ELi32ELi8ELc78ELc84ELc85ELb0ELb0E19rocblas_complex_numIfEPKS1_PKS3_PKPS1_EviT_T9_T10_S9_lSB_S9_lSA_T11_S9_li.has_recursion, 0
	.set _ZL29rocblas_internal_gemmt_kernelIiLi16ELi32ELi8ELc78ELc84ELc85ELb0ELb0E19rocblas_complex_numIfEPKS1_PKS3_PKPS1_EviT_T9_T10_S9_lSB_S9_lSA_T11_S9_li.has_indirect_call, 0
	.section	.AMDGPU.csdata,"",@progbits
; Kernel info:
; codeLenInByte = 3248
; TotalNumSgprs: 41
; NumVgprs: 71
; ScratchSize: 0
; MemoryBound: 0
; FloatMode: 240
; IeeeMode: 1
; LDSByteSize: 4096 bytes/workgroup (compile time only)
; SGPRBlocks: 0
; VGPRBlocks: 4
; NumSGPRsForWavesPerEU: 41
; NumVGPRsForWavesPerEU: 71
; NamedBarCnt: 0
; Occupancy: 12
; WaveLimiterHint : 1
; COMPUTE_PGM_RSRC2:SCRATCH_EN: 0
; COMPUTE_PGM_RSRC2:USER_SGPR: 2
; COMPUTE_PGM_RSRC2:TRAP_HANDLER: 0
; COMPUTE_PGM_RSRC2:TGID_X_EN: 1
; COMPUTE_PGM_RSRC2:TGID_Y_EN: 1
; COMPUTE_PGM_RSRC2:TGID_Z_EN: 1
; COMPUTE_PGM_RSRC2:TIDIG_COMP_CNT: 1
	.section	.text._ZL29rocblas_internal_gemmt_kernelIiLi16ELi32ELi8ELc78ELc67ELc85ELb0ELb1E19rocblas_complex_numIfEPKS1_PKS3_PKPS1_EviT_T9_T10_S9_lSB_S9_lSA_T11_S9_li,"axG",@progbits,_ZL29rocblas_internal_gemmt_kernelIiLi16ELi32ELi8ELc78ELc67ELc85ELb0ELb1E19rocblas_complex_numIfEPKS1_PKS3_PKPS1_EviT_T9_T10_S9_lSB_S9_lSA_T11_S9_li,comdat
	.globl	_ZL29rocblas_internal_gemmt_kernelIiLi16ELi32ELi8ELc78ELc67ELc85ELb0ELb1E19rocblas_complex_numIfEPKS1_PKS3_PKPS1_EviT_T9_T10_S9_lSB_S9_lSA_T11_S9_li ; -- Begin function _ZL29rocblas_internal_gemmt_kernelIiLi16ELi32ELi8ELc78ELc67ELc85ELb0ELb1E19rocblas_complex_numIfEPKS1_PKS3_PKPS1_EviT_T9_T10_S9_lSB_S9_lSA_T11_S9_li
	.p2align	8
	.type	_ZL29rocblas_internal_gemmt_kernelIiLi16ELi32ELi8ELc78ELc67ELc85ELb0ELb1E19rocblas_complex_numIfEPKS1_PKS3_PKPS1_EviT_T9_T10_S9_lSB_S9_lSA_T11_S9_li,@function
_ZL29rocblas_internal_gemmt_kernelIiLi16ELi32ELi8ELc78ELc67ELc85ELb0ELb1E19rocblas_complex_numIfEPKS1_PKS3_PKPS1_EviT_T9_T10_S9_lSB_S9_lSA_T11_S9_li: ; @_ZL29rocblas_internal_gemmt_kernelIiLi16ELi32ELi8ELc78ELc67ELc85ELb0ELb1E19rocblas_complex_numIfEPKS1_PKS3_PKPS1_EviT_T9_T10_S9_lSB_S9_lSA_T11_S9_li
; %bb.0:
	s_load_b128 s[12:15], s[0:1], 0x38
	s_wait_kmcnt 0x0
	s_load_b64 s[20:21], s[14:15], 0x0
	s_clause 0x1
	s_load_b128 s[4:7], s[0:1], 0x8
	s_load_b64 s[22:23], s[0:1], 0x0
	s_wait_kmcnt 0x0
	s_cmp_neq_f32 s20, 1.0
	s_load_b64 s[14:15], s[4:5], 0x0
	s_cselect_b32 s3, -1, 0
	s_wait_xcnt 0x0
	s_and_b32 s4, s21, 0x7fffffff
	s_delay_alu instid0(SALU_CYCLE_1) | instskip(SKIP_3) | instid1(SALU_CYCLE_1)
	s_cmp_eq_u32 s4, 0
	s_cselect_b32 s2, -1, 0
	s_cmp_lg_u32 s4, 0
	s_cselect_b32 s4, -1, 0
	s_or_b32 s3, s3, s4
	s_delay_alu instid0(SALU_CYCLE_1)
	s_and_b32 vcc_lo, exec_lo, s3
	s_cbranch_vccnz .LBB362_2
; %bb.1:
	s_cmp_lg_u32 s23, 0
	s_cselect_b32 s3, -1, 0
	s_wait_kmcnt 0x0
	s_cmp_neq_f32 s14, 0
	s_cselect_b32 s4, -1, 0
	s_cmp_neq_f32 s15, 0
	s_cselect_b32 s5, -1, 0
	s_delay_alu instid0(SALU_CYCLE_1) | instskip(NEXT) | instid1(SALU_CYCLE_1)
	s_or_b32 s4, s4, s5
	s_and_b32 s3, s3, s4
.LBB362_2:
	s_delay_alu instid0(SALU_CYCLE_1)
	s_and_not1_b32 vcc_lo, exec_lo, s3
	s_cbranch_vccnz .LBB362_35
; %bb.3:
	s_load_b32 s33, s[0:1], 0x60
	s_bfe_u32 s3, ttmp6, 0x40014
	s_lshr_b32 s4, ttmp7, 16
	s_add_co_i32 s3, s3, 1
	s_bfe_u32 s8, ttmp6, 0x40008
	s_mul_i32 s5, s4, s3
	s_getreg_b32 s3, hwreg(HW_REG_IB_STS2, 6, 4)
	s_add_co_i32 s8, s8, s5
	s_cmp_eq_u32 s3, 0
	s_mov_b32 s25, 0
	s_cselect_b32 s24, s4, s8
	s_wait_kmcnt 0x0
	s_cmp_ge_u32 s24, s33
	s_cbranch_scc1 .LBB362_35
; %bb.4:
	s_clause 0x4
	s_load_b32 s28, s[0:1], 0x18
	s_load_b32 s26, s[0:1], 0x30
	s_load_b96 s[16:18], s[0:1], 0x48
	s_load_b128 s[8:11], s[0:1], 0x20
	s_load_b64 s[30:31], s[0:1], 0x58
	s_wait_xcnt 0x0
	s_bfe_u32 s1, ttmp6, 0x4000c
	s_bfe_u32 s5, ttmp6, 0x40010
	v_and_b32_e32 v4, 0x3ff, v0
	v_bfe_u32 v5, v0, 10, 10
	s_and_b32 s4, ttmp7, 0xffff
	s_add_co_i32 s1, s1, 1
	s_add_co_i32 s5, s5, 1
	s_and_b32 s0, ttmp6, 15
	s_bfe_u32 s19, ttmp6, 0x40004
	s_mul_i32 s1, ttmp9, s1
	s_mul_i32 s5, s4, s5
	s_add_co_i32 s0, s0, s1
	s_add_co_i32 s19, s19, s5
	v_lshl_add_u32 v1, v5, 4, v4
	v_dual_mov_b32 v3, 0 :: v_dual_bitop2_b32 v0, 7, v0 bitop3:0x40
	s_wait_kmcnt 0x0
	s_ashr_i32 s29, s28, 31
	s_ashr_i32 s27, s26, 31
	;; [unrolled: 1-line block ×3, first 2 shown]
	s_cmp_eq_u32 s3, 0
	v_dual_lshrrev_b32 v2, 5, v1 :: v_dual_lshrrev_b32 v6, 3, v1
	s_cselect_b32 s1, s4, s19
	s_cselect_b32 s0, ttmp9, s0
	s_lshl_b32 s1, s1, 5
	s_delay_alu instid0(VALU_DEP_1) | instid1(SALU_CYCLE_1)
	v_dual_add_nc_u32 v12, s1, v6 :: v_dual_bitop2_b32 v1, 31, v1 bitop3:0x40
	s_lshl_b32 s3, s0, 5
	v_dual_lshlrev_b32 v7, 3, v0 :: v_dual_add_nc_u32 v18, s1, v5
	s_delay_alu instid0(VALU_DEP_2) | instskip(SKIP_1) | instid1(VALU_DEP_3)
	v_dual_lshlrev_b32 v8, 3, v1 :: v_dual_bitop2_b32 v14, s3, v1 bitop3:0x54
	v_mov_b32_e32 v1, v3
	v_lshl_or_b32 v6, v6, 6, v7
	v_mul_u64_e32 v[20:21], s[28:29], v[2:3]
	v_dual_ashrrev_i32 v13, 31, v12 :: v_dual_add_nc_u32 v28, 16, v18
	s_delay_alu instid0(VALU_DEP_4)
	v_mul_u64_e32 v[16:17], s[26:27], v[0:1]
	v_dual_lshlrev_b32 v1, 3, v4 :: v_dual_add_nc_u32 v4, s3, v4
	v_ashrrev_i32_e32 v19, 31, v18
	s_cmp_neq_f32 s14, 0
	v_add_nc_u32_e32 v25, 0x800, v6
	v_lshl_add_u32 v27, v5, 6, 0x800
	v_dual_add_nc_u32 v6, 16, v4 :: v_dual_ashrrev_i32 v5, 31, v4
	s_cselect_b32 s0, -1, 0
	s_cmp_neq_f32 s15, 0
	s_delay_alu instid0(VALU_DEP_1)
	v_dual_ashrrev_i32 v29, 31, v28 :: v_dual_ashrrev_i32 v7, 31, v6
	s_mov_b32 s4, s18
	s_cselect_b32 s18, -1, 0
	v_lshl_or_b32 v23, v2, 8, v8
	v_mul_u64_e32 v[8:9], s[4:5], v[18:19]
	v_mul_u64_e32 v[10:11], s[4:5], v[28:29]
	s_or_b32 s18, s0, s18
	s_cmp_gt_i32 s23, 0
	v_cmp_le_i32_e64 s4, v4, v28
	s_cselect_b32 s19, -1, 0
	s_cmp_neq_f32 s20, 0
	v_cmp_le_i32_e64 s5, v6, v28
	v_cmp_gt_i32_e64 s0, s22, v14
	v_cmp_gt_i32_e32 vcc_lo, s22, v12
	s_cselect_b32 s3, -1, 0
	s_xor_b32 s34, s2, -1
	v_cmp_gt_i32_e64 s1, s22, v18
	s_or_b32 s34, s3, s34
	v_cmp_gt_i32_e64 s3, s22, v28
	v_cmp_le_i32_e64 s2, v4, v18
	s_lshl_b64 s[8:9], s[8:9], 3
	s_and_b32 s22, s3, s4
	s_and_b32 s36, s3, s5
	s_lshl_b64 s[4:5], s[12:13], 3
	s_and_b32 s35, s1, s2
	v_lshl_add_u64 v[16:17], v[16:17], 3, s[4:5]
	v_cmp_le_i32_e64 s2, v6, v18
	v_lshl_add_u64 v[18:19], v[20:21], 3, s[8:9]
	s_mov_b32 s3, s20
	s_mov_b32 s4, s15
	v_lshl_add_u64 v[12:13], v[12:13], 3, v[16:17]
	v_ashrrev_i32_e32 v15, 31, v14
	s_and_b32 s1, s1, s2
	s_mov_b32 s2, s20
	s_mov_b32 s20, s21
	v_or_b32_e32 v12, 4, v12
	v_lshl_add_u64 v[14:15], v[14:15], 3, v[18:19]
	s_mov_b32 s5, s14
	s_lshl_b64 s[8:9], s[28:29], 6
	s_and_b32 s28, s18, s19
	s_lshl_b64 s[12:13], s[26:27], 6
	s_xor_b32 s26, vcc_lo, -1
	s_lshl_b64 s[18:19], s[30:31], 3
	s_branch .LBB362_6
.LBB362_5:                              ;   in Loop: Header=BB362_6 Depth=1
	s_wait_xcnt 0x0
	s_or_b32 exec_lo, exec_lo, s27
	s_add_co_i32 s24, s24, 0x10000
	s_delay_alu instid0(SALU_CYCLE_1)
	s_cmp_lt_u32 s24, s33
	s_cbranch_scc0 .LBB362_35
.LBB362_6:                              ; =>This Loop Header: Depth=1
                                        ;     Child Loop BB362_9 Depth 2
	v_dual_mov_b32 v16, s24 :: v_dual_mov_b32 v34, 0
	v_dual_mov_b32 v36, 0 :: v_dual_mov_b32 v30, 0
	;; [unrolled: 1-line block ×3, first 2 shown]
	global_load_b64 v[16:17], v16, s[16:17] scale_offset
	v_dual_mov_b32 v28, 0 :: v_dual_mov_b32 v22, 0
	v_mov_b32_e32 v24, 0
	s_and_not1_b32 vcc_lo, exec_lo, s28
	s_cbranch_vccnz .LBB362_15
; %bb.7:                                ;   in Loop: Header=BB362_6 Depth=1
	s_lshl_b64 s[30:31], s[24:25], 3
	v_dual_mov_b32 v24, 0 :: v_dual_mov_b32 v22, 0
	s_add_nc_u64 s[38:39], s[6:7], s[30:31]
	s_add_nc_u64 s[30:31], s[10:11], s[30:31]
	s_clause 0x1
	global_load_b64 v[18:19], v3, s[38:39]
	global_load_b64 v[20:21], v3, s[30:31]
	v_dual_mov_b32 v28, 0 :: v_dual_mov_b32 v26, 0
	v_dual_mov_b32 v32, 0 :: v_dual_mov_b32 v30, 0
	v_dual_mov_b32 v36, 0 :: v_dual_mov_b32 v34, 0
	s_mov_b32 s27, 0
	s_wait_loadcnt 0x1
	v_add_nc_u64_e32 v[18:19], v[18:19], v[14:15]
	s_wait_loadcnt 0x0
	v_add_nc_u64_e32 v[20:21], v[20:21], v[12:13]
	s_branch .LBB362_9
.LBB362_8:                              ;   in Loop: Header=BB362_9 Depth=2
	s_wait_xcnt 0x0
	s_or_b32 exec_lo, exec_lo, s29
	ds_store_b32 v25, v29 offset:4
	s_wait_dscnt 0x0
	s_barrier_signal -1
	s_barrier_wait -1
	ds_load_b128 v[38:41], v27
	ds_load_2addr_b64 v[42:45], v1 offset1:16
	ds_load_b128 v[46:49], v27 offset:1024
	ds_load_b128 v[50:53], v27 offset:16
	ds_load_2addr_b64 v[54:57], v1 offset0:32 offset1:48
	ds_load_b128 v[58:61], v27 offset:32
	ds_load_b128 v[62:65], v27 offset:48
	;; [unrolled: 1-line block ×3, first 2 shown]
	v_add_nc_u64_e32 v[18:19], s[8:9], v[18:19]
	v_add_nc_u64_e32 v[20:21], s[12:13], v[20:21]
	s_add_co_i32 s27, s27, 8
	s_delay_alu instid0(SALU_CYCLE_1)
	s_cmp_lt_i32 s27, s23
	s_wait_dscnt 0x6
	v_dual_mul_f32 v29, v39, v43 :: v_dual_mul_f32 v31, v38, v43
	v_dual_mul_f32 v33, v39, v45 :: v_dual_mul_f32 v35, v38, v45
	s_wait_dscnt 0x5
	v_dual_mul_f32 v37, v47, v43 :: v_dual_mul_f32 v43, v46, v43
	v_dual_mul_f32 v70, v47, v45 :: v_dual_mul_f32 v45, v46, v45
	v_dual_fma_f32 v29, v38, v42, -v29 :: v_dual_fmac_f32 v31, v39, v42
	v_dual_fma_f32 v33, v38, v44, -v33 :: v_dual_fmac_f32 v35, v39, v44
	s_delay_alu instid0(VALU_DEP_4) | instskip(NEXT) | instid1(VALU_DEP_3)
	v_dual_fma_f32 v37, v46, v42, -v37 :: v_dual_fmac_f32 v43, v47, v42
	v_dual_fma_f32 v38, v46, v44, -v70 :: v_dual_add_f32 v36, v36, v31
	s_delay_alu instid0(VALU_DEP_3) | instskip(NEXT) | instid1(VALU_DEP_3)
	v_dual_add_f32 v34, v34, v29 :: v_dual_add_f32 v32, v32, v35
	v_dual_add_f32 v33, v30, v33 :: v_dual_add_f32 v35, v28, v43
	s_wait_dscnt 0x3
	v_dual_add_f32 v26, v26, v37 :: v_dual_mul_f32 v37, v41, v55
	ds_load_2addr_b64 v[28:31], v1 offset0:64 offset1:80
	v_dual_fmac_f32 v45, v47, v44 :: v_dual_add_f32 v22, v22, v38
	v_dual_mul_f32 v38, v40, v55 :: v_dual_fma_f32 v37, v40, v54, -v37
	v_mul_f32_e32 v39, v41, v57
	s_delay_alu instid0(VALU_DEP_2) | instskip(SKIP_1) | instid1(VALU_DEP_3)
	v_dual_add_f32 v24, v24, v45 :: v_dual_fmac_f32 v38, v41, v54
	v_mul_f32_e32 v42, v40, v57
	v_dual_add_f32 v37, v34, v37 :: v_dual_fma_f32 v34, v40, v56, -v39
	s_delay_alu instid0(VALU_DEP_3) | instskip(NEXT) | instid1(VALU_DEP_3)
	v_dual_mul_f32 v39, v49, v55 :: v_dual_add_f32 v36, v36, v38
	v_dual_fmac_f32 v42, v41, v56 :: v_dual_mul_f32 v38, v48, v55
	s_delay_alu instid0(VALU_DEP_3) | instskip(NEXT) | instid1(VALU_DEP_3)
	v_dual_add_f32 v40, v33, v34 :: v_dual_mul_f32 v41, v48, v57
	v_dual_fma_f32 v33, v48, v54, -v39 :: v_dual_mul_f32 v34, v49, v57
	s_delay_alu instid0(VALU_DEP_3) | instskip(NEXT) | instid1(VALU_DEP_3)
	v_add_f32_e32 v39, v32, v42
	v_dual_fmac_f32 v38, v49, v54 :: v_dual_fmac_f32 v41, v49, v56
	s_wait_dscnt 0x0
	v_mul_f32_e32 v42, v50, v29
	v_add_f32_e32 v26, v26, v33
	v_dual_mul_f32 v33, v51, v29 :: v_dual_fma_f32 v32, v48, v56, -v34
	v_add_f32_e32 v38, v35, v38
	s_delay_alu instid0(VALU_DEP_4) | instskip(NEXT) | instid1(VALU_DEP_3)
	v_dual_mul_f32 v44, v51, v31 :: v_dual_fmac_f32 v42, v51, v28
	v_fma_f32 v43, v50, v28, -v33
	s_delay_alu instid0(VALU_DEP_4) | instskip(SKIP_4) | instid1(VALU_DEP_3)
	v_add_f32_e32 v22, v22, v32
	ds_load_2addr_b64 v[32:35], v1 offset0:96 offset1:112
	v_dual_add_f32 v24, v24, v41 :: v_dual_mul_f32 v41, v50, v31
	v_dual_add_f32 v37, v37, v43 :: v_dual_fma_f32 v43, v50, v30, -v44
	v_dual_add_f32 v36, v36, v42 :: v_dual_mul_f32 v42, v67, v29
	v_dual_mul_f32 v29, v66, v29 :: v_dual_fmac_f32 v41, v51, v30
	s_delay_alu instid0(VALU_DEP_3) | instskip(NEXT) | instid1(VALU_DEP_3)
	v_add_f32_e32 v40, v40, v43
	v_dual_mul_f32 v43, v67, v31 :: v_dual_fma_f32 v42, v66, v28, -v42
	s_delay_alu instid0(VALU_DEP_3) | instskip(NEXT) | instid1(VALU_DEP_2)
	v_dual_fmac_f32 v29, v67, v28 :: v_dual_mul_f32 v44, v66, v31
	v_dual_add_f32 v41, v39, v41 :: v_dual_fma_f32 v28, v66, v30, -v43
	s_delay_alu instid0(VALU_DEP_3) | instskip(NEXT) | instid1(VALU_DEP_3)
	v_add_f32_e32 v26, v26, v42
	v_dual_add_f32 v42, v38, v29 :: v_dual_fmac_f32 v44, v67, v30
	s_wait_dscnt 0x0
	s_delay_alu instid0(VALU_DEP_3)
	v_dual_mul_f32 v38, v53, v33 :: v_dual_add_f32 v22, v22, v28
	v_mul_f32_e32 v39, v52, v33
	ds_load_2addr_b64 v[28:31], v1 offset0:128 offset1:144
	v_dual_mul_f32 v43, v53, v35 :: v_dual_fma_f32 v38, v52, v32, -v38
	v_fmac_f32_e32 v39, v53, v32
	v_add_f32_e32 v24, v24, v44
	s_delay_alu instid0(VALU_DEP_3) | instskip(NEXT) | instid1(VALU_DEP_4)
	v_dual_mul_f32 v44, v52, v35 :: v_dual_fma_f32 v43, v52, v34, -v43
	v_add_f32_e32 v45, v37, v38
	s_delay_alu instid0(VALU_DEP_4) | instskip(NEXT) | instid1(VALU_DEP_3)
	v_dual_mul_f32 v37, v69, v33 :: v_dual_add_f32 v46, v36, v39
	v_dual_fmac_f32 v44, v53, v34 :: v_dual_add_f32 v47, v40, v43
	s_delay_alu instid0(VALU_DEP_2)
	v_dual_mul_f32 v33, v68, v33 :: v_dual_fma_f32 v40, v68, v32, -v37
	v_mul_f32_e32 v43, v69, v35
	ds_load_b128 v[36:39], v27 offset:1056
	v_dual_add_f32 v44, v41, v44 :: v_dual_mul_f32 v41, v68, v35
	v_dual_fmac_f32 v33, v69, v32 :: v_dual_fma_f32 v32, v68, v34, -v43
	s_wait_dscnt 0x1
	v_dual_add_f32 v26, v26, v40 :: v_dual_mul_f32 v35, v59, v29
	s_delay_alu instid0(VALU_DEP_2) | instskip(NEXT) | instid1(VALU_DEP_3)
	v_dual_fmac_f32 v41, v69, v34 :: v_dual_add_f32 v48, v42, v33
	v_dual_mul_f32 v42, v59, v31 :: v_dual_add_f32 v22, v22, v32
	s_delay_alu instid0(VALU_DEP_3)
	v_dual_mul_f32 v49, v58, v29 :: v_dual_fma_f32 v40, v58, v28, -v35
	ds_load_2addr_b64 v[32:35], v1 offset0:160 offset1:176
	v_dual_add_f32 v24, v24, v41 :: v_dual_mul_f32 v50, v58, v31
	v_fmac_f32_e32 v49, v59, v28
	v_dual_add_f32 v45, v45, v40 :: v_dual_fma_f32 v51, v58, v30, -v42
	ds_load_b128 v[40:43], v27 offset:1072
	s_wait_dscnt 0x2
	v_dual_mul_f32 v52, v37, v29 :: v_dual_fmac_f32 v50, v59, v30
	v_dual_add_f32 v46, v46, v49 :: v_dual_add_f32 v47, v47, v51
	s_delay_alu instid0(VALU_DEP_2) | instskip(NEXT) | instid1(VALU_DEP_3)
	v_dual_mul_f32 v29, v36, v29 :: v_dual_fma_f32 v49, v36, v28, -v52
	v_dual_mul_f32 v51, v37, v31 :: v_dual_add_f32 v44, v44, v50
	s_delay_alu instid0(VALU_DEP_2) | instskip(NEXT) | instid1(VALU_DEP_2)
	v_dual_mul_f32 v50, v36, v31 :: v_dual_fmac_f32 v29, v37, v28
	v_dual_add_f32 v26, v26, v49 :: v_dual_fma_f32 v28, v36, v30, -v51
	s_wait_dscnt 0x1
	v_mul_f32_e32 v31, v61, v33
	s_delay_alu instid0(VALU_DEP_3) | instskip(NEXT) | instid1(VALU_DEP_3)
	v_dual_add_f32 v36, v48, v29 :: v_dual_fmac_f32 v50, v37, v30
	v_dual_mul_f32 v37, v60, v33 :: v_dual_add_f32 v22, v22, v28
	s_delay_alu instid0(VALU_DEP_3) | instskip(SKIP_3) | instid1(VALU_DEP_2)
	v_dual_mul_f32 v49, v61, v35 :: v_dual_fma_f32 v48, v60, v32, -v31
	ds_load_2addr_b64 v[28:31], v1 offset0:192 offset1:208
	v_dual_fmac_f32 v37, v61, v32 :: v_dual_add_f32 v24, v24, v50
	v_dual_fma_f32 v49, v60, v34, -v49 :: v_dual_add_f32 v48, v45, v48
	v_dual_mul_f32 v45, v60, v35 :: v_dual_add_f32 v37, v46, v37
	v_dual_mul_f32 v46, v39, v33 :: v_dual_mul_f32 v33, v38, v33
	s_delay_alu instid0(VALU_DEP_2) | instskip(NEXT) | instid1(VALU_DEP_2)
	v_dual_add_f32 v49, v47, v49 :: v_dual_fmac_f32 v45, v61, v34
	v_dual_mul_f32 v47, v39, v35 :: v_dual_fma_f32 v46, v38, v32, -v46
	s_delay_alu instid0(VALU_DEP_3) | instskip(NEXT) | instid1(VALU_DEP_2)
	v_dual_fmac_f32 v33, v39, v32 :: v_dual_mul_f32 v35, v38, v35
	v_dual_add_f32 v32, v44, v45 :: v_dual_fma_f32 v38, v38, v34, -v47
	s_delay_alu instid0(VALU_DEP_2)
	v_dual_add_f32 v26, v26, v46 :: v_dual_add_f32 v33, v36, v33
	ds_load_2addr_b64 v[44:47], v1 offset0:224 offset1:240
	s_wait_dscnt 0x1
	v_mul_f32_e32 v36, v63, v29
	v_dual_fmac_f32 v35, v39, v34 :: v_dual_mul_f32 v34, v62, v29
	v_add_f32_e32 v22, v22, v38
	s_delay_alu instid0(VALU_DEP_3) | instskip(NEXT) | instid1(VALU_DEP_3)
	v_dual_mul_f32 v38, v62, v31 :: v_dual_fma_f32 v36, v62, v28, -v36
	v_add_f32_e32 v24, v24, v35
	s_delay_alu instid0(VALU_DEP_4) | instskip(NEXT) | instid1(VALU_DEP_3)
	v_dual_mul_f32 v35, v63, v31 :: v_dual_fmac_f32 v34, v63, v28
	v_dual_mul_f32 v39, v41, v29 :: v_dual_add_f32 v36, v48, v36
	s_delay_alu instid0(VALU_DEP_2) | instskip(NEXT) | instid1(VALU_DEP_3)
	v_dual_fmac_f32 v38, v63, v30 :: v_dual_fma_f32 v35, v62, v30, -v35
	v_dual_add_f32 v37, v37, v34 :: v_dual_mul_f32 v29, v40, v29
	s_delay_alu instid0(VALU_DEP_3) | instskip(NEXT) | instid1(VALU_DEP_3)
	v_dual_fma_f32 v34, v40, v28, -v39 :: v_dual_mul_f32 v39, v41, v31
	v_dual_add_f32 v32, v32, v38 :: v_dual_add_f32 v35, v49, v35
	s_delay_alu instid0(VALU_DEP_2) | instskip(NEXT) | instid1(VALU_DEP_3)
	v_dual_fmac_f32 v29, v41, v28 :: v_dual_add_f32 v26, v26, v34
	v_dual_mul_f32 v28, v40, v31 :: v_dual_fma_f32 v31, v40, v30, -v39
	s_wait_dscnt 0x0
	v_dual_mul_f32 v34, v65, v45 :: v_dual_mul_f32 v38, v64, v45
	s_delay_alu instid0(VALU_DEP_3) | instskip(NEXT) | instid1(VALU_DEP_3)
	v_add_f32_e32 v29, v33, v29
	v_dual_fmac_f32 v28, v41, v30 :: v_dual_add_f32 v22, v22, v31
	s_delay_alu instid0(VALU_DEP_3) | instskip(NEXT) | instid1(VALU_DEP_4)
	v_fma_f32 v30, v64, v44, -v34
	v_dual_fmac_f32 v38, v65, v44 :: v_dual_mul_f32 v31, v65, v47
	v_dual_mul_f32 v33, v64, v47 :: v_dual_mul_f32 v39, v42, v47
	s_delay_alu instid0(VALU_DEP_3) | instskip(NEXT) | instid1(VALU_DEP_3)
	v_add_f32_e32 v34, v36, v30
	v_dual_add_f32 v36, v37, v38 :: v_dual_add_f32 v24, v24, v28
	s_delay_alu instid0(VALU_DEP_3) | instskip(SKIP_2) | instid1(VALU_DEP_3)
	v_dual_fmac_f32 v33, v65, v46 :: v_dual_fma_f32 v28, v64, v46, -v31
	v_dual_mul_f32 v37, v42, v45 :: v_dual_mul_f32 v31, v43, v45
	v_dual_mul_f32 v38, v43, v47 :: v_dual_fmac_f32 v39, v43, v46
	v_dual_add_f32 v32, v32, v33 :: v_dual_add_f32 v30, v35, v28
	s_delay_alu instid0(VALU_DEP_3) | instskip(NEXT) | instid1(VALU_DEP_3)
	v_dual_fma_f32 v28, v42, v44, -v31 :: v_dual_fmac_f32 v37, v43, v44
	v_dual_fma_f32 v31, v42, v46, -v38 :: v_dual_add_f32 v24, v24, v39
	s_delay_alu instid0(VALU_DEP_2) | instskip(NEXT) | instid1(VALU_DEP_2)
	v_dual_add_f32 v26, v26, v28 :: v_dual_add_f32 v28, v29, v37
	v_add_f32_e32 v22, v22, v31
	s_barrier_signal -1
	s_barrier_wait -1
	s_cbranch_scc0 .LBB362_15
.LBB362_9:                              ;   Parent Loop BB362_6 Depth=1
                                        ; =>  This Inner Loop Header: Depth=2
	v_dual_mov_b32 v38, 0 :: v_dual_add_nc_u32 v29, s27, v2
	v_mov_b32_e32 v39, 0
	s_delay_alu instid0(VALU_DEP_2) | instskip(SKIP_2) | instid1(SALU_CYCLE_1)
	v_cmp_gt_i32_e32 vcc_lo, s23, v29
	s_wait_xcnt 0x0
	s_and_b32 s30, s0, vcc_lo
	s_and_saveexec_b32 s29, s30
	s_cbranch_execz .LBB362_11
; %bb.10:                               ;   in Loop: Header=BB362_9 Depth=2
	flat_load_b64 v[38:39], v[18:19]
.LBB362_11:                             ;   in Loop: Header=BB362_9 Depth=2
	s_wait_xcnt 0x0
	s_or_b32 exec_lo, exec_lo, s29
	v_add_nc_u32_e32 v29, s27, v0
	s_wait_loadcnt_dscnt 0x0
	ds_store_b64 v23, v[38:39]
	v_cmp_le_i32_e32 vcc_lo, s23, v29
	s_or_b32 s29, vcc_lo, s26
	s_delay_alu instid0(SALU_CYCLE_1) | instskip(NEXT) | instid1(SALU_CYCLE_1)
	s_and_saveexec_b32 s30, s29
	s_xor_b32 s29, exec_lo, s30
; %bb.12:                               ;   in Loop: Header=BB362_9 Depth=2
	ds_store_b32 v25, v3
; %bb.13:                               ;   in Loop: Header=BB362_9 Depth=2
	s_or_saveexec_b32 s29, s29
	v_mov_b32_e32 v29, 0
	s_xor_b32 exec_lo, exec_lo, s29
	s_cbranch_execz .LBB362_8
; %bb.14:                               ;   in Loop: Header=BB362_9 Depth=2
	flat_load_b64 v[38:39], v[20:21] offset:-4
	s_wait_loadcnt_dscnt 0x0
	v_xor_b32_e32 v29, 0x80000000, v39
	ds_store_b32 v25, v38
	s_branch .LBB362_8
.LBB362_15:                             ;   in Loop: Header=BB362_6 Depth=1
	s_wait_loadcnt 0x0
	s_wait_xcnt 0x0
	v_add_nc_u64_e32 v[16:17], s[18:19], v[16:17]
	s_delay_alu instid0(VALU_DEP_1)
	v_lshl_add_u64 v[18:19], v[8:9], 3, v[16:17]
	s_and_saveexec_b32 s27, s35
	s_cbranch_execz .LBB362_20
; %bb.16:                               ;   in Loop: Header=BB362_6 Depth=1
	v_mov_b64_e32 v[20:21], s[4:5]
	v_mov_b64_e32 v[38:39], s[14:15]
	s_and_b32 vcc_lo, exec_lo, s34
	s_mov_b32 s29, -1
	s_delay_alu instid0(VALU_DEP_2) | instskip(NEXT) | instid1(VALU_DEP_1)
	v_pk_mul_f32 v[20:21], v[36:37], v[20:21] op_sel_hi:[0,1]
	v_pk_fma_f32 v[36:37], v[34:35], v[38:39], v[20:21] op_sel_hi:[0,1,1]
	v_pk_fma_f32 v[20:21], v[34:35], v[38:39], v[20:21] neg_lo:[0,0,1] neg_hi:[0,0,1]
	v_lshl_add_u64 v[34:35], v[4:5], 3, v[18:19]
	s_delay_alu instid0(VALU_DEP_3)
	v_mov_b32_e32 v21, v37
	s_cbranch_vccz .LBB362_18
; %bb.17:                               ;   in Loop: Header=BB362_6 Depth=1
	flat_load_b64 v[36:37], v[34:35]
	v_mov_b64_e32 v[38:39], s[20:21]
	v_mov_b64_e32 v[40:41], s[2:3]
	s_mov_b32 s29, 0
	s_wait_loadcnt_dscnt 0x0
	s_delay_alu instid0(VALU_DEP_2) | instskip(NEXT) | instid1(VALU_DEP_1)
	v_pk_mul_f32 v[38:39], v[36:37], v[38:39]
	v_pk_fma_f32 v[42:43], v[36:37], v[40:41], v[38:39] op_sel:[0,0,1] op_sel_hi:[1,1,0]
	v_pk_fma_f32 v[36:37], v[36:37], v[40:41], v[38:39] op_sel:[0,0,1] op_sel_hi:[1,1,0] neg_lo:[0,0,1] neg_hi:[0,0,1]
	s_delay_alu instid0(VALU_DEP_2) | instskip(NEXT) | instid1(VALU_DEP_1)
	v_mov_b32_e32 v37, v43
	v_pk_add_f32 v[36:37], v[20:21], v[36:37]
	flat_store_b64 v[34:35], v[36:37]
.LBB362_18:                             ;   in Loop: Header=BB362_6 Depth=1
	s_and_not1_b32 vcc_lo, exec_lo, s29
	s_cbranch_vccnz .LBB362_20
; %bb.19:                               ;   in Loop: Header=BB362_6 Depth=1
	flat_store_b64 v[34:35], v[20:21]
.LBB362_20:                             ;   in Loop: Header=BB362_6 Depth=1
	s_wait_xcnt 0x0
	s_or_b32 exec_lo, exec_lo, s27
	s_and_saveexec_b32 s27, s1
	s_cbranch_execz .LBB362_25
; %bb.21:                               ;   in Loop: Header=BB362_6 Depth=1
	v_mov_b64_e32 v[20:21], s[4:5]
	v_mov_b64_e32 v[34:35], s[14:15]
	v_lshl_add_u64 v[18:19], v[6:7], 3, v[18:19]
	s_and_not1_b32 vcc_lo, exec_lo, s34
	s_mov_b32 s29, -1
	s_delay_alu instid0(VALU_DEP_3) | instskip(NEXT) | instid1(VALU_DEP_1)
	v_pk_mul_f32 v[20:21], v[32:33], v[20:21] op_sel_hi:[0,1]
	v_pk_fma_f32 v[32:33], v[30:31], v[34:35], v[20:21] op_sel_hi:[0,1,1]
	v_pk_fma_f32 v[20:21], v[30:31], v[34:35], v[20:21] neg_lo:[0,0,1] neg_hi:[0,0,1]
	s_delay_alu instid0(VALU_DEP_2)
	v_mov_b32_e32 v21, v33
	s_cbranch_vccnz .LBB362_23
; %bb.22:                               ;   in Loop: Header=BB362_6 Depth=1
	flat_load_b64 v[30:31], v[18:19]
	v_mov_b64_e32 v[32:33], s[20:21]
	v_mov_b64_e32 v[34:35], s[2:3]
	s_mov_b32 s29, 0
	s_wait_loadcnt_dscnt 0x0
	s_delay_alu instid0(VALU_DEP_2) | instskip(NEXT) | instid1(VALU_DEP_1)
	v_pk_mul_f32 v[32:33], v[30:31], v[32:33]
	v_pk_fma_f32 v[36:37], v[30:31], v[34:35], v[32:33] op_sel:[0,0,1] op_sel_hi:[1,1,0]
	v_pk_fma_f32 v[30:31], v[30:31], v[34:35], v[32:33] op_sel:[0,0,1] op_sel_hi:[1,1,0] neg_lo:[0,0,1] neg_hi:[0,0,1]
	s_delay_alu instid0(VALU_DEP_2) | instskip(NEXT) | instid1(VALU_DEP_1)
	v_mov_b32_e32 v31, v37
	v_pk_add_f32 v[30:31], v[20:21], v[30:31]
	flat_store_b64 v[18:19], v[30:31]
.LBB362_23:                             ;   in Loop: Header=BB362_6 Depth=1
	s_and_not1_b32 vcc_lo, exec_lo, s29
	s_cbranch_vccnz .LBB362_25
; %bb.24:                               ;   in Loop: Header=BB362_6 Depth=1
	flat_store_b64 v[18:19], v[20:21]
.LBB362_25:                             ;   in Loop: Header=BB362_6 Depth=1
	s_wait_xcnt 0x0
	s_or_b32 exec_lo, exec_lo, s27
	v_lshl_add_u64 v[16:17], v[10:11], 3, v[16:17]
	s_and_saveexec_b32 s27, s22
	s_cbranch_execz .LBB362_30
; %bb.26:                               ;   in Loop: Header=BB362_6 Depth=1
	v_mov_b64_e32 v[18:19], s[4:5]
	v_mov_b64_e32 v[20:21], s[14:15]
	s_and_not1_b32 vcc_lo, exec_lo, s34
	s_mov_b32 s29, -1
	s_delay_alu instid0(VALU_DEP_2) | instskip(NEXT) | instid1(VALU_DEP_1)
	v_pk_mul_f32 v[18:19], v[28:29], v[18:19] op_sel_hi:[0,1]
	v_pk_fma_f32 v[28:29], v[26:27], v[20:21], v[18:19] op_sel_hi:[0,1,1]
	v_pk_fma_f32 v[18:19], v[26:27], v[20:21], v[18:19] neg_lo:[0,0,1] neg_hi:[0,0,1]
	v_lshl_add_u64 v[20:21], v[4:5], 3, v[16:17]
	s_delay_alu instid0(VALU_DEP_3)
	v_mov_b32_e32 v19, v29
	s_cbranch_vccnz .LBB362_28
; %bb.27:                               ;   in Loop: Header=BB362_6 Depth=1
	flat_load_b64 v[28:29], v[20:21]
	v_mov_b64_e32 v[30:31], s[20:21]
	v_mov_b64_e32 v[32:33], s[2:3]
	s_mov_b32 s29, 0
	s_wait_loadcnt_dscnt 0x0
	s_delay_alu instid0(VALU_DEP_2) | instskip(NEXT) | instid1(VALU_DEP_1)
	v_pk_mul_f32 v[30:31], v[28:29], v[30:31]
	v_pk_fma_f32 v[34:35], v[28:29], v[32:33], v[30:31] op_sel:[0,0,1] op_sel_hi:[1,1,0]
	v_pk_fma_f32 v[28:29], v[28:29], v[32:33], v[30:31] op_sel:[0,0,1] op_sel_hi:[1,1,0] neg_lo:[0,0,1] neg_hi:[0,0,1]
	s_delay_alu instid0(VALU_DEP_2) | instskip(NEXT) | instid1(VALU_DEP_1)
	v_mov_b32_e32 v29, v35
	v_pk_add_f32 v[28:29], v[18:19], v[28:29]
	flat_store_b64 v[20:21], v[28:29]
.LBB362_28:                             ;   in Loop: Header=BB362_6 Depth=1
	s_and_not1_b32 vcc_lo, exec_lo, s29
	s_cbranch_vccnz .LBB362_30
; %bb.29:                               ;   in Loop: Header=BB362_6 Depth=1
	flat_store_b64 v[20:21], v[18:19]
.LBB362_30:                             ;   in Loop: Header=BB362_6 Depth=1
	s_wait_xcnt 0x0
	s_or_b32 exec_lo, exec_lo, s27
	s_and_saveexec_b32 s27, s36
	s_cbranch_execz .LBB362_5
; %bb.31:                               ;   in Loop: Header=BB362_6 Depth=1
	v_mov_b64_e32 v[18:19], s[4:5]
	v_mov_b64_e32 v[20:21], s[14:15]
	v_lshl_add_u64 v[16:17], v[6:7], 3, v[16:17]
	s_and_not1_b32 vcc_lo, exec_lo, s34
	s_mov_b32 s29, -1
	s_delay_alu instid0(VALU_DEP_3) | instskip(NEXT) | instid1(VALU_DEP_1)
	v_pk_mul_f32 v[18:19], v[24:25], v[18:19] op_sel_hi:[0,1]
	v_pk_fma_f32 v[28:29], v[22:23], v[20:21], v[18:19] op_sel_hi:[0,1,1]
	v_pk_fma_f32 v[18:19], v[22:23], v[20:21], v[18:19] neg_lo:[0,0,1] neg_hi:[0,0,1]
	s_delay_alu instid0(VALU_DEP_2)
	v_mov_b32_e32 v19, v29
	s_cbranch_vccnz .LBB362_33
; %bb.32:                               ;   in Loop: Header=BB362_6 Depth=1
	flat_load_b64 v[20:21], v[16:17]
	v_mov_b64_e32 v[28:29], s[20:21]
	v_mov_b64_e32 v[30:31], s[2:3]
	s_mov_b32 s29, 0
	s_wait_loadcnt_dscnt 0x0
	s_delay_alu instid0(VALU_DEP_2) | instskip(NEXT) | instid1(VALU_DEP_1)
	v_pk_mul_f32 v[28:29], v[20:21], v[28:29]
	v_pk_fma_f32 v[32:33], v[20:21], v[30:31], v[28:29] op_sel:[0,0,1] op_sel_hi:[1,1,0]
	v_pk_fma_f32 v[20:21], v[20:21], v[30:31], v[28:29] op_sel:[0,0,1] op_sel_hi:[1,1,0] neg_lo:[0,0,1] neg_hi:[0,0,1]
	s_delay_alu instid0(VALU_DEP_2) | instskip(NEXT) | instid1(VALU_DEP_1)
	v_mov_b32_e32 v21, v33
	v_pk_add_f32 v[20:21], v[18:19], v[20:21]
	flat_store_b64 v[16:17], v[20:21]
.LBB362_33:                             ;   in Loop: Header=BB362_6 Depth=1
	s_and_not1_b32 vcc_lo, exec_lo, s29
	s_cbranch_vccnz .LBB362_5
; %bb.34:                               ;   in Loop: Header=BB362_6 Depth=1
	flat_store_b64 v[16:17], v[18:19]
	s_branch .LBB362_5
.LBB362_35:
	s_sendmsg sendmsg(MSG_DEALLOC_VGPRS)
	s_endpgm
	.section	.rodata,"a",@progbits
	.p2align	6, 0x0
	.amdhsa_kernel _ZL29rocblas_internal_gemmt_kernelIiLi16ELi32ELi8ELc78ELc67ELc85ELb0ELb1E19rocblas_complex_numIfEPKS1_PKS3_PKPS1_EviT_T9_T10_S9_lSB_S9_lSA_T11_S9_li
		.amdhsa_group_segment_fixed_size 4096
		.amdhsa_private_segment_fixed_size 0
		.amdhsa_kernarg_size 100
		.amdhsa_user_sgpr_count 2
		.amdhsa_user_sgpr_dispatch_ptr 0
		.amdhsa_user_sgpr_queue_ptr 0
		.amdhsa_user_sgpr_kernarg_segment_ptr 1
		.amdhsa_user_sgpr_dispatch_id 0
		.amdhsa_user_sgpr_kernarg_preload_length 0
		.amdhsa_user_sgpr_kernarg_preload_offset 0
		.amdhsa_user_sgpr_private_segment_size 0
		.amdhsa_wavefront_size32 1
		.amdhsa_uses_dynamic_stack 0
		.amdhsa_enable_private_segment 0
		.amdhsa_system_sgpr_workgroup_id_x 1
		.amdhsa_system_sgpr_workgroup_id_y 1
		.amdhsa_system_sgpr_workgroup_id_z 1
		.amdhsa_system_sgpr_workgroup_info 0
		.amdhsa_system_vgpr_workitem_id 1
		.amdhsa_next_free_vgpr 71
		.amdhsa_next_free_sgpr 40
		.amdhsa_named_barrier_count 0
		.amdhsa_reserve_vcc 1
		.amdhsa_float_round_mode_32 0
		.amdhsa_float_round_mode_16_64 0
		.amdhsa_float_denorm_mode_32 3
		.amdhsa_float_denorm_mode_16_64 3
		.amdhsa_fp16_overflow 0
		.amdhsa_memory_ordered 1
		.amdhsa_forward_progress 1
		.amdhsa_inst_pref_size 26
		.amdhsa_round_robin_scheduling 0
		.amdhsa_exception_fp_ieee_invalid_op 0
		.amdhsa_exception_fp_denorm_src 0
		.amdhsa_exception_fp_ieee_div_zero 0
		.amdhsa_exception_fp_ieee_overflow 0
		.amdhsa_exception_fp_ieee_underflow 0
		.amdhsa_exception_fp_ieee_inexact 0
		.amdhsa_exception_int_div_zero 0
	.end_amdhsa_kernel
	.section	.text._ZL29rocblas_internal_gemmt_kernelIiLi16ELi32ELi8ELc78ELc67ELc85ELb0ELb1E19rocblas_complex_numIfEPKS1_PKS3_PKPS1_EviT_T9_T10_S9_lSB_S9_lSA_T11_S9_li,"axG",@progbits,_ZL29rocblas_internal_gemmt_kernelIiLi16ELi32ELi8ELc78ELc67ELc85ELb0ELb1E19rocblas_complex_numIfEPKS1_PKS3_PKPS1_EviT_T9_T10_S9_lSB_S9_lSA_T11_S9_li,comdat
.Lfunc_end362:
	.size	_ZL29rocblas_internal_gemmt_kernelIiLi16ELi32ELi8ELc78ELc67ELc85ELb0ELb1E19rocblas_complex_numIfEPKS1_PKS3_PKPS1_EviT_T9_T10_S9_lSB_S9_lSA_T11_S9_li, .Lfunc_end362-_ZL29rocblas_internal_gemmt_kernelIiLi16ELi32ELi8ELc78ELc67ELc85ELb0ELb1E19rocblas_complex_numIfEPKS1_PKS3_PKPS1_EviT_T9_T10_S9_lSB_S9_lSA_T11_S9_li
                                        ; -- End function
	.set _ZL29rocblas_internal_gemmt_kernelIiLi16ELi32ELi8ELc78ELc67ELc85ELb0ELb1E19rocblas_complex_numIfEPKS1_PKS3_PKPS1_EviT_T9_T10_S9_lSB_S9_lSA_T11_S9_li.num_vgpr, 71
	.set _ZL29rocblas_internal_gemmt_kernelIiLi16ELi32ELi8ELc78ELc67ELc85ELb0ELb1E19rocblas_complex_numIfEPKS1_PKS3_PKPS1_EviT_T9_T10_S9_lSB_S9_lSA_T11_S9_li.num_agpr, 0
	.set _ZL29rocblas_internal_gemmt_kernelIiLi16ELi32ELi8ELc78ELc67ELc85ELb0ELb1E19rocblas_complex_numIfEPKS1_PKS3_PKPS1_EviT_T9_T10_S9_lSB_S9_lSA_T11_S9_li.numbered_sgpr, 40
	.set _ZL29rocblas_internal_gemmt_kernelIiLi16ELi32ELi8ELc78ELc67ELc85ELb0ELb1E19rocblas_complex_numIfEPKS1_PKS3_PKPS1_EviT_T9_T10_S9_lSB_S9_lSA_T11_S9_li.num_named_barrier, 0
	.set _ZL29rocblas_internal_gemmt_kernelIiLi16ELi32ELi8ELc78ELc67ELc85ELb0ELb1E19rocblas_complex_numIfEPKS1_PKS3_PKPS1_EviT_T9_T10_S9_lSB_S9_lSA_T11_S9_li.private_seg_size, 0
	.set _ZL29rocblas_internal_gemmt_kernelIiLi16ELi32ELi8ELc78ELc67ELc85ELb0ELb1E19rocblas_complex_numIfEPKS1_PKS3_PKPS1_EviT_T9_T10_S9_lSB_S9_lSA_T11_S9_li.uses_vcc, 1
	.set _ZL29rocblas_internal_gemmt_kernelIiLi16ELi32ELi8ELc78ELc67ELc85ELb0ELb1E19rocblas_complex_numIfEPKS1_PKS3_PKPS1_EviT_T9_T10_S9_lSB_S9_lSA_T11_S9_li.uses_flat_scratch, 0
	.set _ZL29rocblas_internal_gemmt_kernelIiLi16ELi32ELi8ELc78ELc67ELc85ELb0ELb1E19rocblas_complex_numIfEPKS1_PKS3_PKPS1_EviT_T9_T10_S9_lSB_S9_lSA_T11_S9_li.has_dyn_sized_stack, 0
	.set _ZL29rocblas_internal_gemmt_kernelIiLi16ELi32ELi8ELc78ELc67ELc85ELb0ELb1E19rocblas_complex_numIfEPKS1_PKS3_PKPS1_EviT_T9_T10_S9_lSB_S9_lSA_T11_S9_li.has_recursion, 0
	.set _ZL29rocblas_internal_gemmt_kernelIiLi16ELi32ELi8ELc78ELc67ELc85ELb0ELb1E19rocblas_complex_numIfEPKS1_PKS3_PKPS1_EviT_T9_T10_S9_lSB_S9_lSA_T11_S9_li.has_indirect_call, 0
	.section	.AMDGPU.csdata,"",@progbits
; Kernel info:
; codeLenInByte = 3304
; TotalNumSgprs: 42
; NumVgprs: 71
; ScratchSize: 0
; MemoryBound: 0
; FloatMode: 240
; IeeeMode: 1
; LDSByteSize: 4096 bytes/workgroup (compile time only)
; SGPRBlocks: 0
; VGPRBlocks: 4
; NumSGPRsForWavesPerEU: 42
; NumVGPRsForWavesPerEU: 71
; NamedBarCnt: 0
; Occupancy: 12
; WaveLimiterHint : 1
; COMPUTE_PGM_RSRC2:SCRATCH_EN: 0
; COMPUTE_PGM_RSRC2:USER_SGPR: 2
; COMPUTE_PGM_RSRC2:TRAP_HANDLER: 0
; COMPUTE_PGM_RSRC2:TGID_X_EN: 1
; COMPUTE_PGM_RSRC2:TGID_Y_EN: 1
; COMPUTE_PGM_RSRC2:TGID_Z_EN: 1
; COMPUTE_PGM_RSRC2:TIDIG_COMP_CNT: 1
	.section	.text._ZL29rocblas_internal_gemmt_kernelIiLi16ELi32ELi8ELc84ELc78ELc85ELb0ELb0E19rocblas_complex_numIfEPKS1_PKS3_PKPS1_EviT_T9_T10_S9_lSB_S9_lSA_T11_S9_li,"axG",@progbits,_ZL29rocblas_internal_gemmt_kernelIiLi16ELi32ELi8ELc84ELc78ELc85ELb0ELb0E19rocblas_complex_numIfEPKS1_PKS3_PKPS1_EviT_T9_T10_S9_lSB_S9_lSA_T11_S9_li,comdat
	.globl	_ZL29rocblas_internal_gemmt_kernelIiLi16ELi32ELi8ELc84ELc78ELc85ELb0ELb0E19rocblas_complex_numIfEPKS1_PKS3_PKPS1_EviT_T9_T10_S9_lSB_S9_lSA_T11_S9_li ; -- Begin function _ZL29rocblas_internal_gemmt_kernelIiLi16ELi32ELi8ELc84ELc78ELc85ELb0ELb0E19rocblas_complex_numIfEPKS1_PKS3_PKPS1_EviT_T9_T10_S9_lSB_S9_lSA_T11_S9_li
	.p2align	8
	.type	_ZL29rocblas_internal_gemmt_kernelIiLi16ELi32ELi8ELc84ELc78ELc85ELb0ELb0E19rocblas_complex_numIfEPKS1_PKS3_PKPS1_EviT_T9_T10_S9_lSB_S9_lSA_T11_S9_li,@function
_ZL29rocblas_internal_gemmt_kernelIiLi16ELi32ELi8ELc84ELc78ELc85ELb0ELb0E19rocblas_complex_numIfEPKS1_PKS3_PKPS1_EviT_T9_T10_S9_lSB_S9_lSA_T11_S9_li: ; @_ZL29rocblas_internal_gemmt_kernelIiLi16ELi32ELi8ELc84ELc78ELc85ELb0ELb0E19rocblas_complex_numIfEPKS1_PKS3_PKPS1_EviT_T9_T10_S9_lSB_S9_lSA_T11_S9_li
; %bb.0:
	s_load_b128 s[12:15], s[0:1], 0x38
	s_wait_kmcnt 0x0
	s_load_b64 s[20:21], s[14:15], 0x0
	s_clause 0x1
	s_load_b128 s[4:7], s[0:1], 0x8
	s_load_b64 s[22:23], s[0:1], 0x0
	s_wait_kmcnt 0x0
	s_cmp_neq_f32 s20, 1.0
	s_load_b64 s[14:15], s[4:5], 0x0
	s_cselect_b32 s2, -1, 0
	s_and_b32 s3, s21, 0x7fffffff
	s_delay_alu instid0(SALU_CYCLE_1) | instskip(SKIP_3) | instid1(SALU_CYCLE_1)
	s_cmp_eq_u32 s3, 0
	s_cselect_b32 s29, -1, 0
	s_cmp_lg_u32 s3, 0
	s_cselect_b32 s3, -1, 0
	s_or_b32 s2, s2, s3
	s_delay_alu instid0(SALU_CYCLE_1)
	s_and_b32 vcc_lo, exec_lo, s2
	s_cbranch_vccnz .LBB363_2
; %bb.1:
	s_cmp_lg_u32 s23, 0
	s_cselect_b32 s2, -1, 0
	s_wait_kmcnt 0x0
	s_cmp_neq_f32 s14, 0
	s_cselect_b32 s3, -1, 0
	s_cmp_neq_f32 s15, 0
	s_cselect_b32 s4, -1, 0
	s_delay_alu instid0(SALU_CYCLE_1) | instskip(NEXT) | instid1(SALU_CYCLE_1)
	s_or_b32 s3, s3, s4
	s_and_b32 s2, s2, s3
.LBB363_2:
	s_delay_alu instid0(SALU_CYCLE_1)
	s_and_not1_b32 vcc_lo, exec_lo, s2
	s_cbranch_vccnz .LBB363_33
; %bb.3:
	s_load_b32 s28, s[0:1], 0x60
	s_bfe_u32 s2, ttmp6, 0x40014
	s_lshr_b32 s3, ttmp7, 16
	s_add_co_i32 s2, s2, 1
	s_wait_xcnt 0x0
	s_bfe_u32 s4, ttmp6, 0x40008
	s_mul_i32 s2, s3, s2
	s_getreg_b32 s30, hwreg(HW_REG_IB_STS2, 6, 4)
	s_add_co_i32 s4, s4, s2
	s_cmp_eq_u32 s30, 0
	s_mov_b32 s25, 0
	s_cselect_b32 s24, s3, s4
	s_wait_kmcnt 0x0
	s_cmp_ge_u32 s24, s28
	s_cbranch_scc1 .LBB363_33
; %bb.4:
	s_clause 0x4
	s_load_b32 s4, s[0:1], 0x18
	s_load_b32 s2, s[0:1], 0x30
	s_load_b96 s[16:18], s[0:1], 0x48
	s_load_b128 s[8:11], s[0:1], 0x20
	s_load_b64 s[26:27], s[0:1], 0x58
	s_wait_xcnt 0x0
	s_bfe_u32 s1, ttmp6, 0x4000c
	s_bfe_u32 s3, ttmp6, 0x40010
	v_and_b32_e32 v4, 0x3ff, v0
	v_bfe_u32 v5, v0, 10, 10
	s_and_b32 s31, ttmp7, 0xffff
	s_add_co_i32 s1, s1, 1
	s_add_co_i32 s3, s3, 1
	s_and_b32 s0, ttmp6, 15
	s_bfe_u32 s5, ttmp6, 0x40004
	s_mul_i32 s1, ttmp9, s1
	s_mul_i32 s3, s31, s3
	s_add_co_i32 s0, s0, s1
	s_add_co_i32 s1, s5, s3
	v_lshl_add_u32 v1, v5, 4, v4
	v_lshl_add_u32 v33, v5, 6, 0x800
	s_wait_kmcnt 0x0
	s_ashr_i32 s5, s4, 31
	s_ashr_i32 s3, s2, 31
	;; [unrolled: 1-line block ×3, first 2 shown]
	s_cmp_eq_u32 s30, 0
	v_dual_lshrrev_b32 v21, 5, v1 :: v_dual_lshrrev_b32 v6, 3, v1
	s_cselect_b32 s1, s31, s1
	s_cselect_b32 s0, ttmp9, s0
	s_lshl_b32 s1, s1, 5
	s_delay_alu instid0(VALU_DEP_1) | instid1(SALU_CYCLE_1)
	v_dual_add_nc_u32 v2, s1, v6 :: v_dual_bitop2_b32 v1, 31, v1 bitop3:0x40
	s_lshl_b32 s30, s0, 5
	v_dual_add_nc_u32 v8, s1, v5 :: v_dual_bitop2_b32 v23, 7, v0 bitop3:0x40
	s_delay_alu instid0(VALU_DEP_2) | instskip(NEXT) | instid1(VALU_DEP_2)
	v_dual_lshlrev_b32 v29, 3, v4 :: v_dual_lshlrev_b32 v3, 3, v1
	v_dual_lshlrev_b32 v12, 3, v23 :: v_dual_bitop2_b32 v0, s30, v1 bitop3:0x54
	s_cmp_neq_f32 s14, 0
	s_delay_alu instid0(VALU_DEP_3) | instskip(NEXT) | instid1(VALU_DEP_2)
	v_dual_add_nc_u32 v16, 16, v8 :: v_dual_ashrrev_i32 v9, 31, v8
	v_ashrrev_i32_e32 v1, 31, v0
	v_lshl_or_b32 v25, v21, 8, v3
	v_ashrrev_i32_e32 v3, 31, v2
	s_cselect_b32 s0, -1, 0
	s_cmp_neq_f32 s15, 0
	v_mul_u64_e32 v[10:11], s[4:5], v[0:1]
	v_lshl_or_b32 v6, v6, 6, v12
	v_mul_u64_e32 v[14:15], s[2:3], v[2:3]
	s_cselect_b32 s31, -1, 0
	v_ashrrev_i32_e32 v17, 31, v16
	s_or_b32 s31, s0, s31
	v_cmp_gt_i32_e64 s0, s22, v0
	v_add_nc_u32_e32 v0, s30, v4
	v_cmp_gt_i32_e64 s1, s22, v2
	v_add_nc_u32_e32 v27, 0x800, v6
	v_mul_u64_e32 v[2:3], s[18:19], v[8:9]
	v_mov_b32_e32 v9, 0
	v_mul_u64_e32 v[6:7], s[18:19], v[16:17]
	v_add_nc_u32_e32 v4, 16, v0
	s_cmp_gt_i32 s23, 0
	v_cmp_gt_i32_e32 vcc_lo, s22, v8
	s_cselect_b32 s33, -1, 0
	s_cmp_neq_f32 s20, 0
	v_ashrrev_i32_e32 v5, 31, v4
	v_cmp_le_i32_e64 s2, v0, v8
	v_ashrrev_i32_e32 v1, 31, v0
	s_cselect_b32 s3, -1, 0
	s_xor_b32 s4, s29, -1
	v_cmp_le_i32_e64 s5, v4, v16
	s_or_b32 s18, s3, s4
	s_and_b32 s19, vcc_lo, s2
	v_cmp_le_i32_e64 s2, v4, v8
	v_cmp_gt_i32_e64 s3, s22, v16
	v_cmp_le_i32_e64 s4, v0, v16
	v_dual_mov_b32 v13, v9 :: v_dual_lshlrev_b32 v8, 3, v21
	s_and_b32 s22, vcc_lo, s2
	s_and_b32 s30, s3, s5
	s_and_b32 s29, s3, s4
	s_lshl_b64 s[2:3], s[8:9], 3
	s_mov_b32 s4, s15
	v_lshl_add_u64 v[10:11], v[10:11], 3, s[2:3]
	s_lshl_b64 s[2:3], s[12:13], 3
	s_and_b32 s12, s31, s33
	v_lshl_add_u64 v[14:15], v[14:15], 3, s[2:3]
	s_mov_b32 s2, s20
	v_add_nc_u64_e32 v[10:11], v[10:11], v[8:9]
	s_mov_b32 s3, s20
	s_mov_b32 s20, s21
	v_add_nc_u64_e32 v[12:13], v[14:15], v[12:13]
	s_mov_b32 s5, s14
	s_lshl_b64 s[8:9], s[26:27], 3
	s_branch .LBB363_6
.LBB363_5:                              ;   in Loop: Header=BB363_6 Depth=1
	s_wait_xcnt 0x0
	s_or_b32 exec_lo, exec_lo, s13
	s_add_co_i32 s24, s24, 0x10000
	s_delay_alu instid0(SALU_CYCLE_1)
	s_cmp_lt_u32 s24, s28
	s_cbranch_scc0 .LBB363_33
.LBB363_6:                              ; =>This Loop Header: Depth=1
                                        ;     Child Loop BB363_9 Depth 2
	v_dual_mov_b32 v8, s24 :: v_dual_mov_b32 v30, 0
	v_dual_mov_b32 v32, 0 :: v_dual_mov_b32 v26, 0
	;; [unrolled: 1-line block ×3, first 2 shown]
	global_load_b64 v[14:15], v8, s[16:17] scale_offset
	s_wait_xcnt 0x0
	v_dual_mov_b32 v24, 0 :: v_dual_mov_b32 v8, 0
	v_mov_b32_e32 v20, 0
	s_and_not1_b32 vcc_lo, exec_lo, s12
	s_cbranch_vccnz .LBB363_13
; %bb.7:                                ;   in Loop: Header=BB363_6 Depth=1
	s_lshl_b64 s[26:27], s[24:25], 3
	v_dual_mov_b32 v20, 0 :: v_dual_mov_b32 v8, 0
	s_add_nc_u64 s[34:35], s[6:7], s[26:27]
	s_add_nc_u64 s[26:27], s[10:11], s[26:27]
	s_clause 0x1
	global_load_b64 v[16:17], v9, s[34:35]
	global_load_b64 v[18:19], v9, s[26:27]
	v_dual_mov_b32 v24, 0 :: v_dual_mov_b32 v22, 0
	v_dual_mov_b32 v28, 0 :: v_dual_mov_b32 v26, 0
	;; [unrolled: 1-line block ×3, first 2 shown]
	s_mov_b32 s13, 0
	s_wait_loadcnt 0x1
	v_add_nc_u64_e32 v[16:17], v[16:17], v[10:11]
	s_wait_loadcnt 0x0
	v_add_nc_u64_e32 v[18:19], v[18:19], v[12:13]
	s_branch .LBB363_9
.LBB363_8:                              ;   in Loop: Header=BB363_9 Depth=2
	s_wait_xcnt 0x0
	s_or_b32 exec_lo, exec_lo, s26
	s_wait_loadcnt_dscnt 0x0
	ds_store_b64 v27, v[36:37]
	s_wait_dscnt 0x0
	s_barrier_signal -1
	s_barrier_wait -1
	ds_load_b128 v[34:37], v33
	ds_load_2addr_b64 v[38:41], v29 offset1:16
	ds_load_b128 v[42:45], v33 offset:1024
	ds_load_b128 v[46:49], v33 offset:16
	ds_load_2addr_b64 v[50:53], v29 offset0:32 offset1:48
	ds_load_b128 v[54:57], v33 offset:32
	ds_load_b128 v[58:61], v33 offset:48
	;; [unrolled: 1-line block ×3, first 2 shown]
	v_add_nc_u64_e32 v[16:17], 64, v[16:17]
	v_add_nc_u64_e32 v[18:19], 64, v[18:19]
	s_add_co_i32 s13, s13, 8
	s_delay_alu instid0(SALU_CYCLE_1)
	s_cmp_lt_i32 s13, s23
	s_wait_dscnt 0x6
	v_dual_mul_f32 v31, v35, v39 :: v_dual_mul_f32 v66, v34, v39
	v_dual_mul_f32 v67, v35, v41 :: v_dual_mul_f32 v68, v34, v41
	s_wait_dscnt 0x5
	v_dual_mul_f32 v69, v43, v39 :: v_dual_mul_f32 v39, v42, v39
	v_dual_mul_f32 v70, v43, v41 :: v_dual_mul_f32 v71, v42, v41
	v_dual_fma_f32 v31, v34, v38, -v31 :: v_dual_fmac_f32 v66, v35, v38
	v_dual_fma_f32 v34, v34, v40, -v67 :: v_dual_fmac_f32 v68, v35, v40
	s_delay_alu instid0(VALU_DEP_4) | instskip(NEXT) | instid1(VALU_DEP_4)
	v_dual_fma_f32 v35, v42, v38, -v69 :: v_dual_fmac_f32 v39, v43, v38
	v_fma_f32 v38, v42, v40, -v70
	s_delay_alu instid0(VALU_DEP_3) | instskip(SKIP_1) | instid1(VALU_DEP_4)
	v_dual_add_f32 v30, v30, v31 :: v_dual_add_f32 v28, v28, v68
	v_add_f32_e32 v31, v32, v66
	v_dual_add_f32 v26, v26, v34 :: v_dual_add_f32 v24, v24, v39
	v_dual_add_f32 v22, v22, v35 :: v_dual_fmac_f32 v71, v43, v40
	s_wait_dscnt 0x3
	v_dual_mul_f32 v32, v37, v51 :: v_dual_add_f32 v8, v8, v38
	ds_load_2addr_b64 v[38:41], v29 offset0:64 offset1:80
	v_dual_mul_f32 v34, v36, v51 :: v_dual_mul_f32 v35, v37, v53
	v_add_f32_e32 v20, v20, v71
	v_dual_fma_f32 v32, v36, v50, -v32 :: v_dual_mul_f32 v42, v36, v53
	s_delay_alu instid0(VALU_DEP_1) | instskip(NEXT) | instid1(VALU_DEP_1)
	v_dual_fmac_f32 v34, v37, v50 :: v_dual_add_f32 v30, v30, v32
	v_dual_fma_f32 v32, v36, v52, -v35 :: v_dual_add_f32 v31, v31, v34
	v_mul_f32_e32 v35, v45, v51
	s_delay_alu instid0(VALU_DEP_4) | instskip(NEXT) | instid1(VALU_DEP_2)
	v_dual_fmac_f32 v42, v37, v52 :: v_dual_mul_f32 v34, v44, v51
	v_dual_add_f32 v26, v26, v32 :: v_dual_fma_f32 v32, v44, v50, -v35
	s_delay_alu instid0(VALU_DEP_2) | instskip(NEXT) | instid1(VALU_DEP_3)
	v_dual_mul_f32 v35, v45, v53 :: v_dual_add_f32 v28, v28, v42
	v_dual_fmac_f32 v34, v45, v50 :: v_dual_mul_f32 v42, v44, v53
	s_delay_alu instid0(VALU_DEP_3) | instskip(SKIP_1) | instid1(VALU_DEP_3)
	v_add_f32_e32 v22, v22, v32
	s_wait_dscnt 0x0
	v_dual_fma_f32 v32, v44, v52, -v35 :: v_dual_mul_f32 v35, v47, v39
	s_delay_alu instid0(VALU_DEP_3) | instskip(SKIP_1) | instid1(VALU_DEP_3)
	v_dual_add_f32 v24, v24, v34 :: v_dual_mul_f32 v43, v46, v39
	v_fmac_f32_e32 v42, v45, v52
	v_dual_add_f32 v8, v8, v32 :: v_dual_fma_f32 v32, v46, v38, -v35
	ds_load_2addr_b64 v[34:37], v29 offset0:96 offset1:112
	v_dual_mul_f32 v44, v47, v41 :: v_dual_fmac_f32 v43, v47, v38
	v_dual_add_f32 v20, v20, v42 :: v_dual_add_f32 v30, v30, v32
	s_delay_alu instid0(VALU_DEP_2) | instskip(NEXT) | instid1(VALU_DEP_3)
	v_dual_mul_f32 v32, v46, v41 :: v_dual_fma_f32 v42, v46, v40, -v44
	v_add_f32_e32 v31, v31, v43
	v_dual_mul_f32 v43, v63, v39 :: v_dual_mul_f32 v39, v62, v39
	s_delay_alu instid0(VALU_DEP_3) | instskip(NEXT) | instid1(VALU_DEP_2)
	v_dual_fmac_f32 v32, v47, v40 :: v_dual_add_f32 v26, v26, v42
	v_dual_mul_f32 v42, v63, v41 :: v_dual_fma_f32 v43, v62, v38, -v43
	s_delay_alu instid0(VALU_DEP_3) | instskip(NEXT) | instid1(VALU_DEP_3)
	v_dual_fmac_f32 v39, v63, v38 :: v_dual_mul_f32 v44, v62, v41
	v_add_f32_e32 v28, v28, v32
	s_delay_alu instid0(VALU_DEP_3) | instskip(NEXT) | instid1(VALU_DEP_4)
	v_fma_f32 v32, v62, v40, -v42
	v_add_f32_e32 v22, v22, v43
	s_delay_alu instid0(VALU_DEP_4) | instskip(SKIP_1) | instid1(VALU_DEP_3)
	v_dual_add_f32 v24, v24, v39 :: v_dual_fmac_f32 v44, v63, v40
	s_wait_dscnt 0x0
	v_dual_mul_f32 v42, v49, v35 :: v_dual_add_f32 v8, v8, v32
	ds_load_2addr_b64 v[38:41], v29 offset0:128 offset1:144
	v_dual_mul_f32 v32, v48, v35 :: v_dual_mul_f32 v43, v49, v37
	v_dual_fma_f32 v42, v48, v34, -v42 :: v_dual_mul_f32 v46, v48, v37
	s_delay_alu instid0(VALU_DEP_2) | instskip(NEXT) | instid1(VALU_DEP_2)
	v_dual_fmac_f32 v32, v49, v34 :: v_dual_add_f32 v20, v20, v44
	v_dual_add_f32 v30, v30, v42 :: v_dual_fma_f32 v43, v48, v36, -v43
	s_delay_alu instid0(VALU_DEP_2) | instskip(NEXT) | instid1(VALU_DEP_4)
	v_dual_mul_f32 v42, v65, v35 :: v_dual_add_f32 v31, v31, v32
	v_dual_fmac_f32 v46, v49, v36 :: v_dual_mul_f32 v32, v64, v35
	s_delay_alu instid0(VALU_DEP_2) | instskip(NEXT) | instid1(VALU_DEP_2)
	v_dual_add_f32 v26, v26, v43 :: v_dual_fma_f32 v35, v64, v34, -v42
	v_dual_mul_f32 v47, v65, v37 :: v_dual_add_f32 v28, v28, v46
	ds_load_b128 v[42:45], v33 offset:1056
	v_dual_fmac_f32 v32, v65, v34 :: v_dual_mul_f32 v46, v64, v37
	v_dual_fma_f32 v34, v64, v36, -v47 :: v_dual_add_f32 v22, v22, v35
	s_wait_dscnt 0x1
	s_delay_alu instid0(VALU_DEP_2) | instskip(NEXT) | instid1(VALU_DEP_2)
	v_dual_mul_f32 v35, v55, v39 :: v_dual_add_f32 v24, v24, v32
	v_dual_fmac_f32 v46, v65, v36 :: v_dual_add_f32 v8, v8, v34
	s_delay_alu instid0(VALU_DEP_2) | instskip(SKIP_3) | instid1(VALU_DEP_2)
	v_dual_mul_f32 v32, v54, v39 :: v_dual_fma_f32 v47, v54, v38, -v35
	ds_load_2addr_b64 v[34:37], v29 offset0:160 offset1:176
	v_dual_mul_f32 v48, v55, v41 :: v_dual_add_f32 v20, v20, v46
	v_dual_fmac_f32 v32, v55, v38 :: v_dual_add_f32 v30, v30, v47
	v_dual_mul_f32 v50, v54, v41 :: v_dual_fma_f32 v51, v54, v40, -v48
	ds_load_b128 v[46:49], v33 offset:1072
	v_add_f32_e32 v31, v31, v32
	s_wait_dscnt 0x2
	v_dual_mul_f32 v52, v43, v39 :: v_dual_mul_f32 v32, v42, v39
	v_dual_fmac_f32 v50, v55, v40 :: v_dual_add_f32 v26, v26, v51
	s_delay_alu instid0(VALU_DEP_2) | instskip(NEXT) | instid1(VALU_DEP_2)
	v_dual_fma_f32 v39, v42, v38, -v52 :: v_dual_mul_f32 v51, v43, v41
	v_add_f32_e32 v28, v28, v50
	s_delay_alu instid0(VALU_DEP_4) | instskip(NEXT) | instid1(VALU_DEP_3)
	v_dual_fmac_f32 v32, v43, v38 :: v_dual_mul_f32 v50, v42, v41
	v_add_f32_e32 v22, v22, v39
	s_wait_dscnt 0x1
	v_dual_fma_f32 v38, v42, v40, -v51 :: v_dual_mul_f32 v39, v57, v35
	s_delay_alu instid0(VALU_DEP_3) | instskip(SKIP_1) | instid1(VALU_DEP_3)
	v_add_f32_e32 v24, v24, v32
	v_dual_fmac_f32 v50, v43, v40 :: v_dual_mul_f32 v32, v56, v35
	v_dual_add_f32 v8, v8, v38 :: v_dual_mul_f32 v43, v57, v37
	s_delay_alu instid0(VALU_DEP_4) | instskip(SKIP_4) | instid1(VALU_DEP_3)
	v_fma_f32 v42, v56, v34, -v39
	ds_load_2addr_b64 v[38:41], v29 offset0:192 offset1:208
	v_fmac_f32_e32 v32, v57, v34
	v_add_f32_e32 v20, v20, v50
	v_dual_fma_f32 v43, v56, v36, -v43 :: v_dual_add_f32 v30, v30, v42
	v_dual_mul_f32 v42, v56, v37 :: v_dual_add_f32 v31, v31, v32
	v_dual_mul_f32 v32, v45, v35 :: v_dual_mul_f32 v35, v44, v35
	s_delay_alu instid0(VALU_DEP_3) | instskip(NEXT) | instid1(VALU_DEP_2)
	v_dual_add_f32 v26, v26, v43 :: v_dual_mul_f32 v43, v45, v37
	v_dual_fmac_f32 v42, v57, v36 :: v_dual_fma_f32 v32, v44, v34, -v32
	s_delay_alu instid0(VALU_DEP_3) | instskip(NEXT) | instid1(VALU_DEP_3)
	v_fmac_f32_e32 v35, v45, v34
	v_fma_f32 v34, v44, v36, -v43
	s_delay_alu instid0(VALU_DEP_3) | instskip(SKIP_1) | instid1(VALU_DEP_4)
	v_dual_add_f32 v28, v28, v42 :: v_dual_add_f32 v22, v22, v32
	v_mul_f32_e32 v42, v44, v37
	v_add_f32_e32 v24, v24, v35
	s_wait_dscnt 0x0
	v_dual_mul_f32 v32, v59, v39 :: v_dual_add_f32 v8, v8, v34
	s_delay_alu instid0(VALU_DEP_3) | instskip(SKIP_4) | instid1(VALU_DEP_3)
	v_dual_mul_f32 v43, v58, v39 :: v_dual_fmac_f32 v42, v45, v36
	ds_load_2addr_b64 v[34:37], v29 offset0:224 offset1:240
	v_dual_fma_f32 v32, v58, v38, -v32 :: v_dual_mul_f32 v44, v58, v41
	v_fmac_f32_e32 v43, v59, v38
	v_dual_add_f32 v20, v20, v42 :: v_dual_mul_f32 v42, v59, v41
	v_dual_add_f32 v30, v30, v32 :: v_dual_mul_f32 v32, v47, v39
	s_delay_alu instid0(VALU_DEP_3) | instskip(SKIP_1) | instid1(VALU_DEP_4)
	v_add_f32_e32 v31, v31, v43
	v_dual_fmac_f32 v44, v59, v40 :: v_dual_mul_f32 v39, v46, v39
	v_fma_f32 v42, v58, v40, -v42
	s_delay_alu instid0(VALU_DEP_4) | instskip(SKIP_1) | instid1(VALU_DEP_3)
	v_fma_f32 v32, v46, v38, -v32
	s_wait_dscnt 0x0
	v_add_f32_e32 v28, v28, v44
	s_barrier_signal -1
	v_dual_add_f32 v26, v26, v42 :: v_dual_mul_f32 v42, v47, v41
	v_dual_fmac_f32 v39, v47, v38 :: v_dual_add_f32 v22, v22, v32
	v_dual_mul_f32 v32, v46, v41 :: v_dual_mul_f32 v41, v61, v35
	s_delay_alu instid0(VALU_DEP_3) | instskip(NEXT) | instid1(VALU_DEP_2)
	v_dual_fma_f32 v38, v46, v40, -v42 :: v_dual_mul_f32 v42, v60, v35
	v_dual_add_f32 v24, v24, v39 :: v_dual_fmac_f32 v32, v47, v40
	s_delay_alu instid0(VALU_DEP_2) | instskip(NEXT) | instid1(VALU_DEP_3)
	v_dual_mul_f32 v39, v61, v37 :: v_dual_add_f32 v8, v8, v38
	v_dual_fma_f32 v38, v60, v34, -v41 :: v_dual_fmac_f32 v42, v61, v34
	v_mul_f32_e32 v40, v60, v37
	s_delay_alu instid0(VALU_DEP_4) | instskip(SKIP_1) | instid1(VALU_DEP_3)
	v_add_f32_e32 v20, v20, v32
	s_barrier_wait -1
	v_add_f32_e32 v30, v30, v38
	v_dual_add_f32 v32, v31, v42 :: v_dual_fma_f32 v31, v60, v36, -v39
	v_fmac_f32_e32 v40, v61, v36
	v_dual_mul_f32 v38, v49, v35 :: v_dual_mul_f32 v35, v48, v35
	v_dual_mul_f32 v39, v49, v37 :: v_dual_mul_f32 v37, v48, v37
	s_delay_alu instid0(VALU_DEP_2) | instskip(NEXT) | instid1(VALU_DEP_3)
	v_dual_add_f32 v26, v26, v31 :: v_dual_fma_f32 v31, v48, v34, -v38
	v_fmac_f32_e32 v35, v49, v34
	s_delay_alu instid0(VALU_DEP_3) | instskip(NEXT) | instid1(VALU_DEP_3)
	v_dual_fma_f32 v34, v48, v36, -v39 :: v_dual_fmac_f32 v37, v49, v36
	v_dual_add_f32 v28, v28, v40 :: v_dual_add_f32 v22, v22, v31
	s_delay_alu instid0(VALU_DEP_3) | instskip(NEXT) | instid1(VALU_DEP_3)
	v_add_f32_e32 v24, v24, v35
	v_add_f32_e32 v8, v8, v34
	s_delay_alu instid0(VALU_DEP_4)
	v_add_f32_e32 v20, v20, v37
	s_cbranch_scc0 .LBB363_13
.LBB363_9:                              ;   Parent Loop BB363_6 Depth=1
                                        ; =>  This Inner Loop Header: Depth=2
	v_dual_mov_b32 v34, 0 :: v_dual_add_nc_u32 v31, s13, v21
	v_mov_b32_e32 v35, 0
	s_delay_alu instid0(VALU_DEP_2) | instskip(SKIP_2) | instid1(SALU_CYCLE_1)
	v_cmp_gt_i32_e32 vcc_lo, s23, v31
	s_wait_xcnt 0x0
	s_and_b32 s27, s0, vcc_lo
	s_and_saveexec_b32 s26, s27
	s_cbranch_execz .LBB363_11
; %bb.10:                               ;   in Loop: Header=BB363_9 Depth=2
	flat_load_b64 v[34:35], v[16:17]
.LBB363_11:                             ;   in Loop: Header=BB363_9 Depth=2
	s_wait_xcnt 0x0
	s_or_b32 exec_lo, exec_lo, s26
	v_dual_mov_b32 v36, 0 :: v_dual_add_nc_u32 v31, s13, v23
	v_mov_b32_e32 v37, 0
	s_wait_loadcnt_dscnt 0x0
	ds_store_b64 v25, v[34:35]
	v_cmp_gt_i32_e32 vcc_lo, s23, v31
	s_and_b32 s27, vcc_lo, s1
	s_delay_alu instid0(SALU_CYCLE_1)
	s_and_saveexec_b32 s26, s27
	s_cbranch_execz .LBB363_8
; %bb.12:                               ;   in Loop: Header=BB363_9 Depth=2
	flat_load_b64 v[36:37], v[18:19]
	s_branch .LBB363_8
.LBB363_13:                             ;   in Loop: Header=BB363_6 Depth=1
	s_wait_loadcnt 0x0
	v_add_nc_u64_e32 v[14:15], s[8:9], v[14:15]
	s_delay_alu instid0(VALU_DEP_1)
	v_lshl_add_u64 v[16:17], v[2:3], 3, v[14:15]
	s_and_saveexec_b32 s13, s19
	s_cbranch_execz .LBB363_18
; %bb.14:                               ;   in Loop: Header=BB363_6 Depth=1
	v_mov_b64_e32 v[18:19], s[4:5]
	v_mov_b64_e32 v[34:35], s[14:15]
	s_and_b32 vcc_lo, exec_lo, s18
	s_mov_b32 s26, -1
	s_delay_alu instid0(VALU_DEP_2) | instskip(NEXT) | instid1(VALU_DEP_1)
	v_pk_mul_f32 v[18:19], v[32:33], v[18:19] op_sel_hi:[0,1]
	v_pk_fma_f32 v[36:37], v[30:31], v[34:35], v[18:19] op_sel_hi:[0,1,1]
	v_pk_fma_f32 v[18:19], v[30:31], v[34:35], v[18:19] neg_lo:[0,0,1] neg_hi:[0,0,1]
	v_lshl_add_u64 v[30:31], v[0:1], 3, v[16:17]
	s_delay_alu instid0(VALU_DEP_3)
	v_mov_b32_e32 v19, v37
	s_cbranch_vccz .LBB363_16
; %bb.15:                               ;   in Loop: Header=BB363_6 Depth=1
	flat_load_b64 v[34:35], v[30:31]
	v_mov_b64_e32 v[36:37], s[20:21]
	v_mov_b64_e32 v[38:39], s[2:3]
	s_mov_b32 s26, 0
	s_wait_loadcnt_dscnt 0x0
	s_delay_alu instid0(VALU_DEP_2) | instskip(NEXT) | instid1(VALU_DEP_1)
	v_pk_mul_f32 v[36:37], v[34:35], v[36:37]
	v_pk_fma_f32 v[40:41], v[34:35], v[38:39], v[36:37] op_sel:[0,0,1] op_sel_hi:[1,1,0]
	v_pk_fma_f32 v[34:35], v[34:35], v[38:39], v[36:37] op_sel:[0,0,1] op_sel_hi:[1,1,0] neg_lo:[0,0,1] neg_hi:[0,0,1]
	s_delay_alu instid0(VALU_DEP_2) | instskip(NEXT) | instid1(VALU_DEP_1)
	v_mov_b32_e32 v35, v41
	v_pk_add_f32 v[34:35], v[18:19], v[34:35]
	flat_store_b64 v[30:31], v[34:35]
.LBB363_16:                             ;   in Loop: Header=BB363_6 Depth=1
	s_and_not1_b32 vcc_lo, exec_lo, s26
	s_cbranch_vccnz .LBB363_18
; %bb.17:                               ;   in Loop: Header=BB363_6 Depth=1
	flat_store_b64 v[30:31], v[18:19]
.LBB363_18:                             ;   in Loop: Header=BB363_6 Depth=1
	s_wait_xcnt 0x0
	s_or_b32 exec_lo, exec_lo, s13
	s_and_saveexec_b32 s13, s22
	s_cbranch_execz .LBB363_23
; %bb.19:                               ;   in Loop: Header=BB363_6 Depth=1
	v_mov_b64_e32 v[18:19], s[4:5]
	v_mov_b64_e32 v[30:31], s[14:15]
	v_lshl_add_u64 v[16:17], v[4:5], 3, v[16:17]
	s_and_not1_b32 vcc_lo, exec_lo, s18
	s_mov_b32 s26, -1
	s_delay_alu instid0(VALU_DEP_3) | instskip(NEXT) | instid1(VALU_DEP_1)
	v_pk_mul_f32 v[18:19], v[28:29], v[18:19] op_sel_hi:[0,1]
	v_pk_fma_f32 v[34:35], v[26:27], v[30:31], v[18:19] op_sel_hi:[0,1,1]
	v_pk_fma_f32 v[18:19], v[26:27], v[30:31], v[18:19] neg_lo:[0,0,1] neg_hi:[0,0,1]
	s_delay_alu instid0(VALU_DEP_2)
	v_mov_b32_e32 v19, v35
	s_cbranch_vccnz .LBB363_21
; %bb.20:                               ;   in Loop: Header=BB363_6 Depth=1
	flat_load_b64 v[30:31], v[16:17]
	v_mov_b64_e32 v[34:35], s[20:21]
	v_mov_b64_e32 v[36:37], s[2:3]
	s_mov_b32 s26, 0
	s_wait_loadcnt_dscnt 0x0
	s_delay_alu instid0(VALU_DEP_2) | instskip(NEXT) | instid1(VALU_DEP_1)
	v_pk_mul_f32 v[34:35], v[30:31], v[34:35]
	v_pk_fma_f32 v[38:39], v[30:31], v[36:37], v[34:35] op_sel:[0,0,1] op_sel_hi:[1,1,0]
	v_pk_fma_f32 v[30:31], v[30:31], v[36:37], v[34:35] op_sel:[0,0,1] op_sel_hi:[1,1,0] neg_lo:[0,0,1] neg_hi:[0,0,1]
	s_delay_alu instid0(VALU_DEP_2) | instskip(NEXT) | instid1(VALU_DEP_1)
	v_mov_b32_e32 v31, v39
	v_pk_add_f32 v[30:31], v[18:19], v[30:31]
	flat_store_b64 v[16:17], v[30:31]
.LBB363_21:                             ;   in Loop: Header=BB363_6 Depth=1
	s_and_not1_b32 vcc_lo, exec_lo, s26
	s_cbranch_vccnz .LBB363_23
; %bb.22:                               ;   in Loop: Header=BB363_6 Depth=1
	flat_store_b64 v[16:17], v[18:19]
.LBB363_23:                             ;   in Loop: Header=BB363_6 Depth=1
	s_wait_xcnt 0x0
	s_or_b32 exec_lo, exec_lo, s13
	v_lshl_add_u64 v[14:15], v[6:7], 3, v[14:15]
	s_and_saveexec_b32 s13, s29
	s_cbranch_execz .LBB363_28
; %bb.24:                               ;   in Loop: Header=BB363_6 Depth=1
	v_mov_b64_e32 v[16:17], s[4:5]
	v_mov_b64_e32 v[18:19], s[14:15]
	s_and_not1_b32 vcc_lo, exec_lo, s18
	s_mov_b32 s26, -1
	s_delay_alu instid0(VALU_DEP_2) | instskip(NEXT) | instid1(VALU_DEP_1)
	v_pk_mul_f32 v[16:17], v[24:25], v[16:17] op_sel_hi:[0,1]
	v_pk_fma_f32 v[30:31], v[22:23], v[18:19], v[16:17] op_sel_hi:[0,1,1]
	v_pk_fma_f32 v[16:17], v[22:23], v[18:19], v[16:17] neg_lo:[0,0,1] neg_hi:[0,0,1]
	v_lshl_add_u64 v[18:19], v[0:1], 3, v[14:15]
	s_delay_alu instid0(VALU_DEP_3)
	v_mov_b32_e32 v17, v31
	s_cbranch_vccnz .LBB363_26
; %bb.25:                               ;   in Loop: Header=BB363_6 Depth=1
	flat_load_b64 v[30:31], v[18:19]
	v_mov_b64_e32 v[34:35], s[20:21]
	v_mov_b64_e32 v[36:37], s[2:3]
	s_mov_b32 s26, 0
	s_wait_loadcnt_dscnt 0x0
	s_delay_alu instid0(VALU_DEP_2) | instskip(NEXT) | instid1(VALU_DEP_1)
	v_pk_mul_f32 v[34:35], v[30:31], v[34:35]
	v_pk_fma_f32 v[38:39], v[30:31], v[36:37], v[34:35] op_sel:[0,0,1] op_sel_hi:[1,1,0]
	v_pk_fma_f32 v[30:31], v[30:31], v[36:37], v[34:35] op_sel:[0,0,1] op_sel_hi:[1,1,0] neg_lo:[0,0,1] neg_hi:[0,0,1]
	s_delay_alu instid0(VALU_DEP_2) | instskip(NEXT) | instid1(VALU_DEP_1)
	v_mov_b32_e32 v31, v39
	v_pk_add_f32 v[30:31], v[16:17], v[30:31]
	flat_store_b64 v[18:19], v[30:31]
.LBB363_26:                             ;   in Loop: Header=BB363_6 Depth=1
	s_and_not1_b32 vcc_lo, exec_lo, s26
	s_cbranch_vccnz .LBB363_28
; %bb.27:                               ;   in Loop: Header=BB363_6 Depth=1
	flat_store_b64 v[18:19], v[16:17]
.LBB363_28:                             ;   in Loop: Header=BB363_6 Depth=1
	s_wait_xcnt 0x0
	s_or_b32 exec_lo, exec_lo, s13
	s_and_saveexec_b32 s13, s30
	s_cbranch_execz .LBB363_5
; %bb.29:                               ;   in Loop: Header=BB363_6 Depth=1
	v_mov_b64_e32 v[16:17], s[4:5]
	v_mov_b64_e32 v[18:19], s[14:15]
	v_lshl_add_u64 v[14:15], v[4:5], 3, v[14:15]
	s_and_not1_b32 vcc_lo, exec_lo, s18
	s_mov_b32 s26, -1
	s_delay_alu instid0(VALU_DEP_3) | instskip(NEXT) | instid1(VALU_DEP_1)
	v_pk_mul_f32 v[16:17], v[20:21], v[16:17] op_sel_hi:[0,1]
	v_pk_fma_f32 v[30:31], v[8:9], v[18:19], v[16:17] op_sel_hi:[0,1,1]
	v_pk_fma_f32 v[16:17], v[8:9], v[18:19], v[16:17] neg_lo:[0,0,1] neg_hi:[0,0,1]
	s_delay_alu instid0(VALU_DEP_2)
	v_mov_b32_e32 v17, v31
	s_cbranch_vccnz .LBB363_31
; %bb.30:                               ;   in Loop: Header=BB363_6 Depth=1
	flat_load_b64 v[18:19], v[14:15]
	v_mov_b64_e32 v[30:31], s[20:21]
	v_mov_b64_e32 v[34:35], s[2:3]
	s_mov_b32 s26, 0
	s_wait_loadcnt_dscnt 0x0
	s_delay_alu instid0(VALU_DEP_2) | instskip(NEXT) | instid1(VALU_DEP_1)
	v_pk_mul_f32 v[30:31], v[18:19], v[30:31]
	v_pk_fma_f32 v[36:37], v[18:19], v[34:35], v[30:31] op_sel:[0,0,1] op_sel_hi:[1,1,0]
	v_pk_fma_f32 v[18:19], v[18:19], v[34:35], v[30:31] op_sel:[0,0,1] op_sel_hi:[1,1,0] neg_lo:[0,0,1] neg_hi:[0,0,1]
	s_delay_alu instid0(VALU_DEP_2) | instskip(NEXT) | instid1(VALU_DEP_1)
	v_mov_b32_e32 v19, v37
	v_pk_add_f32 v[18:19], v[16:17], v[18:19]
	flat_store_b64 v[14:15], v[18:19]
.LBB363_31:                             ;   in Loop: Header=BB363_6 Depth=1
	s_and_not1_b32 vcc_lo, exec_lo, s26
	s_cbranch_vccnz .LBB363_5
; %bb.32:                               ;   in Loop: Header=BB363_6 Depth=1
	flat_store_b64 v[14:15], v[16:17]
	s_branch .LBB363_5
.LBB363_33:
	s_sendmsg sendmsg(MSG_DEALLOC_VGPRS)
	s_endpgm
	.section	.rodata,"a",@progbits
	.p2align	6, 0x0
	.amdhsa_kernel _ZL29rocblas_internal_gemmt_kernelIiLi16ELi32ELi8ELc84ELc78ELc85ELb0ELb0E19rocblas_complex_numIfEPKS1_PKS3_PKPS1_EviT_T9_T10_S9_lSB_S9_lSA_T11_S9_li
		.amdhsa_group_segment_fixed_size 4096
		.amdhsa_private_segment_fixed_size 0
		.amdhsa_kernarg_size 100
		.amdhsa_user_sgpr_count 2
		.amdhsa_user_sgpr_dispatch_ptr 0
		.amdhsa_user_sgpr_queue_ptr 0
		.amdhsa_user_sgpr_kernarg_segment_ptr 1
		.amdhsa_user_sgpr_dispatch_id 0
		.amdhsa_user_sgpr_kernarg_preload_length 0
		.amdhsa_user_sgpr_kernarg_preload_offset 0
		.amdhsa_user_sgpr_private_segment_size 0
		.amdhsa_wavefront_size32 1
		.amdhsa_uses_dynamic_stack 0
		.amdhsa_enable_private_segment 0
		.amdhsa_system_sgpr_workgroup_id_x 1
		.amdhsa_system_sgpr_workgroup_id_y 1
		.amdhsa_system_sgpr_workgroup_id_z 1
		.amdhsa_system_sgpr_workgroup_info 0
		.amdhsa_system_vgpr_workitem_id 1
		.amdhsa_next_free_vgpr 72
		.amdhsa_next_free_sgpr 36
		.amdhsa_named_barrier_count 0
		.amdhsa_reserve_vcc 1
		.amdhsa_float_round_mode_32 0
		.amdhsa_float_round_mode_16_64 0
		.amdhsa_float_denorm_mode_32 3
		.amdhsa_float_denorm_mode_16_64 3
		.amdhsa_fp16_overflow 0
		.amdhsa_memory_ordered 1
		.amdhsa_forward_progress 1
		.amdhsa_inst_pref_size 26
		.amdhsa_round_robin_scheduling 0
		.amdhsa_exception_fp_ieee_invalid_op 0
		.amdhsa_exception_fp_denorm_src 0
		.amdhsa_exception_fp_ieee_div_zero 0
		.amdhsa_exception_fp_ieee_overflow 0
		.amdhsa_exception_fp_ieee_underflow 0
		.amdhsa_exception_fp_ieee_inexact 0
		.amdhsa_exception_int_div_zero 0
	.end_amdhsa_kernel
	.section	.text._ZL29rocblas_internal_gemmt_kernelIiLi16ELi32ELi8ELc84ELc78ELc85ELb0ELb0E19rocblas_complex_numIfEPKS1_PKS3_PKPS1_EviT_T9_T10_S9_lSB_S9_lSA_T11_S9_li,"axG",@progbits,_ZL29rocblas_internal_gemmt_kernelIiLi16ELi32ELi8ELc84ELc78ELc85ELb0ELb0E19rocblas_complex_numIfEPKS1_PKS3_PKPS1_EviT_T9_T10_S9_lSB_S9_lSA_T11_S9_li,comdat
.Lfunc_end363:
	.size	_ZL29rocblas_internal_gemmt_kernelIiLi16ELi32ELi8ELc84ELc78ELc85ELb0ELb0E19rocblas_complex_numIfEPKS1_PKS3_PKPS1_EviT_T9_T10_S9_lSB_S9_lSA_T11_S9_li, .Lfunc_end363-_ZL29rocblas_internal_gemmt_kernelIiLi16ELi32ELi8ELc84ELc78ELc85ELb0ELb0E19rocblas_complex_numIfEPKS1_PKS3_PKPS1_EviT_T9_T10_S9_lSB_S9_lSA_T11_S9_li
                                        ; -- End function
	.set _ZL29rocblas_internal_gemmt_kernelIiLi16ELi32ELi8ELc84ELc78ELc85ELb0ELb0E19rocblas_complex_numIfEPKS1_PKS3_PKPS1_EviT_T9_T10_S9_lSB_S9_lSA_T11_S9_li.num_vgpr, 72
	.set _ZL29rocblas_internal_gemmt_kernelIiLi16ELi32ELi8ELc84ELc78ELc85ELb0ELb0E19rocblas_complex_numIfEPKS1_PKS3_PKPS1_EviT_T9_T10_S9_lSB_S9_lSA_T11_S9_li.num_agpr, 0
	.set _ZL29rocblas_internal_gemmt_kernelIiLi16ELi32ELi8ELc84ELc78ELc85ELb0ELb0E19rocblas_complex_numIfEPKS1_PKS3_PKPS1_EviT_T9_T10_S9_lSB_S9_lSA_T11_S9_li.numbered_sgpr, 36
	.set _ZL29rocblas_internal_gemmt_kernelIiLi16ELi32ELi8ELc84ELc78ELc85ELb0ELb0E19rocblas_complex_numIfEPKS1_PKS3_PKPS1_EviT_T9_T10_S9_lSB_S9_lSA_T11_S9_li.num_named_barrier, 0
	.set _ZL29rocblas_internal_gemmt_kernelIiLi16ELi32ELi8ELc84ELc78ELc85ELb0ELb0E19rocblas_complex_numIfEPKS1_PKS3_PKPS1_EviT_T9_T10_S9_lSB_S9_lSA_T11_S9_li.private_seg_size, 0
	.set _ZL29rocblas_internal_gemmt_kernelIiLi16ELi32ELi8ELc84ELc78ELc85ELb0ELb0E19rocblas_complex_numIfEPKS1_PKS3_PKPS1_EviT_T9_T10_S9_lSB_S9_lSA_T11_S9_li.uses_vcc, 1
	.set _ZL29rocblas_internal_gemmt_kernelIiLi16ELi32ELi8ELc84ELc78ELc85ELb0ELb0E19rocblas_complex_numIfEPKS1_PKS3_PKPS1_EviT_T9_T10_S9_lSB_S9_lSA_T11_S9_li.uses_flat_scratch, 0
	.set _ZL29rocblas_internal_gemmt_kernelIiLi16ELi32ELi8ELc84ELc78ELc85ELb0ELb0E19rocblas_complex_numIfEPKS1_PKS3_PKPS1_EviT_T9_T10_S9_lSB_S9_lSA_T11_S9_li.has_dyn_sized_stack, 0
	.set _ZL29rocblas_internal_gemmt_kernelIiLi16ELi32ELi8ELc84ELc78ELc85ELb0ELb0E19rocblas_complex_numIfEPKS1_PKS3_PKPS1_EviT_T9_T10_S9_lSB_S9_lSA_T11_S9_li.has_recursion, 0
	.set _ZL29rocblas_internal_gemmt_kernelIiLi16ELi32ELi8ELc84ELc78ELc85ELb0ELb0E19rocblas_complex_numIfEPKS1_PKS3_PKPS1_EviT_T9_T10_S9_lSB_S9_lSA_T11_S9_li.has_indirect_call, 0
	.section	.AMDGPU.csdata,"",@progbits
; Kernel info:
; codeLenInByte = 3240
; TotalNumSgprs: 38
; NumVgprs: 72
; ScratchSize: 0
; MemoryBound: 0
; FloatMode: 240
; IeeeMode: 1
; LDSByteSize: 4096 bytes/workgroup (compile time only)
; SGPRBlocks: 0
; VGPRBlocks: 4
; NumSGPRsForWavesPerEU: 38
; NumVGPRsForWavesPerEU: 72
; NamedBarCnt: 0
; Occupancy: 12
; WaveLimiterHint : 1
; COMPUTE_PGM_RSRC2:SCRATCH_EN: 0
; COMPUTE_PGM_RSRC2:USER_SGPR: 2
; COMPUTE_PGM_RSRC2:TRAP_HANDLER: 0
; COMPUTE_PGM_RSRC2:TGID_X_EN: 1
; COMPUTE_PGM_RSRC2:TGID_Y_EN: 1
; COMPUTE_PGM_RSRC2:TGID_Z_EN: 1
; COMPUTE_PGM_RSRC2:TIDIG_COMP_CNT: 1
	.section	.text._ZL29rocblas_internal_gemmt_kernelIiLi16ELi32ELi8ELc84ELc84ELc85ELb0ELb0E19rocblas_complex_numIfEPKS1_PKS3_PKPS1_EviT_T9_T10_S9_lSB_S9_lSA_T11_S9_li,"axG",@progbits,_ZL29rocblas_internal_gemmt_kernelIiLi16ELi32ELi8ELc84ELc84ELc85ELb0ELb0E19rocblas_complex_numIfEPKS1_PKS3_PKPS1_EviT_T9_T10_S9_lSB_S9_lSA_T11_S9_li,comdat
	.globl	_ZL29rocblas_internal_gemmt_kernelIiLi16ELi32ELi8ELc84ELc84ELc85ELb0ELb0E19rocblas_complex_numIfEPKS1_PKS3_PKPS1_EviT_T9_T10_S9_lSB_S9_lSA_T11_S9_li ; -- Begin function _ZL29rocblas_internal_gemmt_kernelIiLi16ELi32ELi8ELc84ELc84ELc85ELb0ELb0E19rocblas_complex_numIfEPKS1_PKS3_PKPS1_EviT_T9_T10_S9_lSB_S9_lSA_T11_S9_li
	.p2align	8
	.type	_ZL29rocblas_internal_gemmt_kernelIiLi16ELi32ELi8ELc84ELc84ELc85ELb0ELb0E19rocblas_complex_numIfEPKS1_PKS3_PKPS1_EviT_T9_T10_S9_lSB_S9_lSA_T11_S9_li,@function
_ZL29rocblas_internal_gemmt_kernelIiLi16ELi32ELi8ELc84ELc84ELc85ELb0ELb0E19rocblas_complex_numIfEPKS1_PKS3_PKPS1_EviT_T9_T10_S9_lSB_S9_lSA_T11_S9_li: ; @_ZL29rocblas_internal_gemmt_kernelIiLi16ELi32ELi8ELc84ELc84ELc85ELb0ELb0E19rocblas_complex_numIfEPKS1_PKS3_PKPS1_EviT_T9_T10_S9_lSB_S9_lSA_T11_S9_li
; %bb.0:
	s_load_b128 s[12:15], s[0:1], 0x38
	s_wait_kmcnt 0x0
	s_load_b64 s[20:21], s[14:15], 0x0
	s_clause 0x1
	s_load_b128 s[4:7], s[0:1], 0x8
	s_load_b64 s[22:23], s[0:1], 0x0
	s_wait_kmcnt 0x0
	s_cmp_neq_f32 s20, 1.0
	s_load_b64 s[14:15], s[4:5], 0x0
	s_cselect_b32 s2, -1, 0
	s_and_b32 s3, s21, 0x7fffffff
	s_delay_alu instid0(SALU_CYCLE_1) | instskip(SKIP_3) | instid1(SALU_CYCLE_1)
	s_cmp_eq_u32 s3, 0
	s_cselect_b32 s30, -1, 0
	s_cmp_lg_u32 s3, 0
	s_cselect_b32 s3, -1, 0
	s_or_b32 s2, s2, s3
	s_delay_alu instid0(SALU_CYCLE_1)
	s_and_b32 vcc_lo, exec_lo, s2
	s_cbranch_vccnz .LBB364_2
; %bb.1:
	s_cmp_lg_u32 s23, 0
	s_cselect_b32 s2, -1, 0
	s_wait_kmcnt 0x0
	s_cmp_neq_f32 s14, 0
	s_cselect_b32 s3, -1, 0
	s_cmp_neq_f32 s15, 0
	s_cselect_b32 s4, -1, 0
	s_delay_alu instid0(SALU_CYCLE_1) | instskip(NEXT) | instid1(SALU_CYCLE_1)
	s_or_b32 s3, s3, s4
	s_and_b32 s2, s2, s3
.LBB364_2:
	s_delay_alu instid0(SALU_CYCLE_1)
	s_and_not1_b32 vcc_lo, exec_lo, s2
	s_cbranch_vccnz .LBB364_33
; %bb.3:
	s_load_b32 s19, s[0:1], 0x60
	s_bfe_u32 s2, ttmp6, 0x40014
	s_lshr_b32 s3, ttmp7, 16
	s_add_co_i32 s2, s2, 1
	s_wait_xcnt 0x0
	s_bfe_u32 s5, ttmp6, 0x40008
	s_mul_i32 s2, s3, s2
	s_getreg_b32 s4, hwreg(HW_REG_IB_STS2, 6, 4)
	s_add_co_i32 s5, s5, s2
	s_cmp_eq_u32 s4, 0
	s_mov_b32 s25, 0
	s_cselect_b32 s24, s3, s5
	s_wait_kmcnt 0x0
	s_cmp_ge_u32 s24, s19
	s_cbranch_scc1 .LBB364_33
; %bb.4:
	s_clause 0x3
	s_load_b32 s2, s[0:1], 0x18
	s_load_b32 s26, s[0:1], 0x30
	s_load_b96 s[16:18], s[0:1], 0x48
	s_load_b128 s[8:11], s[0:1], 0x20
	v_and_b32_e32 v2, 0x3ff, v0
	v_bfe_u32 v11, v0, 10, 10
	s_load_b64 s[28:29], s[0:1], 0x58
	s_wait_xcnt 0x0
	s_bfe_u32 s1, ttmp6, 0x4000c
	s_bfe_u32 s3, ttmp6, 0x40010
	s_and_b32 s31, ttmp7, 0xffff
	s_add_co_i32 s1, s1, 1
	s_add_co_i32 s3, s3, 1
	v_lshl_add_u32 v1, v11, 4, v2
	s_and_b32 s0, ttmp6, 15
	s_bfe_u32 s5, ttmp6, 0x40004
	s_mul_i32 s1, ttmp9, s1
	s_mul_i32 s3, s31, s3
	s_add_co_i32 s0, s0, s1
	s_add_co_i32 s1, s5, s3
	v_dual_lshrrev_b32 v23, 5, v1 :: v_dual_bitop2_b32 v3, 31, v1 bitop3:0x40
	s_wait_kmcnt 0x0
	s_ashr_i32 s3, s2, 31
	s_ashr_i32 s27, s26, 31
	;; [unrolled: 1-line block ×3, first 2 shown]
	s_cmp_eq_u32 s4, 0
	v_dual_lshrrev_b32 v1, 3, v1 :: v_dual_bitop2_b32 v0, 7, v0 bitop3:0x40
	s_cselect_b32 s0, ttmp9, s0
	s_cselect_b32 s1, s31, s1
	s_lshl_b32 s31, s0, 5
	s_lshl_b32 s1, s1, 5
	s_delay_alu instid0(SALU_CYCLE_1) | instskip(SKIP_1) | instid1(VALU_DEP_2)
	v_dual_add_nc_u32 v14, s1, v1 :: v_dual_bitop2_b32 v4, s31, v3 bitop3:0x54
	v_dual_lshlrev_b32 v6, 3, v3 :: v_dual_lshlrev_b32 v7, 3, v0
	v_dual_mov_b32 v3, 0 :: v_dual_ashrrev_i32 v5, 31, v4
	s_cmp_neq_f32 s14, 0
	s_delay_alu instid0(VALU_DEP_2) | instskip(NEXT) | instid1(VALU_DEP_3)
	v_lshl_or_b32 v25, v23, 8, v6
	v_lshl_or_b32 v6, v1, 6, v7
	s_delay_alu instid0(VALU_DEP_3) | instskip(SKIP_3) | instid1(VALU_DEP_2)
	v_dual_mov_b32 v1, v3 :: v_dual_add_nc_u32 v12, s1, v11
	v_mul_u64_e32 v[16:17], s[2:3], v[4:5]
	s_cselect_b32 s0, -1, 0
	s_cmp_neq_f32 s15, 0
	v_mul_u64_e32 v[18:19], s[26:27], v[0:1]
	v_dual_ashrrev_i32 v15, 31, v14 :: v_dual_add_nc_u32 v20, 16, v12
	s_mov_b32 s4, s18
	s_cselect_b32 s18, -1, 0
	v_dual_lshlrev_b32 v1, 3, v2 :: v_dual_ashrrev_i32 v13, 31, v12
	s_or_b32 s34, s0, s18
	v_cmp_gt_i32_e64 s0, s22, v4
	v_dual_add_nc_u32 v4, s31, v2 :: v_dual_ashrrev_i32 v21, 31, v20
	v_add_nc_u32_e32 v27, 0x800, v6
	v_mul_u64_e32 v[6:7], s[4:5], v[12:13]
	s_cmp_gt_i32 s23, 0
	s_delay_alu instid0(VALU_DEP_3) | instskip(SKIP_3) | instid1(VALU_DEP_2)
	v_dual_add_nc_u32 v10, 16, v4 :: v_dual_ashrrev_i32 v5, 31, v4
	v_mul_u64_e32 v[8:9], s[4:5], v[20:21]
	s_cselect_b32 s35, -1, 0
	s_cmp_neq_f32 s20, 0
	v_cmp_le_i32_e64 s5, v10, v20
	v_cmp_gt_i32_e32 vcc_lo, s22, v12
	v_cmp_le_i32_e64 s2, v4, v12
	s_cselect_b32 s3, -1, 0
	s_xor_b32 s4, s30, -1
	v_lshl_add_u32 v29, v11, 6, 0x800
	s_or_b32 s18, s3, s4
	v_cmp_gt_i32_e64 s3, s22, v20
	v_cmp_le_i32_e64 s4, v4, v20
	s_and_b32 s30, vcc_lo, s2
	v_cmp_le_i32_e64 s2, v10, v12
	v_dual_ashrrev_i32 v11, 31, v10 :: v_dual_lshlrev_b32 v2, 3, v23
	s_and_b32 s31, s3, s4
	s_and_b32 s33, s3, s5
	s_lshl_b64 s[4:5], s[8:9], 3
	v_cmp_gt_i32_e64 s1, s22, v14
	v_lshl_add_u64 v[12:13], v[16:17], 3, s[4:5]
	s_lshl_b64 s[4:5], s[12:13], 3
	s_and_b32 s22, vcc_lo, s2
	v_lshl_add_u64 v[16:17], v[18:19], 3, s[4:5]
	s_mov_b32 s2, s20
	v_add_nc_u64_e32 v[12:13], v[12:13], v[2:3]
	s_mov_b32 s3, s20
	s_mov_b32 s20, s21
	v_lshl_add_u64 v[14:15], v[14:15], 3, v[16:17]
	s_mov_b32 s4, s15
	s_and_b32 s34, s34, s35
	s_mov_b32 s5, s14
	s_lshl_b64 s[8:9], s[26:27], 6
	s_lshl_b64 s[12:13], s[28:29], 3
	s_branch .LBB364_6
.LBB364_5:                              ;   in Loop: Header=BB364_6 Depth=1
	s_wait_xcnt 0x0
	s_or_b32 exec_lo, exec_lo, s26
	s_add_co_i32 s24, s24, 0x10000
	s_delay_alu instid0(SALU_CYCLE_1)
	s_cmp_lt_u32 s24, s19
	s_cbranch_scc0 .LBB364_33
.LBB364_6:                              ; =>This Loop Header: Depth=1
                                        ;     Child Loop BB364_9 Depth 2
	v_dual_mov_b32 v2, s24 :: v_dual_mov_b32 v32, 0
	v_dual_mov_b32 v34, 0 :: v_dual_mov_b32 v28, 0
	;; [unrolled: 1-line block ×3, first 2 shown]
	global_load_b64 v[16:17], v2, s[16:17] scale_offset
	s_wait_xcnt 0x0
	v_dual_mov_b32 v26, 0 :: v_dual_mov_b32 v2, 0
	v_mov_b32_e32 v22, 0
	s_and_not1_b32 vcc_lo, exec_lo, s34
	s_cbranch_vccnz .LBB364_13
; %bb.7:                                ;   in Loop: Header=BB364_6 Depth=1
	s_lshl_b64 s[26:27], s[24:25], 3
	v_dual_mov_b32 v22, 0 :: v_dual_mov_b32 v2, 0
	s_add_nc_u64 s[28:29], s[6:7], s[26:27]
	s_add_nc_u64 s[26:27], s[10:11], s[26:27]
	s_clause 0x1
	global_load_b64 v[18:19], v3, s[28:29]
	global_load_b64 v[20:21], v3, s[26:27]
	v_dual_mov_b32 v26, 0 :: v_dual_mov_b32 v24, 0
	v_dual_mov_b32 v30, 0 :: v_dual_mov_b32 v28, 0
	;; [unrolled: 1-line block ×3, first 2 shown]
	s_wait_xcnt 0x0
	s_mov_b32 s26, 0
	s_wait_loadcnt 0x1
	v_add_nc_u64_e32 v[18:19], v[18:19], v[12:13]
	s_wait_loadcnt 0x0
	v_add_nc_u64_e32 v[20:21], v[20:21], v[14:15]
	s_branch .LBB364_9
.LBB364_8:                              ;   in Loop: Header=BB364_9 Depth=2
	s_wait_xcnt 0x0
	s_or_b32 exec_lo, exec_lo, s27
	s_wait_loadcnt_dscnt 0x0
	ds_store_b64 v27, v[38:39]
	s_wait_dscnt 0x0
	s_barrier_signal -1
	s_barrier_wait -1
	ds_load_b128 v[36:39], v29
	ds_load_2addr_b64 v[40:43], v1 offset1:16
	ds_load_b128 v[44:47], v29 offset:1024
	ds_load_b128 v[48:51], v29 offset:16
	ds_load_2addr_b64 v[52:55], v1 offset0:32 offset1:48
	ds_load_b128 v[56:59], v29 offset:32
	ds_load_b128 v[60:63], v29 offset:48
	ds_load_b128 v[64:67], v29 offset:1040
	v_add_nc_u64_e32 v[18:19], 64, v[18:19]
	v_add_nc_u64_e32 v[20:21], s[8:9], v[20:21]
	s_add_co_i32 s26, s26, 8
	s_delay_alu instid0(SALU_CYCLE_1)
	s_cmp_lt_i32 s26, s23
	s_wait_dscnt 0x6
	v_dual_mul_f32 v31, v37, v41 :: v_dual_mul_f32 v33, v36, v41
	v_dual_mul_f32 v35, v37, v43 :: v_dual_mul_f32 v68, v36, v43
	s_wait_dscnt 0x5
	v_dual_mul_f32 v69, v45, v41 :: v_dual_mul_f32 v41, v44, v41
	v_dual_mul_f32 v70, v45, v43 :: v_dual_mul_f32 v43, v44, v43
	v_dual_fma_f32 v31, v36, v40, -v31 :: v_dual_fmac_f32 v33, v37, v40
	v_dual_fma_f32 v35, v36, v42, -v35 :: v_dual_fmac_f32 v68, v37, v42
	s_delay_alu instid0(VALU_DEP_3) | instskip(NEXT) | instid1(VALU_DEP_3)
	v_dual_fma_f32 v36, v44, v40, -v69 :: v_dual_fma_f32 v37, v44, v42, -v70
	v_dual_fmac_f32 v41, v45, v40 :: v_dual_add_f32 v40, v32, v31
	s_delay_alu instid0(VALU_DEP_3) | instskip(NEXT) | instid1(VALU_DEP_4)
	v_dual_add_f32 v34, v34, v33 :: v_dual_add_f32 v28, v28, v35
	v_add_f32_e32 v35, v30, v68
	s_delay_alu instid0(VALU_DEP_3)
	v_dual_add_f32 v24, v24, v36 :: v_dual_add_f32 v26, v26, v41
	s_wait_dscnt 0x3
	v_mul_f32_e32 v36, v39, v53
	ds_load_2addr_b64 v[30:33], v1 offset0:64 offset1:80
	v_dual_fmac_f32 v43, v45, v42 :: v_dual_add_f32 v2, v2, v37
	v_dual_mul_f32 v37, v38, v53 :: v_dual_fma_f32 v36, v38, v52, -v36
	v_mul_f32_e32 v41, v39, v55
	s_delay_alu instid0(VALU_DEP_2) | instskip(NEXT) | instid1(VALU_DEP_3)
	v_dual_add_f32 v22, v22, v43 :: v_dual_fmac_f32 v37, v39, v52
	v_dual_mul_f32 v42, v38, v55 :: v_dual_add_f32 v40, v40, v36
	s_delay_alu instid0(VALU_DEP_3) | instskip(NEXT) | instid1(VALU_DEP_2)
	v_dual_fma_f32 v36, v38, v54, -v41 :: v_dual_mul_f32 v38, v47, v53
	v_dual_add_f32 v41, v34, v37 :: v_dual_fmac_f32 v42, v39, v54
	s_delay_alu instid0(VALU_DEP_2) | instskip(NEXT) | instid1(VALU_DEP_3)
	v_dual_mul_f32 v34, v46, v53 :: v_dual_add_f32 v28, v28, v36
	v_dual_mul_f32 v37, v47, v55 :: v_dual_fma_f32 v36, v46, v52, -v38
	s_delay_alu instid0(VALU_DEP_3) | instskip(NEXT) | instid1(VALU_DEP_3)
	v_add_f32_e32 v38, v35, v42
	v_dual_fmac_f32 v34, v47, v52 :: v_dual_mul_f32 v39, v46, v55
	s_delay_alu instid0(VALU_DEP_3) | instskip(SKIP_1) | instid1(VALU_DEP_2)
	v_dual_fma_f32 v35, v46, v54, -v37 :: v_dual_add_f32 v24, v24, v36
	s_wait_dscnt 0x0
	v_dual_mul_f32 v36, v49, v31 :: v_dual_add_f32 v26, v26, v34
	s_delay_alu instid0(VALU_DEP_3) | instskip(NEXT) | instid1(VALU_DEP_2)
	v_dual_fmac_f32 v39, v47, v54 :: v_dual_mul_f32 v42, v48, v31
	v_dual_add_f32 v2, v2, v35 :: v_dual_fma_f32 v43, v48, v30, -v36
	v_mul_f32_e32 v44, v49, v33
	ds_load_2addr_b64 v[34:37], v1 offset0:96 offset1:112
	v_dual_fmac_f32 v42, v49, v30 :: v_dual_add_f32 v22, v22, v39
	v_add_f32_e32 v39, v40, v43
	v_dual_fma_f32 v43, v48, v32, -v44 :: v_dual_mul_f32 v40, v48, v33
	s_delay_alu instid0(VALU_DEP_3) | instskip(SKIP_1) | instid1(VALU_DEP_3)
	v_add_f32_e32 v41, v41, v42
	v_dual_mul_f32 v42, v65, v31 :: v_dual_mul_f32 v31, v64, v31
	v_dual_add_f32 v28, v28, v43 :: v_dual_mul_f32 v43, v65, v33
	s_delay_alu instid0(VALU_DEP_2) | instskip(NEXT) | instid1(VALU_DEP_3)
	v_dual_fmac_f32 v40, v49, v32 :: v_dual_fma_f32 v42, v64, v30, -v42
	v_dual_fmac_f32 v31, v65, v30 :: v_dual_mul_f32 v44, v64, v33
	s_delay_alu instid0(VALU_DEP_3) | instskip(NEXT) | instid1(VALU_DEP_3)
	v_fma_f32 v30, v64, v32, -v43
	v_dual_add_f32 v45, v38, v40 :: v_dual_add_f32 v24, v24, v42
	s_delay_alu instid0(VALU_DEP_3) | instskip(SKIP_1) | instid1(VALU_DEP_3)
	v_dual_add_f32 v26, v26, v31 :: v_dual_fmac_f32 v44, v65, v32
	s_wait_dscnt 0x0
	v_dual_mul_f32 v38, v51, v35 :: v_dual_add_f32 v2, v2, v30
	ds_load_2addr_b64 v[30:33], v1 offset0:128 offset1:144
	v_dual_mul_f32 v40, v50, v35 :: v_dual_mul_f32 v42, v51, v37
	v_dual_fma_f32 v38, v50, v34, -v38 :: v_dual_mul_f32 v43, v50, v37
	s_delay_alu instid0(VALU_DEP_2) | instskip(NEXT) | instid1(VALU_DEP_2)
	v_dual_fmac_f32 v40, v51, v34 :: v_dual_add_f32 v22, v22, v44
	v_dual_add_f32 v44, v39, v38 :: v_dual_fma_f32 v42, v50, v36, -v42
	s_delay_alu instid0(VALU_DEP_2) | instskip(NEXT) | instid1(VALU_DEP_4)
	v_dual_mul_f32 v38, v67, v35 :: v_dual_add_f32 v46, v41, v40
	v_dual_fmac_f32 v43, v51, v36 :: v_dual_mul_f32 v35, v66, v35
	s_delay_alu instid0(VALU_DEP_3) | instskip(NEXT) | instid1(VALU_DEP_3)
	v_add_f32_e32 v28, v28, v42
	v_dual_fma_f32 v42, v66, v34, -v38 :: v_dual_mul_f32 v47, v67, v37
	s_delay_alu instid0(VALU_DEP_3)
	v_add_f32_e32 v48, v45, v43
	ds_load_b128 v[38:41], v29 offset:1056
	v_dual_fmac_f32 v35, v67, v34 :: v_dual_mul_f32 v43, v66, v37
	v_dual_fma_f32 v34, v66, v36, -v47 :: v_dual_add_f32 v24, v24, v42
	s_wait_dscnt 0x1
	v_dual_mul_f32 v37, v57, v31 :: v_dual_mul_f32 v47, v56, v31
	s_delay_alu instid0(VALU_DEP_3) | instskip(NEXT) | instid1(VALU_DEP_3)
	v_dual_fmac_f32 v43, v67, v36 :: v_dual_add_f32 v26, v26, v35
	v_add_f32_e32 v2, v2, v34
	s_delay_alu instid0(VALU_DEP_3) | instskip(SKIP_4) | instid1(VALU_DEP_3)
	v_fma_f32 v42, v56, v30, -v37
	ds_load_2addr_b64 v[34:37], v1 offset0:160 offset1:176
	v_dual_mul_f32 v45, v57, v33 :: v_dual_add_f32 v22, v22, v43
	v_dual_fmac_f32 v47, v57, v30 :: v_dual_mul_f32 v50, v56, v33
	v_add_f32_e32 v49, v44, v42
	v_fma_f32 v51, v56, v32, -v45
	ds_load_b128 v[42:45], v29 offset:1072
	v_add_f32_e32 v46, v46, v47
	s_wait_dscnt 0x2
	v_dual_mul_f32 v52, v39, v31 :: v_dual_fmac_f32 v50, v57, v32
	v_mul_f32_e32 v31, v38, v31
	v_dual_add_f32 v28, v28, v51 :: v_dual_mul_f32 v51, v39, v33
	s_delay_alu instid0(VALU_DEP_3) | instskip(NEXT) | instid1(VALU_DEP_4)
	v_fma_f32 v47, v38, v30, -v52
	v_add_f32_e32 v48, v48, v50
	s_delay_alu instid0(VALU_DEP_4) | instskip(NEXT) | instid1(VALU_DEP_3)
	v_dual_fmac_f32 v31, v39, v30 :: v_dual_mul_f32 v50, v38, v33
	v_dual_fma_f32 v30, v38, v32, -v51 :: v_dual_add_f32 v24, v24, v47
	s_wait_dscnt 0x1
	v_dual_mul_f32 v33, v59, v35 :: v_dual_mul_f32 v38, v58, v35
	s_delay_alu instid0(VALU_DEP_3) | instskip(NEXT) | instid1(VALU_DEP_3)
	v_dual_add_f32 v26, v26, v31 :: v_dual_fmac_f32 v50, v39, v32
	v_dual_add_f32 v2, v2, v30 :: v_dual_mul_f32 v47, v59, v37
	s_delay_alu instid0(VALU_DEP_3)
	v_dual_fma_f32 v39, v58, v34, -v33 :: v_dual_fmac_f32 v38, v59, v34
	ds_load_2addr_b64 v[30:33], v1 offset0:192 offset1:208
	v_add_f32_e32 v22, v22, v50
	v_dual_fma_f32 v47, v58, v36, -v47 :: v_dual_add_f32 v49, v49, v39
	v_mul_f32_e32 v39, v58, v37
	v_dual_add_f32 v46, v46, v38 :: v_dual_mul_f32 v38, v41, v35
	v_mul_f32_e32 v35, v40, v35
	s_delay_alu instid0(VALU_DEP_4) | instskip(NEXT) | instid1(VALU_DEP_3)
	v_dual_add_f32 v28, v28, v47 :: v_dual_mul_f32 v47, v41, v37
	v_dual_fmac_f32 v39, v59, v36 :: v_dual_fma_f32 v38, v40, v34, -v38
	s_delay_alu instid0(VALU_DEP_1) | instskip(NEXT) | instid1(VALU_DEP_3)
	v_dual_fmac_f32 v35, v41, v34 :: v_dual_add_f32 v34, v48, v39
	v_dual_mul_f32 v48, v40, v37 :: v_dual_fma_f32 v37, v40, v36, -v47
	s_delay_alu instid0(VALU_DEP_2) | instskip(SKIP_2) | instid1(VALU_DEP_3)
	v_dual_add_f32 v24, v24, v38 :: v_dual_add_f32 v26, v26, v35
	s_wait_dscnt 0x0
	v_mul_f32_e32 v35, v61, v31
	v_dual_fmac_f32 v48, v41, v36 :: v_dual_add_f32 v2, v2, v37
	ds_load_2addr_b64 v[36:39], v1 offset0:224 offset1:240
	v_dual_mul_f32 v40, v60, v31 :: v_dual_fma_f32 v35, v60, v30, -v35
	v_dual_add_f32 v22, v22, v48 :: v_dual_mul_f32 v41, v61, v33
	s_delay_alu instid0(VALU_DEP_2) | instskip(NEXT) | instid1(VALU_DEP_3)
	v_dual_mul_f32 v47, v60, v33 :: v_dual_fmac_f32 v40, v61, v30
	v_add_f32_e32 v35, v49, v35
	s_delay_alu instid0(VALU_DEP_3) | instskip(NEXT) | instid1(VALU_DEP_3)
	v_dual_mul_f32 v48, v43, v31 :: v_dual_fma_f32 v41, v60, v32, -v41
	v_dual_fmac_f32 v47, v61, v32 :: v_dual_mul_f32 v31, v42, v31
	s_delay_alu instid0(VALU_DEP_4) | instskip(NEXT) | instid1(VALU_DEP_3)
	v_add_f32_e32 v40, v46, v40
	v_dual_fma_f32 v46, v42, v30, -v48 :: v_dual_add_f32 v28, v28, v41
	s_delay_alu instid0(VALU_DEP_3) | instskip(NEXT) | instid1(VALU_DEP_4)
	v_dual_mul_f32 v41, v43, v33 :: v_dual_add_f32 v47, v34, v47
	v_dual_fmac_f32 v31, v43, v30 :: v_dual_mul_f32 v30, v42, v33
	s_delay_alu instid0(VALU_DEP_2) | instskip(SKIP_2) | instid1(VALU_DEP_3)
	v_dual_add_f32 v24, v24, v46 :: v_dual_fma_f32 v33, v42, v32, -v41
	s_wait_dscnt 0x0
	v_dual_mul_f32 v34, v63, v37 :: v_dual_mul_f32 v41, v62, v37
	v_dual_add_f32 v26, v26, v31 :: v_dual_fmac_f32 v30, v43, v32
	s_delay_alu instid0(VALU_DEP_3) | instskip(NEXT) | instid1(VALU_DEP_3)
	v_add_f32_e32 v2, v2, v33
	v_dual_fma_f32 v31, v62, v36, -v34 :: v_dual_mul_f32 v33, v63, v39
	s_delay_alu instid0(VALU_DEP_4) | instskip(NEXT) | instid1(VALU_DEP_2)
	v_dual_fmac_f32 v41, v63, v36 :: v_dual_mul_f32 v42, v62, v39
	v_dual_add_f32 v22, v22, v30 :: v_dual_add_f32 v32, v35, v31
	v_mul_f32_e32 v31, v45, v37
	s_delay_alu instid0(VALU_DEP_3) | instskip(NEXT) | instid1(VALU_DEP_4)
	v_dual_add_f32 v34, v40, v41 :: v_dual_fma_f32 v30, v62, v38, -v33
	v_dual_fmac_f32 v42, v63, v38 :: v_dual_mul_f32 v33, v44, v37
	v_dual_mul_f32 v35, v45, v39 :: v_dual_mul_f32 v37, v44, v39
	s_delay_alu instid0(VALU_DEP_3) | instskip(NEXT) | instid1(VALU_DEP_3)
	v_add_f32_e32 v28, v28, v30
	v_dual_fma_f32 v31, v44, v36, -v31 :: v_dual_fmac_f32 v33, v45, v36
	s_delay_alu instid0(VALU_DEP_3) | instskip(NEXT) | instid1(VALU_DEP_2)
	v_dual_fma_f32 v35, v44, v38, -v35 :: v_dual_fmac_f32 v37, v45, v38
	v_dual_add_f32 v30, v47, v42 :: v_dual_add_f32 v24, v24, v31
	s_delay_alu instid0(VALU_DEP_3) | instskip(NEXT) | instid1(VALU_DEP_3)
	v_add_f32_e32 v26, v26, v33
	v_add_f32_e32 v2, v2, v35
	s_delay_alu instid0(VALU_DEP_4)
	v_add_f32_e32 v22, v22, v37
	s_barrier_signal -1
	s_barrier_wait -1
	s_cbranch_scc0 .LBB364_13
.LBB364_9:                              ;   Parent Loop BB364_6 Depth=1
                                        ; =>  This Inner Loop Header: Depth=2
	v_dual_mov_b32 v36, 0 :: v_dual_add_nc_u32 v31, s26, v23
	v_mov_b32_e32 v37, 0
	s_delay_alu instid0(VALU_DEP_2) | instskip(SKIP_1) | instid1(SALU_CYCLE_1)
	v_cmp_gt_i32_e32 vcc_lo, s23, v31
	s_and_b32 s28, s0, vcc_lo
	s_and_saveexec_b32 s27, s28
	s_cbranch_execz .LBB364_11
; %bb.10:                               ;   in Loop: Header=BB364_9 Depth=2
	flat_load_b64 v[36:37], v[18:19]
.LBB364_11:                             ;   in Loop: Header=BB364_9 Depth=2
	s_wait_xcnt 0x0
	s_or_b32 exec_lo, exec_lo, s27
	v_dual_mov_b32 v38, 0 :: v_dual_add_nc_u32 v31, s26, v0
	v_mov_b32_e32 v39, 0
	s_wait_loadcnt_dscnt 0x0
	ds_store_b64 v25, v[36:37]
	v_cmp_gt_i32_e32 vcc_lo, s23, v31
	s_and_b32 s28, vcc_lo, s1
	s_delay_alu instid0(SALU_CYCLE_1)
	s_and_saveexec_b32 s27, s28
	s_cbranch_execz .LBB364_8
; %bb.12:                               ;   in Loop: Header=BB364_9 Depth=2
	flat_load_b64 v[38:39], v[20:21]
	s_branch .LBB364_8
.LBB364_13:                             ;   in Loop: Header=BB364_6 Depth=1
	s_wait_loadcnt 0x0
	v_add_nc_u64_e32 v[16:17], s[12:13], v[16:17]
	s_delay_alu instid0(VALU_DEP_1)
	v_lshl_add_u64 v[18:19], v[6:7], 3, v[16:17]
	s_and_saveexec_b32 s26, s30
	s_cbranch_execz .LBB364_18
; %bb.14:                               ;   in Loop: Header=BB364_6 Depth=1
	v_mov_b64_e32 v[20:21], s[4:5]
	v_mov_b64_e32 v[36:37], s[14:15]
	s_and_b32 vcc_lo, exec_lo, s18
	s_mov_b32 s27, -1
	s_delay_alu instid0(VALU_DEP_2) | instskip(NEXT) | instid1(VALU_DEP_1)
	v_pk_mul_f32 v[20:21], v[34:35], v[20:21] op_sel_hi:[0,1]
	v_pk_fma_f32 v[34:35], v[32:33], v[36:37], v[20:21] op_sel_hi:[0,1,1]
	v_pk_fma_f32 v[20:21], v[32:33], v[36:37], v[20:21] neg_lo:[0,0,1] neg_hi:[0,0,1]
	v_lshl_add_u64 v[32:33], v[4:5], 3, v[18:19]
	s_delay_alu instid0(VALU_DEP_3)
	v_mov_b32_e32 v21, v35
	s_cbranch_vccz .LBB364_16
; %bb.15:                               ;   in Loop: Header=BB364_6 Depth=1
	flat_load_b64 v[34:35], v[32:33]
	v_mov_b64_e32 v[36:37], s[20:21]
	v_mov_b64_e32 v[38:39], s[2:3]
	s_mov_b32 s27, 0
	s_wait_loadcnt_dscnt 0x0
	s_delay_alu instid0(VALU_DEP_2) | instskip(NEXT) | instid1(VALU_DEP_1)
	v_pk_mul_f32 v[36:37], v[34:35], v[36:37]
	v_pk_fma_f32 v[40:41], v[34:35], v[38:39], v[36:37] op_sel:[0,0,1] op_sel_hi:[1,1,0]
	v_pk_fma_f32 v[34:35], v[34:35], v[38:39], v[36:37] op_sel:[0,0,1] op_sel_hi:[1,1,0] neg_lo:[0,0,1] neg_hi:[0,0,1]
	s_delay_alu instid0(VALU_DEP_2) | instskip(NEXT) | instid1(VALU_DEP_1)
	v_mov_b32_e32 v35, v41
	v_pk_add_f32 v[34:35], v[20:21], v[34:35]
	flat_store_b64 v[32:33], v[34:35]
.LBB364_16:                             ;   in Loop: Header=BB364_6 Depth=1
	s_and_not1_b32 vcc_lo, exec_lo, s27
	s_cbranch_vccnz .LBB364_18
; %bb.17:                               ;   in Loop: Header=BB364_6 Depth=1
	flat_store_b64 v[32:33], v[20:21]
.LBB364_18:                             ;   in Loop: Header=BB364_6 Depth=1
	s_wait_xcnt 0x0
	s_or_b32 exec_lo, exec_lo, s26
	s_and_saveexec_b32 s26, s22
	s_cbranch_execz .LBB364_23
; %bb.19:                               ;   in Loop: Header=BB364_6 Depth=1
	v_mov_b64_e32 v[20:21], s[4:5]
	v_mov_b64_e32 v[32:33], s[14:15]
	v_lshl_add_u64 v[18:19], v[10:11], 3, v[18:19]
	s_and_not1_b32 vcc_lo, exec_lo, s18
	s_mov_b32 s27, -1
	s_delay_alu instid0(VALU_DEP_3) | instskip(NEXT) | instid1(VALU_DEP_1)
	v_pk_mul_f32 v[20:21], v[30:31], v[20:21] op_sel_hi:[0,1]
	v_pk_fma_f32 v[30:31], v[28:29], v[32:33], v[20:21] op_sel_hi:[0,1,1]
	v_pk_fma_f32 v[20:21], v[28:29], v[32:33], v[20:21] neg_lo:[0,0,1] neg_hi:[0,0,1]
	s_delay_alu instid0(VALU_DEP_2)
	v_mov_b32_e32 v21, v31
	s_cbranch_vccnz .LBB364_21
; %bb.20:                               ;   in Loop: Header=BB364_6 Depth=1
	flat_load_b64 v[30:31], v[18:19]
	v_mov_b64_e32 v[32:33], s[20:21]
	v_mov_b64_e32 v[34:35], s[2:3]
	s_mov_b32 s27, 0
	s_wait_loadcnt_dscnt 0x0
	s_delay_alu instid0(VALU_DEP_2) | instskip(NEXT) | instid1(VALU_DEP_1)
	v_pk_mul_f32 v[32:33], v[30:31], v[32:33]
	v_pk_fma_f32 v[36:37], v[30:31], v[34:35], v[32:33] op_sel:[0,0,1] op_sel_hi:[1,1,0]
	v_pk_fma_f32 v[30:31], v[30:31], v[34:35], v[32:33] op_sel:[0,0,1] op_sel_hi:[1,1,0] neg_lo:[0,0,1] neg_hi:[0,0,1]
	s_delay_alu instid0(VALU_DEP_2) | instskip(NEXT) | instid1(VALU_DEP_1)
	v_mov_b32_e32 v31, v37
	v_pk_add_f32 v[30:31], v[20:21], v[30:31]
	flat_store_b64 v[18:19], v[30:31]
.LBB364_21:                             ;   in Loop: Header=BB364_6 Depth=1
	s_and_not1_b32 vcc_lo, exec_lo, s27
	s_cbranch_vccnz .LBB364_23
; %bb.22:                               ;   in Loop: Header=BB364_6 Depth=1
	flat_store_b64 v[18:19], v[20:21]
.LBB364_23:                             ;   in Loop: Header=BB364_6 Depth=1
	s_wait_xcnt 0x0
	s_or_b32 exec_lo, exec_lo, s26
	v_lshl_add_u64 v[16:17], v[8:9], 3, v[16:17]
	s_and_saveexec_b32 s26, s31
	s_cbranch_execz .LBB364_28
; %bb.24:                               ;   in Loop: Header=BB364_6 Depth=1
	v_mov_b64_e32 v[18:19], s[4:5]
	v_mov_b64_e32 v[20:21], s[14:15]
	s_and_not1_b32 vcc_lo, exec_lo, s18
	s_mov_b32 s27, -1
	s_delay_alu instid0(VALU_DEP_2) | instskip(NEXT) | instid1(VALU_DEP_1)
	v_pk_mul_f32 v[18:19], v[26:27], v[18:19] op_sel_hi:[0,1]
	v_pk_fma_f32 v[30:31], v[24:25], v[20:21], v[18:19] op_sel_hi:[0,1,1]
	v_pk_fma_f32 v[18:19], v[24:25], v[20:21], v[18:19] neg_lo:[0,0,1] neg_hi:[0,0,1]
	v_lshl_add_u64 v[20:21], v[4:5], 3, v[16:17]
	s_delay_alu instid0(VALU_DEP_3)
	v_mov_b32_e32 v19, v31
	s_cbranch_vccnz .LBB364_26
; %bb.25:                               ;   in Loop: Header=BB364_6 Depth=1
	flat_load_b64 v[30:31], v[20:21]
	v_mov_b64_e32 v[32:33], s[20:21]
	v_mov_b64_e32 v[34:35], s[2:3]
	s_mov_b32 s27, 0
	s_wait_loadcnt_dscnt 0x0
	s_delay_alu instid0(VALU_DEP_2) | instskip(NEXT) | instid1(VALU_DEP_1)
	v_pk_mul_f32 v[32:33], v[30:31], v[32:33]
	v_pk_fma_f32 v[36:37], v[30:31], v[34:35], v[32:33] op_sel:[0,0,1] op_sel_hi:[1,1,0]
	v_pk_fma_f32 v[30:31], v[30:31], v[34:35], v[32:33] op_sel:[0,0,1] op_sel_hi:[1,1,0] neg_lo:[0,0,1] neg_hi:[0,0,1]
	s_delay_alu instid0(VALU_DEP_2) | instskip(NEXT) | instid1(VALU_DEP_1)
	v_mov_b32_e32 v31, v37
	v_pk_add_f32 v[30:31], v[18:19], v[30:31]
	flat_store_b64 v[20:21], v[30:31]
.LBB364_26:                             ;   in Loop: Header=BB364_6 Depth=1
	s_and_not1_b32 vcc_lo, exec_lo, s27
	s_cbranch_vccnz .LBB364_28
; %bb.27:                               ;   in Loop: Header=BB364_6 Depth=1
	flat_store_b64 v[20:21], v[18:19]
.LBB364_28:                             ;   in Loop: Header=BB364_6 Depth=1
	s_wait_xcnt 0x0
	s_or_b32 exec_lo, exec_lo, s26
	s_and_saveexec_b32 s26, s33
	s_cbranch_execz .LBB364_5
; %bb.29:                               ;   in Loop: Header=BB364_6 Depth=1
	v_mov_b64_e32 v[18:19], s[4:5]
	v_mov_b64_e32 v[20:21], s[14:15]
	v_lshl_add_u64 v[16:17], v[10:11], 3, v[16:17]
	s_and_not1_b32 vcc_lo, exec_lo, s18
	s_mov_b32 s27, -1
	s_delay_alu instid0(VALU_DEP_3) | instskip(NEXT) | instid1(VALU_DEP_1)
	v_pk_mul_f32 v[18:19], v[22:23], v[18:19] op_sel_hi:[0,1]
	v_pk_fma_f32 v[30:31], v[2:3], v[20:21], v[18:19] op_sel_hi:[0,1,1]
	v_pk_fma_f32 v[18:19], v[2:3], v[20:21], v[18:19] neg_lo:[0,0,1] neg_hi:[0,0,1]
	s_delay_alu instid0(VALU_DEP_2)
	v_mov_b32_e32 v19, v31
	s_cbranch_vccnz .LBB364_31
; %bb.30:                               ;   in Loop: Header=BB364_6 Depth=1
	flat_load_b64 v[20:21], v[16:17]
	v_mov_b64_e32 v[30:31], s[20:21]
	v_mov_b64_e32 v[32:33], s[2:3]
	s_mov_b32 s27, 0
	s_wait_loadcnt_dscnt 0x0
	s_delay_alu instid0(VALU_DEP_2) | instskip(NEXT) | instid1(VALU_DEP_1)
	v_pk_mul_f32 v[30:31], v[20:21], v[30:31]
	v_pk_fma_f32 v[34:35], v[20:21], v[32:33], v[30:31] op_sel:[0,0,1] op_sel_hi:[1,1,0]
	v_pk_fma_f32 v[20:21], v[20:21], v[32:33], v[30:31] op_sel:[0,0,1] op_sel_hi:[1,1,0] neg_lo:[0,0,1] neg_hi:[0,0,1]
	s_delay_alu instid0(VALU_DEP_2) | instskip(NEXT) | instid1(VALU_DEP_1)
	v_mov_b32_e32 v21, v35
	v_pk_add_f32 v[20:21], v[18:19], v[20:21]
	flat_store_b64 v[16:17], v[20:21]
.LBB364_31:                             ;   in Loop: Header=BB364_6 Depth=1
	s_and_not1_b32 vcc_lo, exec_lo, s27
	s_cbranch_vccnz .LBB364_5
; %bb.32:                               ;   in Loop: Header=BB364_6 Depth=1
	flat_store_b64 v[16:17], v[18:19]
	s_branch .LBB364_5
.LBB364_33:
	s_sendmsg sendmsg(MSG_DEALLOC_VGPRS)
	s_endpgm
	.section	.rodata,"a",@progbits
	.p2align	6, 0x0
	.amdhsa_kernel _ZL29rocblas_internal_gemmt_kernelIiLi16ELi32ELi8ELc84ELc84ELc85ELb0ELb0E19rocblas_complex_numIfEPKS1_PKS3_PKPS1_EviT_T9_T10_S9_lSB_S9_lSA_T11_S9_li
		.amdhsa_group_segment_fixed_size 4096
		.amdhsa_private_segment_fixed_size 0
		.amdhsa_kernarg_size 100
		.amdhsa_user_sgpr_count 2
		.amdhsa_user_sgpr_dispatch_ptr 0
		.amdhsa_user_sgpr_queue_ptr 0
		.amdhsa_user_sgpr_kernarg_segment_ptr 1
		.amdhsa_user_sgpr_dispatch_id 0
		.amdhsa_user_sgpr_kernarg_preload_length 0
		.amdhsa_user_sgpr_kernarg_preload_offset 0
		.amdhsa_user_sgpr_private_segment_size 0
		.amdhsa_wavefront_size32 1
		.amdhsa_uses_dynamic_stack 0
		.amdhsa_enable_private_segment 0
		.amdhsa_system_sgpr_workgroup_id_x 1
		.amdhsa_system_sgpr_workgroup_id_y 1
		.amdhsa_system_sgpr_workgroup_id_z 1
		.amdhsa_system_sgpr_workgroup_info 0
		.amdhsa_system_vgpr_workitem_id 1
		.amdhsa_next_free_vgpr 71
		.amdhsa_next_free_sgpr 36
		.amdhsa_named_barrier_count 0
		.amdhsa_reserve_vcc 1
		.amdhsa_float_round_mode_32 0
		.amdhsa_float_round_mode_16_64 0
		.amdhsa_float_denorm_mode_32 3
		.amdhsa_float_denorm_mode_16_64 3
		.amdhsa_fp16_overflow 0
		.amdhsa_memory_ordered 1
		.amdhsa_forward_progress 1
		.amdhsa_inst_pref_size 26
		.amdhsa_round_robin_scheduling 0
		.amdhsa_exception_fp_ieee_invalid_op 0
		.amdhsa_exception_fp_denorm_src 0
		.amdhsa_exception_fp_ieee_div_zero 0
		.amdhsa_exception_fp_ieee_overflow 0
		.amdhsa_exception_fp_ieee_underflow 0
		.amdhsa_exception_fp_ieee_inexact 0
		.amdhsa_exception_int_div_zero 0
	.end_amdhsa_kernel
	.section	.text._ZL29rocblas_internal_gemmt_kernelIiLi16ELi32ELi8ELc84ELc84ELc85ELb0ELb0E19rocblas_complex_numIfEPKS1_PKS3_PKPS1_EviT_T9_T10_S9_lSB_S9_lSA_T11_S9_li,"axG",@progbits,_ZL29rocblas_internal_gemmt_kernelIiLi16ELi32ELi8ELc84ELc84ELc85ELb0ELb0E19rocblas_complex_numIfEPKS1_PKS3_PKPS1_EviT_T9_T10_S9_lSB_S9_lSA_T11_S9_li,comdat
.Lfunc_end364:
	.size	_ZL29rocblas_internal_gemmt_kernelIiLi16ELi32ELi8ELc84ELc84ELc85ELb0ELb0E19rocblas_complex_numIfEPKS1_PKS3_PKPS1_EviT_T9_T10_S9_lSB_S9_lSA_T11_S9_li, .Lfunc_end364-_ZL29rocblas_internal_gemmt_kernelIiLi16ELi32ELi8ELc84ELc84ELc85ELb0ELb0E19rocblas_complex_numIfEPKS1_PKS3_PKPS1_EviT_T9_T10_S9_lSB_S9_lSA_T11_S9_li
                                        ; -- End function
	.set _ZL29rocblas_internal_gemmt_kernelIiLi16ELi32ELi8ELc84ELc84ELc85ELb0ELb0E19rocblas_complex_numIfEPKS1_PKS3_PKPS1_EviT_T9_T10_S9_lSB_S9_lSA_T11_S9_li.num_vgpr, 71
	.set _ZL29rocblas_internal_gemmt_kernelIiLi16ELi32ELi8ELc84ELc84ELc85ELb0ELb0E19rocblas_complex_numIfEPKS1_PKS3_PKPS1_EviT_T9_T10_S9_lSB_S9_lSA_T11_S9_li.num_agpr, 0
	.set _ZL29rocblas_internal_gemmt_kernelIiLi16ELi32ELi8ELc84ELc84ELc85ELb0ELb0E19rocblas_complex_numIfEPKS1_PKS3_PKPS1_EviT_T9_T10_S9_lSB_S9_lSA_T11_S9_li.numbered_sgpr, 36
	.set _ZL29rocblas_internal_gemmt_kernelIiLi16ELi32ELi8ELc84ELc84ELc85ELb0ELb0E19rocblas_complex_numIfEPKS1_PKS3_PKPS1_EviT_T9_T10_S9_lSB_S9_lSA_T11_S9_li.num_named_barrier, 0
	.set _ZL29rocblas_internal_gemmt_kernelIiLi16ELi32ELi8ELc84ELc84ELc85ELb0ELb0E19rocblas_complex_numIfEPKS1_PKS3_PKPS1_EviT_T9_T10_S9_lSB_S9_lSA_T11_S9_li.private_seg_size, 0
	.set _ZL29rocblas_internal_gemmt_kernelIiLi16ELi32ELi8ELc84ELc84ELc85ELb0ELb0E19rocblas_complex_numIfEPKS1_PKS3_PKPS1_EviT_T9_T10_S9_lSB_S9_lSA_T11_S9_li.uses_vcc, 1
	.set _ZL29rocblas_internal_gemmt_kernelIiLi16ELi32ELi8ELc84ELc84ELc85ELb0ELb0E19rocblas_complex_numIfEPKS1_PKS3_PKPS1_EviT_T9_T10_S9_lSB_S9_lSA_T11_S9_li.uses_flat_scratch, 0
	.set _ZL29rocblas_internal_gemmt_kernelIiLi16ELi32ELi8ELc84ELc84ELc85ELb0ELb0E19rocblas_complex_numIfEPKS1_PKS3_PKPS1_EviT_T9_T10_S9_lSB_S9_lSA_T11_S9_li.has_dyn_sized_stack, 0
	.set _ZL29rocblas_internal_gemmt_kernelIiLi16ELi32ELi8ELc84ELc84ELc85ELb0ELb0E19rocblas_complex_numIfEPKS1_PKS3_PKPS1_EviT_T9_T10_S9_lSB_S9_lSA_T11_S9_li.has_recursion, 0
	.set _ZL29rocblas_internal_gemmt_kernelIiLi16ELi32ELi8ELc84ELc84ELc85ELb0ELb0E19rocblas_complex_numIfEPKS1_PKS3_PKPS1_EviT_T9_T10_S9_lSB_S9_lSA_T11_S9_li.has_indirect_call, 0
	.section	.AMDGPU.csdata,"",@progbits
; Kernel info:
; codeLenInByte = 3272
; TotalNumSgprs: 38
; NumVgprs: 71
; ScratchSize: 0
; MemoryBound: 0
; FloatMode: 240
; IeeeMode: 1
; LDSByteSize: 4096 bytes/workgroup (compile time only)
; SGPRBlocks: 0
; VGPRBlocks: 4
; NumSGPRsForWavesPerEU: 38
; NumVGPRsForWavesPerEU: 71
; NamedBarCnt: 0
; Occupancy: 12
; WaveLimiterHint : 1
; COMPUTE_PGM_RSRC2:SCRATCH_EN: 0
; COMPUTE_PGM_RSRC2:USER_SGPR: 2
; COMPUTE_PGM_RSRC2:TRAP_HANDLER: 0
; COMPUTE_PGM_RSRC2:TGID_X_EN: 1
; COMPUTE_PGM_RSRC2:TGID_Y_EN: 1
; COMPUTE_PGM_RSRC2:TGID_Z_EN: 1
; COMPUTE_PGM_RSRC2:TIDIG_COMP_CNT: 1
	.section	.text._ZL29rocblas_internal_gemmt_kernelIiLi16ELi32ELi8ELc84ELc67ELc85ELb0ELb1E19rocblas_complex_numIfEPKS1_PKS3_PKPS1_EviT_T9_T10_S9_lSB_S9_lSA_T11_S9_li,"axG",@progbits,_ZL29rocblas_internal_gemmt_kernelIiLi16ELi32ELi8ELc84ELc67ELc85ELb0ELb1E19rocblas_complex_numIfEPKS1_PKS3_PKPS1_EviT_T9_T10_S9_lSB_S9_lSA_T11_S9_li,comdat
	.globl	_ZL29rocblas_internal_gemmt_kernelIiLi16ELi32ELi8ELc84ELc67ELc85ELb0ELb1E19rocblas_complex_numIfEPKS1_PKS3_PKPS1_EviT_T9_T10_S9_lSB_S9_lSA_T11_S9_li ; -- Begin function _ZL29rocblas_internal_gemmt_kernelIiLi16ELi32ELi8ELc84ELc67ELc85ELb0ELb1E19rocblas_complex_numIfEPKS1_PKS3_PKPS1_EviT_T9_T10_S9_lSB_S9_lSA_T11_S9_li
	.p2align	8
	.type	_ZL29rocblas_internal_gemmt_kernelIiLi16ELi32ELi8ELc84ELc67ELc85ELb0ELb1E19rocblas_complex_numIfEPKS1_PKS3_PKPS1_EviT_T9_T10_S9_lSB_S9_lSA_T11_S9_li,@function
_ZL29rocblas_internal_gemmt_kernelIiLi16ELi32ELi8ELc84ELc67ELc85ELb0ELb1E19rocblas_complex_numIfEPKS1_PKS3_PKPS1_EviT_T9_T10_S9_lSB_S9_lSA_T11_S9_li: ; @_ZL29rocblas_internal_gemmt_kernelIiLi16ELi32ELi8ELc84ELc67ELc85ELb0ELb1E19rocblas_complex_numIfEPKS1_PKS3_PKPS1_EviT_T9_T10_S9_lSB_S9_lSA_T11_S9_li
; %bb.0:
	s_load_b128 s[12:15], s[0:1], 0x38
	s_wait_kmcnt 0x0
	s_load_b64 s[20:21], s[14:15], 0x0
	s_clause 0x1
	s_load_b128 s[4:7], s[0:1], 0x8
	s_load_b64 s[22:23], s[0:1], 0x0
	s_wait_kmcnt 0x0
	s_cmp_neq_f32 s20, 1.0
	s_load_b64 s[14:15], s[4:5], 0x0
	s_cselect_b32 s2, -1, 0
	s_and_b32 s3, s21, 0x7fffffff
	s_delay_alu instid0(SALU_CYCLE_1) | instskip(SKIP_3) | instid1(SALU_CYCLE_1)
	s_cmp_eq_u32 s3, 0
	s_cselect_b32 s30, -1, 0
	s_cmp_lg_u32 s3, 0
	s_cselect_b32 s3, -1, 0
	s_or_b32 s2, s2, s3
	s_delay_alu instid0(SALU_CYCLE_1)
	s_and_b32 vcc_lo, exec_lo, s2
	s_cbranch_vccnz .LBB365_2
; %bb.1:
	s_cmp_lg_u32 s23, 0
	s_cselect_b32 s2, -1, 0
	s_wait_kmcnt 0x0
	s_cmp_neq_f32 s14, 0
	s_cselect_b32 s3, -1, 0
	s_cmp_neq_f32 s15, 0
	s_cselect_b32 s4, -1, 0
	s_delay_alu instid0(SALU_CYCLE_1) | instskip(NEXT) | instid1(SALU_CYCLE_1)
	s_or_b32 s3, s3, s4
	s_and_b32 s2, s2, s3
.LBB365_2:
	s_delay_alu instid0(SALU_CYCLE_1)
	s_and_not1_b32 vcc_lo, exec_lo, s2
	s_cbranch_vccnz .LBB365_35
; %bb.3:
	s_load_b32 s19, s[0:1], 0x60
	s_bfe_u32 s2, ttmp6, 0x40014
	s_lshr_b32 s3, ttmp7, 16
	s_add_co_i32 s2, s2, 1
	s_wait_xcnt 0x0
	s_bfe_u32 s5, ttmp6, 0x40008
	s_mul_i32 s2, s3, s2
	s_getreg_b32 s4, hwreg(HW_REG_IB_STS2, 6, 4)
	s_add_co_i32 s5, s5, s2
	s_cmp_eq_u32 s4, 0
	s_mov_b32 s25, 0
	s_cselect_b32 s24, s3, s5
	s_wait_kmcnt 0x0
	s_cmp_ge_u32 s24, s19
	s_cbranch_scc1 .LBB365_35
; %bb.4:
	s_clause 0x4
	s_load_b32 s2, s[0:1], 0x18
	s_load_b32 s26, s[0:1], 0x30
	s_load_b96 s[16:18], s[0:1], 0x48
	s_load_b128 s[8:11], s[0:1], 0x20
	s_load_b64 s[28:29], s[0:1], 0x58
	s_wait_xcnt 0x0
	s_bfe_u32 s1, ttmp6, 0x4000c
	s_bfe_u32 s3, ttmp6, 0x40010
	v_and_b32_e32 v2, 0x3ff, v0
	v_bfe_u32 v9, v0, 10, 10
	s_and_b32 s31, ttmp7, 0xffff
	s_add_co_i32 s1, s1, 1
	s_add_co_i32 s3, s3, 1
	s_and_b32 s0, ttmp6, 15
	s_bfe_u32 s5, ttmp6, 0x40004
	s_mul_i32 s1, ttmp9, s1
	s_mul_i32 s3, s31, s3
	s_add_co_i32 s0, s0, s1
	s_add_co_i32 s1, s5, s3
	v_lshl_add_u32 v1, v9, 4, v2
	v_mov_b32_e32 v3, 0
	s_wait_kmcnt 0x0
	s_ashr_i32 s3, s2, 31
	s_ashr_i32 s27, s26, 31
	;; [unrolled: 1-line block ×3, first 2 shown]
	s_cmp_eq_u32 s4, 0
	v_dual_lshrrev_b32 v23, 5, v1 :: v_dual_lshrrev_b32 v5, 3, v1
	s_cselect_b32 s1, s31, s1
	s_cselect_b32 s0, ttmp9, s0
	s_lshl_b32 s1, s1, 5
	v_and_b32_e32 v1, 31, v1
	v_dual_add_nc_u32 v12, s1, v5 :: v_dual_bitop2_b32 v0, 7, v0 bitop3:0x40
	s_lshl_b32 s31, s0, 5
	s_cmp_neq_f32 s14, 0
	s_delay_alu instid0(VALU_DEP_1) | instskip(SKIP_3) | instid1(VALU_DEP_3)
	v_dual_lshlrev_b32 v6, 3, v0 :: v_dual_bitop2_b32 v4, s31, v1 bitop3:0x54
	v_dual_lshlrev_b32 v7, 3, v1 :: v_dual_mov_b32 v1, v3
	v_add_nc_u32_e32 v16, s1, v9
	s_cselect_b32 s0, -1, 0
	v_lshl_or_b32 v6, v5, 6, v6
	v_ashrrev_i32_e32 v5, 31, v4
	v_mul_u64_e32 v[14:15], s[26:27], v[0:1]
	s_cmp_neq_f32 s15, 0
	v_add_nc_u32_e32 v20, 16, v16
	s_mov_b32 s4, s18
	v_mul_u64_e32 v[18:19], s[2:3], v[4:5]
	s_cselect_b32 s18, -1, 0
	v_ashrrev_i32_e32 v17, 31, v16
	s_or_b32 s33, s0, s18
	v_cmp_gt_i32_e64 s0, s22, v4
	v_dual_add_nc_u32 v4, s31, v2 :: v_dual_ashrrev_i32 v21, 31, v20
	v_lshl_or_b32 v25, v23, 8, v7
	v_add_nc_u32_e32 v1, 0x800, v6
	v_dual_ashrrev_i32 v13, 31, v12 :: v_dual_lshlrev_b32 v27, 3, v2
	s_delay_alu instid0(VALU_DEP_4)
	v_mul_u64_e32 v[10:11], s[4:5], v[20:21]
	v_lshlrev_b32_e32 v2, 3, v23
	v_mul_u64_e32 v[6:7], s[4:5], v[16:17]
	s_cmp_gt_i32 s23, 0
	v_dual_add_nc_u32 v8, 16, v4 :: v_dual_ashrrev_i32 v5, 31, v4
	s_cselect_b32 s34, -1, 0
	s_cmp_neq_f32 s20, 0
	v_cmp_le_i32_e64 s4, v4, v20
	s_delay_alu instid0(VALU_DEP_2)
	v_cmp_le_i32_e64 s5, v8, v20
	v_cmp_gt_i32_e32 vcc_lo, s22, v12
	s_cselect_b32 s3, -1, 0
	s_xor_b32 s18, s30, -1
	v_cmp_gt_i32_e64 s1, s22, v16
	s_or_b32 s18, s3, s18
	v_cmp_gt_i32_e64 s3, s22, v20
	v_cmp_le_i32_e64 s2, v4, v16
	v_lshl_add_u32 v29, v9, 6, 0x800
	v_ashrrev_i32_e32 v9, 31, v8
	s_and_b32 s33, s33, s34
	s_and_b32 s22, s3, s4
	;; [unrolled: 1-line block ×3, first 2 shown]
	s_lshl_b64 s[4:5], s[12:13], 3
	s_and_b32 s30, s1, s2
	v_lshl_add_u64 v[14:15], v[14:15], 3, s[4:5]
	s_lshl_b64 s[4:5], s[8:9], 3
	v_cmp_le_i32_e64 s2, v8, v16
	v_lshl_add_u64 v[16:17], v[18:19], 3, s[4:5]
	s_mov_b32 s3, s20
	v_lshl_add_u64 v[12:13], v[12:13], 3, v[14:15]
	s_mov_b32 s4, s15
	s_and_b32 s1, s1, s2
	v_add_nc_u64_e32 v[14:15], v[16:17], v[2:3]
	s_mov_b32 s2, s20
	v_or_b32_e32 v12, 4, v12
	s_mov_b32 s20, s21
	s_mov_b32 s5, s14
	s_lshl_b64 s[8:9], s[26:27], 6
	s_xor_b32 s26, vcc_lo, -1
	s_lshl_b64 s[12:13], s[28:29], 3
	s_branch .LBB365_6
.LBB365_5:                              ;   in Loop: Header=BB365_6 Depth=1
	s_wait_xcnt 0x0
	s_or_b32 exec_lo, exec_lo, s27
	s_add_co_i32 s24, s24, 0x10000
	s_delay_alu instid0(SALU_CYCLE_1)
	s_cmp_lt_u32 s24, s19
	s_cbranch_scc0 .LBB365_35
.LBB365_6:                              ; =>This Loop Header: Depth=1
                                        ;     Child Loop BB365_9 Depth 2
	v_dual_mov_b32 v2, s24 :: v_dual_mov_b32 v32, 0
	v_dual_mov_b32 v34, 0 :: v_dual_mov_b32 v28, 0
	;; [unrolled: 1-line block ×3, first 2 shown]
	global_load_b64 v[16:17], v2, s[16:17] scale_offset
	s_wait_xcnt 0x0
	v_dual_mov_b32 v26, 0 :: v_dual_mov_b32 v2, 0
	v_mov_b32_e32 v22, 0
	s_and_not1_b32 vcc_lo, exec_lo, s33
	s_cbranch_vccnz .LBB365_15
; %bb.7:                                ;   in Loop: Header=BB365_6 Depth=1
	s_lshl_b64 s[28:29], s[24:25], 3
	v_dual_mov_b32 v22, 0 :: v_dual_mov_b32 v2, 0
	s_add_nc_u64 s[34:35], s[6:7], s[28:29]
	s_add_nc_u64 s[28:29], s[10:11], s[28:29]
	s_clause 0x1
	global_load_b64 v[18:19], v3, s[34:35]
	global_load_b64 v[20:21], v3, s[28:29]
	v_dual_mov_b32 v26, 0 :: v_dual_mov_b32 v24, 0
	v_dual_mov_b32 v30, 0 :: v_dual_mov_b32 v28, 0
	;; [unrolled: 1-line block ×3, first 2 shown]
	s_mov_b32 s27, 0
	s_wait_loadcnt 0x1
	v_add_nc_u64_e32 v[18:19], v[18:19], v[14:15]
	s_wait_loadcnt 0x0
	v_add_nc_u64_e32 v[20:21], v[20:21], v[12:13]
	s_branch .LBB365_9
.LBB365_8:                              ;   in Loop: Header=BB365_9 Depth=2
	s_wait_xcnt 0x0
	s_or_b32 exec_lo, exec_lo, s28
	ds_store_b32 v1, v31 offset:4
	s_wait_dscnt 0x0
	s_barrier_signal -1
	s_barrier_wait -1
	ds_load_b128 v[36:39], v29
	ds_load_2addr_b64 v[40:43], v27 offset1:16
	ds_load_b128 v[44:47], v29 offset:1024
	ds_load_b128 v[48:51], v29 offset:16
	ds_load_2addr_b64 v[52:55], v27 offset0:32 offset1:48
	ds_load_b128 v[56:59], v29 offset:32
	ds_load_b128 v[60:63], v29 offset:48
	;; [unrolled: 1-line block ×3, first 2 shown]
	v_add_nc_u64_e32 v[18:19], 64, v[18:19]
	v_add_nc_u64_e32 v[20:21], s[8:9], v[20:21]
	s_add_co_i32 s27, s27, 8
	s_delay_alu instid0(SALU_CYCLE_1)
	s_cmp_lt_i32 s27, s23
	s_wait_dscnt 0x6
	v_dual_mul_f32 v31, v37, v41 :: v_dual_mul_f32 v33, v36, v41
	v_dual_mul_f32 v35, v37, v43 :: v_dual_mul_f32 v68, v36, v43
	s_wait_dscnt 0x5
	v_dual_mul_f32 v69, v45, v41 :: v_dual_mul_f32 v41, v44, v41
	v_dual_mul_f32 v70, v45, v43 :: v_dual_mul_f32 v43, v44, v43
	v_dual_fma_f32 v31, v36, v40, -v31 :: v_dual_fmac_f32 v33, v37, v40
	v_dual_fma_f32 v35, v36, v42, -v35 :: v_dual_fmac_f32 v68, v37, v42
	s_delay_alu instid0(VALU_DEP_3) | instskip(NEXT) | instid1(VALU_DEP_3)
	v_dual_fma_f32 v36, v44, v40, -v69 :: v_dual_fma_f32 v37, v44, v42, -v70
	v_dual_fmac_f32 v41, v45, v40 :: v_dual_add_f32 v40, v32, v31
	s_delay_alu instid0(VALU_DEP_3) | instskip(NEXT) | instid1(VALU_DEP_4)
	v_dual_add_f32 v34, v34, v33 :: v_dual_add_f32 v28, v28, v35
	v_add_f32_e32 v35, v30, v68
	s_delay_alu instid0(VALU_DEP_3)
	v_dual_add_f32 v24, v24, v36 :: v_dual_add_f32 v26, v26, v41
	s_wait_dscnt 0x3
	v_mul_f32_e32 v36, v39, v53
	ds_load_2addr_b64 v[30:33], v27 offset0:64 offset1:80
	v_dual_fmac_f32 v43, v45, v42 :: v_dual_add_f32 v2, v2, v37
	v_dual_mul_f32 v37, v38, v53 :: v_dual_fma_f32 v36, v38, v52, -v36
	v_mul_f32_e32 v41, v39, v55
	s_delay_alu instid0(VALU_DEP_2) | instskip(NEXT) | instid1(VALU_DEP_3)
	v_dual_add_f32 v22, v22, v43 :: v_dual_fmac_f32 v37, v39, v52
	v_dual_mul_f32 v42, v38, v55 :: v_dual_add_f32 v40, v40, v36
	s_delay_alu instid0(VALU_DEP_3) | instskip(NEXT) | instid1(VALU_DEP_2)
	v_dual_fma_f32 v36, v38, v54, -v41 :: v_dual_mul_f32 v38, v47, v53
	v_dual_add_f32 v41, v34, v37 :: v_dual_fmac_f32 v42, v39, v54
	s_delay_alu instid0(VALU_DEP_2) | instskip(NEXT) | instid1(VALU_DEP_3)
	v_dual_mul_f32 v34, v46, v53 :: v_dual_add_f32 v28, v28, v36
	v_dual_mul_f32 v37, v47, v55 :: v_dual_fma_f32 v36, v46, v52, -v38
	s_delay_alu instid0(VALU_DEP_3) | instskip(NEXT) | instid1(VALU_DEP_3)
	v_add_f32_e32 v38, v35, v42
	v_dual_fmac_f32 v34, v47, v52 :: v_dual_mul_f32 v39, v46, v55
	s_delay_alu instid0(VALU_DEP_3) | instskip(SKIP_1) | instid1(VALU_DEP_2)
	v_dual_fma_f32 v35, v46, v54, -v37 :: v_dual_add_f32 v24, v24, v36
	s_wait_dscnt 0x0
	v_dual_mul_f32 v36, v49, v31 :: v_dual_add_f32 v26, v26, v34
	s_delay_alu instid0(VALU_DEP_3) | instskip(NEXT) | instid1(VALU_DEP_2)
	v_dual_fmac_f32 v39, v47, v54 :: v_dual_mul_f32 v42, v48, v31
	v_dual_add_f32 v2, v2, v35 :: v_dual_fma_f32 v43, v48, v30, -v36
	v_mul_f32_e32 v44, v49, v33
	ds_load_2addr_b64 v[34:37], v27 offset0:96 offset1:112
	v_dual_fmac_f32 v42, v49, v30 :: v_dual_add_f32 v22, v22, v39
	v_add_f32_e32 v39, v40, v43
	v_dual_fma_f32 v43, v48, v32, -v44 :: v_dual_mul_f32 v40, v48, v33
	s_delay_alu instid0(VALU_DEP_3) | instskip(SKIP_1) | instid1(VALU_DEP_3)
	v_add_f32_e32 v41, v41, v42
	v_dual_mul_f32 v42, v65, v31 :: v_dual_mul_f32 v31, v64, v31
	v_dual_add_f32 v28, v28, v43 :: v_dual_mul_f32 v43, v65, v33
	s_delay_alu instid0(VALU_DEP_2) | instskip(NEXT) | instid1(VALU_DEP_3)
	v_dual_fmac_f32 v40, v49, v32 :: v_dual_fma_f32 v42, v64, v30, -v42
	v_dual_fmac_f32 v31, v65, v30 :: v_dual_mul_f32 v44, v64, v33
	s_delay_alu instid0(VALU_DEP_3) | instskip(NEXT) | instid1(VALU_DEP_3)
	v_fma_f32 v30, v64, v32, -v43
	v_dual_add_f32 v45, v38, v40 :: v_dual_add_f32 v24, v24, v42
	s_delay_alu instid0(VALU_DEP_3) | instskip(SKIP_1) | instid1(VALU_DEP_3)
	v_dual_add_f32 v26, v26, v31 :: v_dual_fmac_f32 v44, v65, v32
	s_wait_dscnt 0x0
	v_dual_mul_f32 v38, v51, v35 :: v_dual_add_f32 v2, v2, v30
	ds_load_2addr_b64 v[30:33], v27 offset0:128 offset1:144
	v_dual_mul_f32 v40, v50, v35 :: v_dual_mul_f32 v42, v51, v37
	v_dual_fma_f32 v38, v50, v34, -v38 :: v_dual_mul_f32 v43, v50, v37
	s_delay_alu instid0(VALU_DEP_2) | instskip(NEXT) | instid1(VALU_DEP_2)
	v_dual_fmac_f32 v40, v51, v34 :: v_dual_add_f32 v22, v22, v44
	v_dual_add_f32 v44, v39, v38 :: v_dual_fma_f32 v42, v50, v36, -v42
	s_delay_alu instid0(VALU_DEP_2) | instskip(NEXT) | instid1(VALU_DEP_4)
	v_dual_mul_f32 v38, v67, v35 :: v_dual_add_f32 v46, v41, v40
	v_dual_fmac_f32 v43, v51, v36 :: v_dual_mul_f32 v35, v66, v35
	s_delay_alu instid0(VALU_DEP_3) | instskip(NEXT) | instid1(VALU_DEP_3)
	v_add_f32_e32 v28, v28, v42
	v_dual_fma_f32 v42, v66, v34, -v38 :: v_dual_mul_f32 v47, v67, v37
	s_delay_alu instid0(VALU_DEP_3)
	v_add_f32_e32 v48, v45, v43
	ds_load_b128 v[38:41], v29 offset:1056
	v_dual_fmac_f32 v35, v67, v34 :: v_dual_mul_f32 v43, v66, v37
	v_dual_fma_f32 v34, v66, v36, -v47 :: v_dual_add_f32 v24, v24, v42
	s_wait_dscnt 0x1
	v_dual_mul_f32 v37, v57, v31 :: v_dual_mul_f32 v47, v56, v31
	s_delay_alu instid0(VALU_DEP_3) | instskip(NEXT) | instid1(VALU_DEP_3)
	v_dual_fmac_f32 v43, v67, v36 :: v_dual_add_f32 v26, v26, v35
	v_add_f32_e32 v2, v2, v34
	s_delay_alu instid0(VALU_DEP_3) | instskip(SKIP_4) | instid1(VALU_DEP_3)
	v_fma_f32 v42, v56, v30, -v37
	ds_load_2addr_b64 v[34:37], v27 offset0:160 offset1:176
	v_dual_mul_f32 v45, v57, v33 :: v_dual_add_f32 v22, v22, v43
	v_dual_fmac_f32 v47, v57, v30 :: v_dual_mul_f32 v50, v56, v33
	v_add_f32_e32 v49, v44, v42
	v_fma_f32 v51, v56, v32, -v45
	ds_load_b128 v[42:45], v29 offset:1072
	v_add_f32_e32 v46, v46, v47
	s_wait_dscnt 0x2
	v_dual_mul_f32 v52, v39, v31 :: v_dual_fmac_f32 v50, v57, v32
	v_mul_f32_e32 v31, v38, v31
	v_dual_add_f32 v28, v28, v51 :: v_dual_mul_f32 v51, v39, v33
	s_delay_alu instid0(VALU_DEP_3) | instskip(NEXT) | instid1(VALU_DEP_4)
	v_fma_f32 v47, v38, v30, -v52
	v_add_f32_e32 v48, v48, v50
	s_delay_alu instid0(VALU_DEP_4) | instskip(NEXT) | instid1(VALU_DEP_3)
	v_dual_fmac_f32 v31, v39, v30 :: v_dual_mul_f32 v50, v38, v33
	v_dual_fma_f32 v30, v38, v32, -v51 :: v_dual_add_f32 v24, v24, v47
	s_wait_dscnt 0x1
	v_dual_mul_f32 v33, v59, v35 :: v_dual_mul_f32 v38, v58, v35
	s_delay_alu instid0(VALU_DEP_3) | instskip(NEXT) | instid1(VALU_DEP_3)
	v_dual_add_f32 v26, v26, v31 :: v_dual_fmac_f32 v50, v39, v32
	v_dual_add_f32 v2, v2, v30 :: v_dual_mul_f32 v47, v59, v37
	s_delay_alu instid0(VALU_DEP_3)
	v_dual_fma_f32 v39, v58, v34, -v33 :: v_dual_fmac_f32 v38, v59, v34
	ds_load_2addr_b64 v[30:33], v27 offset0:192 offset1:208
	v_add_f32_e32 v22, v22, v50
	v_dual_fma_f32 v47, v58, v36, -v47 :: v_dual_add_f32 v49, v49, v39
	v_mul_f32_e32 v39, v58, v37
	v_dual_add_f32 v46, v46, v38 :: v_dual_mul_f32 v38, v41, v35
	v_mul_f32_e32 v35, v40, v35
	s_delay_alu instid0(VALU_DEP_4) | instskip(NEXT) | instid1(VALU_DEP_3)
	v_dual_add_f32 v28, v28, v47 :: v_dual_mul_f32 v47, v41, v37
	v_dual_fmac_f32 v39, v59, v36 :: v_dual_fma_f32 v38, v40, v34, -v38
	s_delay_alu instid0(VALU_DEP_1) | instskip(NEXT) | instid1(VALU_DEP_3)
	v_dual_fmac_f32 v35, v41, v34 :: v_dual_add_f32 v34, v48, v39
	v_dual_mul_f32 v48, v40, v37 :: v_dual_fma_f32 v37, v40, v36, -v47
	s_delay_alu instid0(VALU_DEP_2) | instskip(SKIP_2) | instid1(VALU_DEP_3)
	v_dual_add_f32 v24, v24, v38 :: v_dual_add_f32 v26, v26, v35
	s_wait_dscnt 0x0
	v_mul_f32_e32 v35, v61, v31
	v_dual_fmac_f32 v48, v41, v36 :: v_dual_add_f32 v2, v2, v37
	ds_load_2addr_b64 v[36:39], v27 offset0:224 offset1:240
	v_dual_mul_f32 v40, v60, v31 :: v_dual_fma_f32 v35, v60, v30, -v35
	v_dual_add_f32 v22, v22, v48 :: v_dual_mul_f32 v41, v61, v33
	s_delay_alu instid0(VALU_DEP_2) | instskip(NEXT) | instid1(VALU_DEP_3)
	v_dual_mul_f32 v47, v60, v33 :: v_dual_fmac_f32 v40, v61, v30
	v_add_f32_e32 v35, v49, v35
	s_delay_alu instid0(VALU_DEP_3) | instskip(NEXT) | instid1(VALU_DEP_3)
	v_dual_mul_f32 v48, v43, v31 :: v_dual_fma_f32 v41, v60, v32, -v41
	v_dual_fmac_f32 v47, v61, v32 :: v_dual_mul_f32 v31, v42, v31
	s_delay_alu instid0(VALU_DEP_4) | instskip(NEXT) | instid1(VALU_DEP_3)
	v_add_f32_e32 v40, v46, v40
	v_dual_fma_f32 v46, v42, v30, -v48 :: v_dual_add_f32 v28, v28, v41
	s_delay_alu instid0(VALU_DEP_3) | instskip(NEXT) | instid1(VALU_DEP_4)
	v_dual_mul_f32 v41, v43, v33 :: v_dual_add_f32 v47, v34, v47
	v_dual_fmac_f32 v31, v43, v30 :: v_dual_mul_f32 v30, v42, v33
	s_delay_alu instid0(VALU_DEP_2) | instskip(SKIP_2) | instid1(VALU_DEP_3)
	v_dual_add_f32 v24, v24, v46 :: v_dual_fma_f32 v33, v42, v32, -v41
	s_wait_dscnt 0x0
	v_dual_mul_f32 v34, v63, v37 :: v_dual_mul_f32 v41, v62, v37
	v_dual_add_f32 v26, v26, v31 :: v_dual_fmac_f32 v30, v43, v32
	s_delay_alu instid0(VALU_DEP_3) | instskip(NEXT) | instid1(VALU_DEP_3)
	v_add_f32_e32 v2, v2, v33
	v_dual_fma_f32 v31, v62, v36, -v34 :: v_dual_mul_f32 v33, v63, v39
	s_delay_alu instid0(VALU_DEP_4) | instskip(NEXT) | instid1(VALU_DEP_2)
	v_dual_fmac_f32 v41, v63, v36 :: v_dual_mul_f32 v42, v62, v39
	v_dual_add_f32 v22, v22, v30 :: v_dual_add_f32 v32, v35, v31
	v_mul_f32_e32 v31, v45, v37
	s_delay_alu instid0(VALU_DEP_3) | instskip(NEXT) | instid1(VALU_DEP_4)
	v_dual_add_f32 v34, v40, v41 :: v_dual_fma_f32 v30, v62, v38, -v33
	v_dual_fmac_f32 v42, v63, v38 :: v_dual_mul_f32 v33, v44, v37
	v_dual_mul_f32 v35, v45, v39 :: v_dual_mul_f32 v37, v44, v39
	s_delay_alu instid0(VALU_DEP_3) | instskip(NEXT) | instid1(VALU_DEP_3)
	v_add_f32_e32 v28, v28, v30
	v_dual_fma_f32 v31, v44, v36, -v31 :: v_dual_fmac_f32 v33, v45, v36
	s_delay_alu instid0(VALU_DEP_3) | instskip(NEXT) | instid1(VALU_DEP_2)
	v_dual_fma_f32 v35, v44, v38, -v35 :: v_dual_fmac_f32 v37, v45, v38
	v_dual_add_f32 v30, v47, v42 :: v_dual_add_f32 v24, v24, v31
	s_delay_alu instid0(VALU_DEP_3) | instskip(NEXT) | instid1(VALU_DEP_3)
	v_add_f32_e32 v26, v26, v33
	v_add_f32_e32 v2, v2, v35
	s_delay_alu instid0(VALU_DEP_4)
	v_add_f32_e32 v22, v22, v37
	s_barrier_signal -1
	s_barrier_wait -1
	s_cbranch_scc0 .LBB365_15
.LBB365_9:                              ;   Parent Loop BB365_6 Depth=1
                                        ; =>  This Inner Loop Header: Depth=2
	v_dual_mov_b32 v36, 0 :: v_dual_add_nc_u32 v31, s27, v23
	v_mov_b32_e32 v37, 0
	s_delay_alu instid0(VALU_DEP_2) | instskip(SKIP_2) | instid1(SALU_CYCLE_1)
	v_cmp_gt_i32_e32 vcc_lo, s23, v31
	s_wait_xcnt 0x0
	s_and_b32 s29, s0, vcc_lo
	s_and_saveexec_b32 s28, s29
	s_cbranch_execz .LBB365_11
; %bb.10:                               ;   in Loop: Header=BB365_9 Depth=2
	flat_load_b64 v[36:37], v[18:19]
.LBB365_11:                             ;   in Loop: Header=BB365_9 Depth=2
	s_wait_xcnt 0x0
	s_or_b32 exec_lo, exec_lo, s28
	v_add_nc_u32_e32 v31, s27, v0
	s_wait_loadcnt_dscnt 0x0
	ds_store_b64 v25, v[36:37]
	v_cmp_le_i32_e32 vcc_lo, s23, v31
	s_or_b32 s28, vcc_lo, s26
	s_delay_alu instid0(SALU_CYCLE_1) | instskip(NEXT) | instid1(SALU_CYCLE_1)
	s_and_saveexec_b32 s29, s28
	s_xor_b32 s28, exec_lo, s29
; %bb.12:                               ;   in Loop: Header=BB365_9 Depth=2
	ds_store_b32 v1, v3
; %bb.13:                               ;   in Loop: Header=BB365_9 Depth=2
	s_or_saveexec_b32 s28, s28
	v_mov_b32_e32 v31, 0
	s_xor_b32 exec_lo, exec_lo, s28
	s_cbranch_execz .LBB365_8
; %bb.14:                               ;   in Loop: Header=BB365_9 Depth=2
	flat_load_b64 v[36:37], v[20:21] offset:-4
	s_wait_loadcnt_dscnt 0x0
	v_xor_b32_e32 v31, 0x80000000, v37
	ds_store_b32 v1, v36
	s_branch .LBB365_8
.LBB365_15:                             ;   in Loop: Header=BB365_6 Depth=1
	s_wait_loadcnt 0x0
	v_add_nc_u64_e32 v[16:17], s[12:13], v[16:17]
	s_delay_alu instid0(VALU_DEP_1)
	v_lshl_add_u64 v[18:19], v[6:7], 3, v[16:17]
	s_and_saveexec_b32 s27, s30
	s_cbranch_execz .LBB365_20
; %bb.16:                               ;   in Loop: Header=BB365_6 Depth=1
	v_mov_b64_e32 v[20:21], s[4:5]
	v_mov_b64_e32 v[36:37], s[14:15]
	s_and_b32 vcc_lo, exec_lo, s18
	s_mov_b32 s28, -1
	s_delay_alu instid0(VALU_DEP_2) | instskip(NEXT) | instid1(VALU_DEP_1)
	v_pk_mul_f32 v[20:21], v[34:35], v[20:21] op_sel_hi:[0,1]
	v_pk_fma_f32 v[34:35], v[32:33], v[36:37], v[20:21] op_sel_hi:[0,1,1]
	v_pk_fma_f32 v[20:21], v[32:33], v[36:37], v[20:21] neg_lo:[0,0,1] neg_hi:[0,0,1]
	v_lshl_add_u64 v[32:33], v[4:5], 3, v[18:19]
	s_delay_alu instid0(VALU_DEP_3)
	v_mov_b32_e32 v21, v35
	s_cbranch_vccz .LBB365_18
; %bb.17:                               ;   in Loop: Header=BB365_6 Depth=1
	flat_load_b64 v[34:35], v[32:33]
	v_mov_b64_e32 v[36:37], s[20:21]
	v_mov_b64_e32 v[38:39], s[2:3]
	s_mov_b32 s28, 0
	s_wait_loadcnt_dscnt 0x0
	s_delay_alu instid0(VALU_DEP_2) | instskip(NEXT) | instid1(VALU_DEP_1)
	v_pk_mul_f32 v[36:37], v[34:35], v[36:37]
	v_pk_fma_f32 v[40:41], v[34:35], v[38:39], v[36:37] op_sel:[0,0,1] op_sel_hi:[1,1,0]
	v_pk_fma_f32 v[34:35], v[34:35], v[38:39], v[36:37] op_sel:[0,0,1] op_sel_hi:[1,1,0] neg_lo:[0,0,1] neg_hi:[0,0,1]
	s_delay_alu instid0(VALU_DEP_2) | instskip(NEXT) | instid1(VALU_DEP_1)
	v_mov_b32_e32 v35, v41
	v_pk_add_f32 v[34:35], v[20:21], v[34:35]
	flat_store_b64 v[32:33], v[34:35]
.LBB365_18:                             ;   in Loop: Header=BB365_6 Depth=1
	s_and_not1_b32 vcc_lo, exec_lo, s28
	s_cbranch_vccnz .LBB365_20
; %bb.19:                               ;   in Loop: Header=BB365_6 Depth=1
	flat_store_b64 v[32:33], v[20:21]
.LBB365_20:                             ;   in Loop: Header=BB365_6 Depth=1
	s_wait_xcnt 0x0
	s_or_b32 exec_lo, exec_lo, s27
	s_and_saveexec_b32 s27, s1
	s_cbranch_execz .LBB365_25
; %bb.21:                               ;   in Loop: Header=BB365_6 Depth=1
	v_mov_b64_e32 v[20:21], s[4:5]
	v_mov_b64_e32 v[32:33], s[14:15]
	v_lshl_add_u64 v[18:19], v[8:9], 3, v[18:19]
	s_and_not1_b32 vcc_lo, exec_lo, s18
	s_mov_b32 s28, -1
	s_delay_alu instid0(VALU_DEP_3) | instskip(NEXT) | instid1(VALU_DEP_1)
	v_pk_mul_f32 v[20:21], v[30:31], v[20:21] op_sel_hi:[0,1]
	v_pk_fma_f32 v[30:31], v[28:29], v[32:33], v[20:21] op_sel_hi:[0,1,1]
	v_pk_fma_f32 v[20:21], v[28:29], v[32:33], v[20:21] neg_lo:[0,0,1] neg_hi:[0,0,1]
	s_delay_alu instid0(VALU_DEP_2)
	v_mov_b32_e32 v21, v31
	s_cbranch_vccnz .LBB365_23
; %bb.22:                               ;   in Loop: Header=BB365_6 Depth=1
	flat_load_b64 v[30:31], v[18:19]
	v_mov_b64_e32 v[32:33], s[20:21]
	v_mov_b64_e32 v[34:35], s[2:3]
	s_mov_b32 s28, 0
	s_wait_loadcnt_dscnt 0x0
	s_delay_alu instid0(VALU_DEP_2) | instskip(NEXT) | instid1(VALU_DEP_1)
	v_pk_mul_f32 v[32:33], v[30:31], v[32:33]
	v_pk_fma_f32 v[36:37], v[30:31], v[34:35], v[32:33] op_sel:[0,0,1] op_sel_hi:[1,1,0]
	v_pk_fma_f32 v[30:31], v[30:31], v[34:35], v[32:33] op_sel:[0,0,1] op_sel_hi:[1,1,0] neg_lo:[0,0,1] neg_hi:[0,0,1]
	s_delay_alu instid0(VALU_DEP_2) | instskip(NEXT) | instid1(VALU_DEP_1)
	v_mov_b32_e32 v31, v37
	v_pk_add_f32 v[30:31], v[20:21], v[30:31]
	flat_store_b64 v[18:19], v[30:31]
.LBB365_23:                             ;   in Loop: Header=BB365_6 Depth=1
	s_and_not1_b32 vcc_lo, exec_lo, s28
	s_cbranch_vccnz .LBB365_25
; %bb.24:                               ;   in Loop: Header=BB365_6 Depth=1
	flat_store_b64 v[18:19], v[20:21]
.LBB365_25:                             ;   in Loop: Header=BB365_6 Depth=1
	s_wait_xcnt 0x0
	s_or_b32 exec_lo, exec_lo, s27
	v_lshl_add_u64 v[16:17], v[10:11], 3, v[16:17]
	s_and_saveexec_b32 s27, s22
	s_cbranch_execz .LBB365_30
; %bb.26:                               ;   in Loop: Header=BB365_6 Depth=1
	v_mov_b64_e32 v[18:19], s[4:5]
	v_mov_b64_e32 v[20:21], s[14:15]
	s_and_not1_b32 vcc_lo, exec_lo, s18
	s_mov_b32 s28, -1
	s_delay_alu instid0(VALU_DEP_2) | instskip(NEXT) | instid1(VALU_DEP_1)
	v_pk_mul_f32 v[18:19], v[26:27], v[18:19] op_sel_hi:[0,1]
	v_pk_fma_f32 v[30:31], v[24:25], v[20:21], v[18:19] op_sel_hi:[0,1,1]
	v_pk_fma_f32 v[18:19], v[24:25], v[20:21], v[18:19] neg_lo:[0,0,1] neg_hi:[0,0,1]
	v_lshl_add_u64 v[20:21], v[4:5], 3, v[16:17]
	s_delay_alu instid0(VALU_DEP_3)
	v_mov_b32_e32 v19, v31
	s_cbranch_vccnz .LBB365_28
; %bb.27:                               ;   in Loop: Header=BB365_6 Depth=1
	flat_load_b64 v[30:31], v[20:21]
	v_mov_b64_e32 v[32:33], s[20:21]
	v_mov_b64_e32 v[34:35], s[2:3]
	s_mov_b32 s28, 0
	s_wait_loadcnt_dscnt 0x0
	s_delay_alu instid0(VALU_DEP_2) | instskip(NEXT) | instid1(VALU_DEP_1)
	v_pk_mul_f32 v[32:33], v[30:31], v[32:33]
	v_pk_fma_f32 v[36:37], v[30:31], v[34:35], v[32:33] op_sel:[0,0,1] op_sel_hi:[1,1,0]
	v_pk_fma_f32 v[30:31], v[30:31], v[34:35], v[32:33] op_sel:[0,0,1] op_sel_hi:[1,1,0] neg_lo:[0,0,1] neg_hi:[0,0,1]
	s_delay_alu instid0(VALU_DEP_2) | instskip(NEXT) | instid1(VALU_DEP_1)
	v_mov_b32_e32 v31, v37
	v_pk_add_f32 v[30:31], v[18:19], v[30:31]
	flat_store_b64 v[20:21], v[30:31]
.LBB365_28:                             ;   in Loop: Header=BB365_6 Depth=1
	s_and_not1_b32 vcc_lo, exec_lo, s28
	s_cbranch_vccnz .LBB365_30
; %bb.29:                               ;   in Loop: Header=BB365_6 Depth=1
	flat_store_b64 v[20:21], v[18:19]
.LBB365_30:                             ;   in Loop: Header=BB365_6 Depth=1
	s_wait_xcnt 0x0
	s_or_b32 exec_lo, exec_lo, s27
	s_and_saveexec_b32 s27, s31
	s_cbranch_execz .LBB365_5
; %bb.31:                               ;   in Loop: Header=BB365_6 Depth=1
	v_mov_b64_e32 v[18:19], s[4:5]
	v_mov_b64_e32 v[20:21], s[14:15]
	v_lshl_add_u64 v[16:17], v[8:9], 3, v[16:17]
	s_and_not1_b32 vcc_lo, exec_lo, s18
	s_mov_b32 s28, -1
	s_delay_alu instid0(VALU_DEP_3) | instskip(NEXT) | instid1(VALU_DEP_1)
	v_pk_mul_f32 v[18:19], v[22:23], v[18:19] op_sel_hi:[0,1]
	v_pk_fma_f32 v[30:31], v[2:3], v[20:21], v[18:19] op_sel_hi:[0,1,1]
	v_pk_fma_f32 v[18:19], v[2:3], v[20:21], v[18:19] neg_lo:[0,0,1] neg_hi:[0,0,1]
	s_delay_alu instid0(VALU_DEP_2)
	v_mov_b32_e32 v19, v31
	s_cbranch_vccnz .LBB365_33
; %bb.32:                               ;   in Loop: Header=BB365_6 Depth=1
	flat_load_b64 v[20:21], v[16:17]
	v_mov_b64_e32 v[30:31], s[20:21]
	v_mov_b64_e32 v[32:33], s[2:3]
	s_mov_b32 s28, 0
	s_wait_loadcnt_dscnt 0x0
	s_delay_alu instid0(VALU_DEP_2) | instskip(NEXT) | instid1(VALU_DEP_1)
	v_pk_mul_f32 v[30:31], v[20:21], v[30:31]
	v_pk_fma_f32 v[34:35], v[20:21], v[32:33], v[30:31] op_sel:[0,0,1] op_sel_hi:[1,1,0]
	v_pk_fma_f32 v[20:21], v[20:21], v[32:33], v[30:31] op_sel:[0,0,1] op_sel_hi:[1,1,0] neg_lo:[0,0,1] neg_hi:[0,0,1]
	s_delay_alu instid0(VALU_DEP_2) | instskip(NEXT) | instid1(VALU_DEP_1)
	v_mov_b32_e32 v21, v35
	v_pk_add_f32 v[20:21], v[18:19], v[20:21]
	flat_store_b64 v[16:17], v[20:21]
.LBB365_33:                             ;   in Loop: Header=BB365_6 Depth=1
	s_and_not1_b32 vcc_lo, exec_lo, s28
	s_cbranch_vccnz .LBB365_5
; %bb.34:                               ;   in Loop: Header=BB365_6 Depth=1
	flat_store_b64 v[16:17], v[18:19]
	s_branch .LBB365_5
.LBB365_35:
	s_sendmsg sendmsg(MSG_DEALLOC_VGPRS)
	s_endpgm
	.section	.rodata,"a",@progbits
	.p2align	6, 0x0
	.amdhsa_kernel _ZL29rocblas_internal_gemmt_kernelIiLi16ELi32ELi8ELc84ELc67ELc85ELb0ELb1E19rocblas_complex_numIfEPKS1_PKS3_PKPS1_EviT_T9_T10_S9_lSB_S9_lSA_T11_S9_li
		.amdhsa_group_segment_fixed_size 4096
		.amdhsa_private_segment_fixed_size 0
		.amdhsa_kernarg_size 100
		.amdhsa_user_sgpr_count 2
		.amdhsa_user_sgpr_dispatch_ptr 0
		.amdhsa_user_sgpr_queue_ptr 0
		.amdhsa_user_sgpr_kernarg_segment_ptr 1
		.amdhsa_user_sgpr_dispatch_id 0
		.amdhsa_user_sgpr_kernarg_preload_length 0
		.amdhsa_user_sgpr_kernarg_preload_offset 0
		.amdhsa_user_sgpr_private_segment_size 0
		.amdhsa_wavefront_size32 1
		.amdhsa_uses_dynamic_stack 0
		.amdhsa_enable_private_segment 0
		.amdhsa_system_sgpr_workgroup_id_x 1
		.amdhsa_system_sgpr_workgroup_id_y 1
		.amdhsa_system_sgpr_workgroup_id_z 1
		.amdhsa_system_sgpr_workgroup_info 0
		.amdhsa_system_vgpr_workitem_id 1
		.amdhsa_next_free_vgpr 71
		.amdhsa_next_free_sgpr 36
		.amdhsa_named_barrier_count 0
		.amdhsa_reserve_vcc 1
		.amdhsa_float_round_mode_32 0
		.amdhsa_float_round_mode_16_64 0
		.amdhsa_float_denorm_mode_32 3
		.amdhsa_float_denorm_mode_16_64 3
		.amdhsa_fp16_overflow 0
		.amdhsa_memory_ordered 1
		.amdhsa_forward_progress 1
		.amdhsa_inst_pref_size 26
		.amdhsa_round_robin_scheduling 0
		.amdhsa_exception_fp_ieee_invalid_op 0
		.amdhsa_exception_fp_denorm_src 0
		.amdhsa_exception_fp_ieee_div_zero 0
		.amdhsa_exception_fp_ieee_overflow 0
		.amdhsa_exception_fp_ieee_underflow 0
		.amdhsa_exception_fp_ieee_inexact 0
		.amdhsa_exception_int_div_zero 0
	.end_amdhsa_kernel
	.section	.text._ZL29rocblas_internal_gemmt_kernelIiLi16ELi32ELi8ELc84ELc67ELc85ELb0ELb1E19rocblas_complex_numIfEPKS1_PKS3_PKPS1_EviT_T9_T10_S9_lSB_S9_lSA_T11_S9_li,"axG",@progbits,_ZL29rocblas_internal_gemmt_kernelIiLi16ELi32ELi8ELc84ELc67ELc85ELb0ELb1E19rocblas_complex_numIfEPKS1_PKS3_PKPS1_EviT_T9_T10_S9_lSB_S9_lSA_T11_S9_li,comdat
.Lfunc_end365:
	.size	_ZL29rocblas_internal_gemmt_kernelIiLi16ELi32ELi8ELc84ELc67ELc85ELb0ELb1E19rocblas_complex_numIfEPKS1_PKS3_PKPS1_EviT_T9_T10_S9_lSB_S9_lSA_T11_S9_li, .Lfunc_end365-_ZL29rocblas_internal_gemmt_kernelIiLi16ELi32ELi8ELc84ELc67ELc85ELb0ELb1E19rocblas_complex_numIfEPKS1_PKS3_PKPS1_EviT_T9_T10_S9_lSB_S9_lSA_T11_S9_li
                                        ; -- End function
	.set _ZL29rocblas_internal_gemmt_kernelIiLi16ELi32ELi8ELc84ELc67ELc85ELb0ELb1E19rocblas_complex_numIfEPKS1_PKS3_PKPS1_EviT_T9_T10_S9_lSB_S9_lSA_T11_S9_li.num_vgpr, 71
	.set _ZL29rocblas_internal_gemmt_kernelIiLi16ELi32ELi8ELc84ELc67ELc85ELb0ELb1E19rocblas_complex_numIfEPKS1_PKS3_PKPS1_EviT_T9_T10_S9_lSB_S9_lSA_T11_S9_li.num_agpr, 0
	.set _ZL29rocblas_internal_gemmt_kernelIiLi16ELi32ELi8ELc84ELc67ELc85ELb0ELb1E19rocblas_complex_numIfEPKS1_PKS3_PKPS1_EviT_T9_T10_S9_lSB_S9_lSA_T11_S9_li.numbered_sgpr, 36
	.set _ZL29rocblas_internal_gemmt_kernelIiLi16ELi32ELi8ELc84ELc67ELc85ELb0ELb1E19rocblas_complex_numIfEPKS1_PKS3_PKPS1_EviT_T9_T10_S9_lSB_S9_lSA_T11_S9_li.num_named_barrier, 0
	.set _ZL29rocblas_internal_gemmt_kernelIiLi16ELi32ELi8ELc84ELc67ELc85ELb0ELb1E19rocblas_complex_numIfEPKS1_PKS3_PKPS1_EviT_T9_T10_S9_lSB_S9_lSA_T11_S9_li.private_seg_size, 0
	.set _ZL29rocblas_internal_gemmt_kernelIiLi16ELi32ELi8ELc84ELc67ELc85ELb0ELb1E19rocblas_complex_numIfEPKS1_PKS3_PKPS1_EviT_T9_T10_S9_lSB_S9_lSA_T11_S9_li.uses_vcc, 1
	.set _ZL29rocblas_internal_gemmt_kernelIiLi16ELi32ELi8ELc84ELc67ELc85ELb0ELb1E19rocblas_complex_numIfEPKS1_PKS3_PKPS1_EviT_T9_T10_S9_lSB_S9_lSA_T11_S9_li.uses_flat_scratch, 0
	.set _ZL29rocblas_internal_gemmt_kernelIiLi16ELi32ELi8ELc84ELc67ELc85ELb0ELb1E19rocblas_complex_numIfEPKS1_PKS3_PKPS1_EviT_T9_T10_S9_lSB_S9_lSA_T11_S9_li.has_dyn_sized_stack, 0
	.set _ZL29rocblas_internal_gemmt_kernelIiLi16ELi32ELi8ELc84ELc67ELc85ELb0ELb1E19rocblas_complex_numIfEPKS1_PKS3_PKPS1_EviT_T9_T10_S9_lSB_S9_lSA_T11_S9_li.has_recursion, 0
	.set _ZL29rocblas_internal_gemmt_kernelIiLi16ELi32ELi8ELc84ELc67ELc85ELb0ELb1E19rocblas_complex_numIfEPKS1_PKS3_PKPS1_EviT_T9_T10_S9_lSB_S9_lSA_T11_S9_li.has_indirect_call, 0
	.section	.AMDGPU.csdata,"",@progbits
; Kernel info:
; codeLenInByte = 3296
; TotalNumSgprs: 38
; NumVgprs: 71
; ScratchSize: 0
; MemoryBound: 0
; FloatMode: 240
; IeeeMode: 1
; LDSByteSize: 4096 bytes/workgroup (compile time only)
; SGPRBlocks: 0
; VGPRBlocks: 4
; NumSGPRsForWavesPerEU: 38
; NumVGPRsForWavesPerEU: 71
; NamedBarCnt: 0
; Occupancy: 12
; WaveLimiterHint : 1
; COMPUTE_PGM_RSRC2:SCRATCH_EN: 0
; COMPUTE_PGM_RSRC2:USER_SGPR: 2
; COMPUTE_PGM_RSRC2:TRAP_HANDLER: 0
; COMPUTE_PGM_RSRC2:TGID_X_EN: 1
; COMPUTE_PGM_RSRC2:TGID_Y_EN: 1
; COMPUTE_PGM_RSRC2:TGID_Z_EN: 1
; COMPUTE_PGM_RSRC2:TIDIG_COMP_CNT: 1
	.section	.text._ZL29rocblas_internal_gemmt_kernelIiLi16ELi32ELi8ELc67ELc78ELc85ELb1ELb0E19rocblas_complex_numIfEPKS1_PKS3_PKPS1_EviT_T9_T10_S9_lSB_S9_lSA_T11_S9_li,"axG",@progbits,_ZL29rocblas_internal_gemmt_kernelIiLi16ELi32ELi8ELc67ELc78ELc85ELb1ELb0E19rocblas_complex_numIfEPKS1_PKS3_PKPS1_EviT_T9_T10_S9_lSB_S9_lSA_T11_S9_li,comdat
	.globl	_ZL29rocblas_internal_gemmt_kernelIiLi16ELi32ELi8ELc67ELc78ELc85ELb1ELb0E19rocblas_complex_numIfEPKS1_PKS3_PKPS1_EviT_T9_T10_S9_lSB_S9_lSA_T11_S9_li ; -- Begin function _ZL29rocblas_internal_gemmt_kernelIiLi16ELi32ELi8ELc67ELc78ELc85ELb1ELb0E19rocblas_complex_numIfEPKS1_PKS3_PKPS1_EviT_T9_T10_S9_lSB_S9_lSA_T11_S9_li
	.p2align	8
	.type	_ZL29rocblas_internal_gemmt_kernelIiLi16ELi32ELi8ELc67ELc78ELc85ELb1ELb0E19rocblas_complex_numIfEPKS1_PKS3_PKPS1_EviT_T9_T10_S9_lSB_S9_lSA_T11_S9_li,@function
_ZL29rocblas_internal_gemmt_kernelIiLi16ELi32ELi8ELc67ELc78ELc85ELb1ELb0E19rocblas_complex_numIfEPKS1_PKS3_PKPS1_EviT_T9_T10_S9_lSB_S9_lSA_T11_S9_li: ; @_ZL29rocblas_internal_gemmt_kernelIiLi16ELi32ELi8ELc67ELc78ELc85ELb1ELb0E19rocblas_complex_numIfEPKS1_PKS3_PKPS1_EviT_T9_T10_S9_lSB_S9_lSA_T11_S9_li
; %bb.0:
	s_load_b128 s[12:15], s[0:1], 0x38
	s_wait_kmcnt 0x0
	s_load_b64 s[20:21], s[14:15], 0x0
	s_clause 0x1
	s_load_b128 s[4:7], s[0:1], 0x8
	s_load_b64 s[22:23], s[0:1], 0x0
	s_wait_kmcnt 0x0
	s_cmp_neq_f32 s20, 1.0
	s_load_b64 s[14:15], s[4:5], 0x0
	s_cselect_b32 s2, -1, 0
	s_and_b32 s3, s21, 0x7fffffff
	s_delay_alu instid0(SALU_CYCLE_1) | instskip(SKIP_3) | instid1(SALU_CYCLE_1)
	s_cmp_eq_u32 s3, 0
	s_cselect_b32 s29, -1, 0
	s_cmp_lg_u32 s3, 0
	s_cselect_b32 s3, -1, 0
	s_or_b32 s2, s2, s3
	s_delay_alu instid0(SALU_CYCLE_1)
	s_and_b32 vcc_lo, exec_lo, s2
	s_cbranch_vccnz .LBB366_2
; %bb.1:
	s_cmp_lg_u32 s23, 0
	s_cselect_b32 s2, -1, 0
	s_wait_kmcnt 0x0
	s_cmp_neq_f32 s14, 0
	s_cselect_b32 s3, -1, 0
	s_cmp_neq_f32 s15, 0
	s_cselect_b32 s4, -1, 0
	s_delay_alu instid0(SALU_CYCLE_1) | instskip(NEXT) | instid1(SALU_CYCLE_1)
	s_or_b32 s3, s3, s4
	s_and_b32 s2, s2, s3
.LBB366_2:
	s_delay_alu instid0(SALU_CYCLE_1)
	s_and_not1_b32 vcc_lo, exec_lo, s2
	s_cbranch_vccnz .LBB366_35
; %bb.3:
	s_load_b32 s28, s[0:1], 0x60
	s_bfe_u32 s2, ttmp6, 0x40014
	s_lshr_b32 s3, ttmp7, 16
	s_add_co_i32 s2, s2, 1
	s_wait_xcnt 0x0
	s_bfe_u32 s4, ttmp6, 0x40008
	s_mul_i32 s2, s3, s2
	s_getreg_b32 s30, hwreg(HW_REG_IB_STS2, 6, 4)
	s_add_co_i32 s4, s4, s2
	s_cmp_eq_u32 s30, 0
	s_mov_b32 s25, 0
	s_cselect_b32 s24, s3, s4
	s_wait_kmcnt 0x0
	s_cmp_ge_u32 s24, s28
	s_cbranch_scc1 .LBB366_35
; %bb.4:
	s_clause 0x3
	s_load_b32 s4, s[0:1], 0x18
	s_load_b32 s2, s[0:1], 0x30
	s_load_b96 s[16:18], s[0:1], 0x48
	s_load_b128 s[8:11], s[0:1], 0x20
	v_and_b32_e32 v4, 0x3ff, v0
	v_bfe_u32 v5, v0, 10, 10
	s_load_b64 s[26:27], s[0:1], 0x58
	s_wait_xcnt 0x0
	s_bfe_u32 s1, ttmp6, 0x4000c
	s_bfe_u32 s3, ttmp6, 0x40010
	s_and_b32 s31, ttmp7, 0xffff
	s_add_co_i32 s1, s1, 1
	s_add_co_i32 s3, s3, 1
	v_lshl_add_u32 v1, v5, 4, v4
	s_and_b32 s0, ttmp6, 15
	s_bfe_u32 s33, ttmp6, 0x40004
	s_mul_i32 s1, ttmp9, s1
	s_mul_i32 s34, s31, s3
	s_add_co_i32 s0, s0, s1
	s_add_co_i32 s33, s33, s34
	v_dual_lshrrev_b32 v21, 5, v1 :: v_dual_bitop2_b32 v6, 31, v1 bitop3:0x40
	s_wait_kmcnt 0x0
	s_ashr_i32 s5, s4, 31
	s_ashr_i32 s3, s2, 31
	;; [unrolled: 1-line block ×3, first 2 shown]
	s_cmp_eq_u32 s30, 0
	v_lshl_add_u32 v33, v5, 6, 0x800
	s_cselect_b32 s0, ttmp9, s0
	s_cselect_b32 s1, s31, s33
	s_lshl_b32 s30, s0, 5
	s_lshl_b32 s1, s1, 5
	v_dual_lshrrev_b32 v1, 3, v1 :: v_dual_bitop2_b32 v2, s30, v6 bitop3:0x54
	v_and_b32_e32 v23, 7, v0
	s_cmp_neq_f32 s14, 0
	v_dual_add_nc_u32 v10, s1, v5 :: v_dual_lshlrev_b32 v29, 3, v4
	s_delay_alu instid0(VALU_DEP_3) | instskip(NEXT) | instid1(VALU_DEP_3)
	v_dual_add_nc_u32 v0, s1, v1 :: v_dual_ashrrev_i32 v3, 31, v2
	v_dual_lshlrev_b32 v12, 3, v23 :: v_dual_lshlrev_b32 v6, 3, v6
	s_cselect_b32 s0, -1, 0
	s_cmp_neq_f32 s15, 0
	s_delay_alu instid0(VALU_DEP_2) | instskip(NEXT) | instid1(VALU_DEP_2)
	v_mul_u64_e32 v[8:9], s[4:5], v[2:3]
	v_lshl_or_b32 v3, v1, 6, v12
	v_dual_ashrrev_i32 v1, 31, v0 :: v_dual_add_nc_u32 v16, 16, v10
	s_cselect_b32 s31, -1, 0
	v_cmp_gt_i32_e32 vcc_lo, s22, v2
	s_or_b32 s31, s0, s31
	s_delay_alu instid0(VALU_DEP_2)
	v_mul_u64_e32 v[14:15], s[2:3], v[0:1]
	v_cmp_gt_i32_e64 s0, s22, v0
	v_dual_add_nc_u32 v0, s30, v4 :: v_dual_ashrrev_i32 v11, 31, v10
	v_ashrrev_i32_e32 v17, 31, v16
	v_lshl_or_b32 v25, v21, 8, v6
	v_add_nc_u32_e32 v27, 0x800, v3
	s_cmp_gt_i32 s23, 0
	v_mul_u64_e32 v[2:3], s[18:19], v[10:11]
	v_mul_u64_e32 v[6:7], s[18:19], v[16:17]
	s_cselect_b32 s33, -1, 0
	s_cmp_neq_f32 s20, 0
	v_dual_add_nc_u32 v4, 16, v0 :: v_dual_ashrrev_i32 v1, 31, v0
	v_cmp_gt_i32_e64 s1, s22, v10
	v_cmp_le_i32_e64 s2, v0, v10
	s_cselect_b32 s3, -1, 0
	s_xor_b32 s4, s29, -1
	s_lshl_b64 s[8:9], s[8:9], 3
	s_or_b32 s18, s3, s4
	v_cmp_gt_i32_e64 s3, s22, v16
	v_cmp_le_i32_e64 s4, v0, v16
	v_cmp_le_i32_e64 s5, v4, v16
	s_and_b32 s19, s1, s2
	v_cmp_le_i32_e64 s2, v4, v10
	v_lshl_add_u64 v[10:11], v[8:9], 3, s[8:9]
	v_dual_mov_b32 v9, 0 :: v_dual_lshlrev_b32 v8, 3, v21
	s_and_b32 s22, s3, s4
	s_and_b32 s29, s3, s5
	s_lshl_b64 s[4:5], s[12:13], 3
	s_delay_alu instid0(VALU_DEP_1)
	v_dual_ashrrev_i32 v5, 31, v4 :: v_dual_mov_b32 v13, v9
	v_add_nc_u64_e32 v[10:11], v[10:11], v[8:9]
	v_lshl_add_u64 v[14:15], v[14:15], 3, s[4:5]
	s_and_b32 s1, s1, s2
	s_mov_b32 s2, s20
	s_mov_b32 s3, s20
	;; [unrolled: 1-line block ×3, first 2 shown]
	v_add_nc_u64_e32 v[12:13], v[14:15], v[12:13]
	v_or_b32_e32 v10, 4, v10
	s_mov_b32 s4, s15
	s_and_b32 s12, s31, s33
	s_mov_b32 s5, s14
	s_xor_b32 s13, vcc_lo, -1
	s_lshl_b64 s[8:9], s[26:27], 3
	s_branch .LBB366_6
.LBB366_5:                              ;   in Loop: Header=BB366_6 Depth=1
	s_wait_xcnt 0x0
	s_or_b32 exec_lo, exec_lo, s26
	s_add_co_i32 s24, s24, 0x10000
	s_delay_alu instid0(SALU_CYCLE_1)
	s_cmp_lt_u32 s24, s28
	s_cbranch_scc0 .LBB366_35
.LBB366_6:                              ; =>This Loop Header: Depth=1
                                        ;     Child Loop BB366_9 Depth 2
	v_dual_mov_b32 v8, s24 :: v_dual_mov_b32 v30, 0
	v_dual_mov_b32 v32, 0 :: v_dual_mov_b32 v26, 0
	v_dual_mov_b32 v28, 0 :: v_dual_mov_b32 v22, 0
	global_load_b64 v[14:15], v8, s[16:17] scale_offset
	s_wait_xcnt 0x0
	v_dual_mov_b32 v24, 0 :: v_dual_mov_b32 v8, 0
	v_mov_b32_e32 v20, 0
	s_and_not1_b32 vcc_lo, exec_lo, s12
	s_cbranch_vccnz .LBB366_15
; %bb.7:                                ;   in Loop: Header=BB366_6 Depth=1
	s_lshl_b64 s[26:27], s[24:25], 3
	v_dual_mov_b32 v20, 0 :: v_dual_mov_b32 v8, 0
	s_add_nc_u64 s[30:31], s[6:7], s[26:27]
	s_add_nc_u64 s[26:27], s[10:11], s[26:27]
	s_clause 0x1
	global_load_b64 v[16:17], v9, s[30:31]
	global_load_b64 v[18:19], v9, s[26:27]
	v_dual_mov_b32 v24, 0 :: v_dual_mov_b32 v22, 0
	v_dual_mov_b32 v28, 0 :: v_dual_mov_b32 v26, 0
	;; [unrolled: 1-line block ×3, first 2 shown]
	s_wait_xcnt 0x0
	s_mov_b32 s26, 0
	s_wait_loadcnt 0x1
	v_add_nc_u64_e32 v[16:17], v[16:17], v[10:11]
	s_wait_loadcnt 0x0
	v_add_nc_u64_e32 v[18:19], v[18:19], v[12:13]
	s_branch .LBB366_9
.LBB366_8:                              ;   in Loop: Header=BB366_9 Depth=2
	s_wait_xcnt 0x0
	s_or_b32 exec_lo, exec_lo, s27
	s_wait_loadcnt_dscnt 0x0
	ds_store_b64 v27, v[34:35]
	s_wait_dscnt 0x0
	s_barrier_signal -1
	s_barrier_wait -1
	ds_load_b128 v[34:37], v33
	ds_load_2addr_b64 v[38:41], v29 offset1:16
	ds_load_b128 v[42:45], v33 offset:1024
	ds_load_b128 v[46:49], v33 offset:16
	ds_load_2addr_b64 v[50:53], v29 offset0:32 offset1:48
	ds_load_b128 v[54:57], v33 offset:32
	ds_load_b128 v[58:61], v33 offset:48
	;; [unrolled: 1-line block ×3, first 2 shown]
	v_add_nc_u64_e32 v[16:17], 64, v[16:17]
	v_add_nc_u64_e32 v[18:19], 64, v[18:19]
	s_add_co_i32 s26, s26, 8
	s_delay_alu instid0(SALU_CYCLE_1)
	s_cmp_lt_i32 s26, s23
	s_wait_dscnt 0x6
	v_dual_mul_f32 v31, v35, v39 :: v_dual_mul_f32 v66, v34, v39
	v_dual_mul_f32 v67, v35, v41 :: v_dual_mul_f32 v68, v34, v41
	s_wait_dscnt 0x5
	v_dual_mul_f32 v69, v43, v39 :: v_dual_mul_f32 v39, v42, v39
	v_dual_mul_f32 v70, v43, v41 :: v_dual_mul_f32 v71, v42, v41
	v_dual_fma_f32 v31, v34, v38, -v31 :: v_dual_fmac_f32 v66, v35, v38
	v_dual_fma_f32 v34, v34, v40, -v67 :: v_dual_fmac_f32 v68, v35, v40
	s_delay_alu instid0(VALU_DEP_4) | instskip(NEXT) | instid1(VALU_DEP_4)
	v_dual_fma_f32 v35, v42, v38, -v69 :: v_dual_fmac_f32 v39, v43, v38
	v_fma_f32 v38, v42, v40, -v70
	s_delay_alu instid0(VALU_DEP_3) | instskip(SKIP_1) | instid1(VALU_DEP_4)
	v_dual_add_f32 v30, v30, v31 :: v_dual_add_f32 v28, v28, v68
	v_add_f32_e32 v31, v32, v66
	v_dual_add_f32 v26, v26, v34 :: v_dual_add_f32 v24, v24, v39
	v_dual_add_f32 v22, v22, v35 :: v_dual_fmac_f32 v71, v43, v40
	s_wait_dscnt 0x3
	v_dual_mul_f32 v32, v37, v51 :: v_dual_add_f32 v8, v8, v38
	ds_load_2addr_b64 v[38:41], v29 offset0:64 offset1:80
	v_dual_mul_f32 v34, v36, v51 :: v_dual_mul_f32 v35, v37, v53
	v_add_f32_e32 v20, v20, v71
	v_dual_fma_f32 v32, v36, v50, -v32 :: v_dual_mul_f32 v42, v36, v53
	s_delay_alu instid0(VALU_DEP_1) | instskip(NEXT) | instid1(VALU_DEP_1)
	v_dual_fmac_f32 v34, v37, v50 :: v_dual_add_f32 v30, v30, v32
	v_dual_fma_f32 v32, v36, v52, -v35 :: v_dual_add_f32 v31, v31, v34
	v_mul_f32_e32 v35, v45, v51
	s_delay_alu instid0(VALU_DEP_4) | instskip(NEXT) | instid1(VALU_DEP_2)
	v_dual_fmac_f32 v42, v37, v52 :: v_dual_mul_f32 v34, v44, v51
	v_dual_add_f32 v26, v26, v32 :: v_dual_fma_f32 v32, v44, v50, -v35
	s_delay_alu instid0(VALU_DEP_2) | instskip(NEXT) | instid1(VALU_DEP_3)
	v_dual_mul_f32 v35, v45, v53 :: v_dual_add_f32 v28, v28, v42
	v_dual_fmac_f32 v34, v45, v50 :: v_dual_mul_f32 v42, v44, v53
	s_delay_alu instid0(VALU_DEP_3) | instskip(SKIP_1) | instid1(VALU_DEP_3)
	v_add_f32_e32 v22, v22, v32
	s_wait_dscnt 0x0
	v_dual_fma_f32 v32, v44, v52, -v35 :: v_dual_mul_f32 v35, v47, v39
	s_delay_alu instid0(VALU_DEP_3) | instskip(SKIP_1) | instid1(VALU_DEP_3)
	v_dual_add_f32 v24, v24, v34 :: v_dual_mul_f32 v43, v46, v39
	v_fmac_f32_e32 v42, v45, v52
	v_dual_add_f32 v8, v8, v32 :: v_dual_fma_f32 v32, v46, v38, -v35
	ds_load_2addr_b64 v[34:37], v29 offset0:96 offset1:112
	v_dual_mul_f32 v44, v47, v41 :: v_dual_fmac_f32 v43, v47, v38
	v_dual_add_f32 v20, v20, v42 :: v_dual_add_f32 v30, v30, v32
	s_delay_alu instid0(VALU_DEP_2) | instskip(NEXT) | instid1(VALU_DEP_3)
	v_dual_mul_f32 v32, v46, v41 :: v_dual_fma_f32 v42, v46, v40, -v44
	v_add_f32_e32 v31, v31, v43
	v_dual_mul_f32 v43, v63, v39 :: v_dual_mul_f32 v39, v62, v39
	s_delay_alu instid0(VALU_DEP_3) | instskip(NEXT) | instid1(VALU_DEP_2)
	v_dual_fmac_f32 v32, v47, v40 :: v_dual_add_f32 v26, v26, v42
	v_dual_mul_f32 v42, v63, v41 :: v_dual_fma_f32 v43, v62, v38, -v43
	s_delay_alu instid0(VALU_DEP_3) | instskip(NEXT) | instid1(VALU_DEP_3)
	v_dual_fmac_f32 v39, v63, v38 :: v_dual_mul_f32 v44, v62, v41
	v_add_f32_e32 v28, v28, v32
	s_delay_alu instid0(VALU_DEP_3) | instskip(NEXT) | instid1(VALU_DEP_4)
	v_fma_f32 v32, v62, v40, -v42
	v_add_f32_e32 v22, v22, v43
	s_delay_alu instid0(VALU_DEP_4) | instskip(SKIP_1) | instid1(VALU_DEP_3)
	v_dual_add_f32 v24, v24, v39 :: v_dual_fmac_f32 v44, v63, v40
	s_wait_dscnt 0x0
	v_dual_mul_f32 v42, v49, v35 :: v_dual_add_f32 v8, v8, v32
	ds_load_2addr_b64 v[38:41], v29 offset0:128 offset1:144
	v_dual_mul_f32 v32, v48, v35 :: v_dual_mul_f32 v43, v49, v37
	v_dual_fma_f32 v42, v48, v34, -v42 :: v_dual_mul_f32 v46, v48, v37
	s_delay_alu instid0(VALU_DEP_2) | instskip(NEXT) | instid1(VALU_DEP_2)
	v_dual_fmac_f32 v32, v49, v34 :: v_dual_add_f32 v20, v20, v44
	v_dual_add_f32 v30, v30, v42 :: v_dual_fma_f32 v43, v48, v36, -v43
	s_delay_alu instid0(VALU_DEP_2) | instskip(NEXT) | instid1(VALU_DEP_4)
	v_dual_mul_f32 v42, v65, v35 :: v_dual_add_f32 v31, v31, v32
	v_dual_fmac_f32 v46, v49, v36 :: v_dual_mul_f32 v32, v64, v35
	s_delay_alu instid0(VALU_DEP_2) | instskip(NEXT) | instid1(VALU_DEP_2)
	v_dual_add_f32 v26, v26, v43 :: v_dual_fma_f32 v35, v64, v34, -v42
	v_dual_mul_f32 v47, v65, v37 :: v_dual_add_f32 v28, v28, v46
	ds_load_b128 v[42:45], v33 offset:1056
	v_dual_fmac_f32 v32, v65, v34 :: v_dual_mul_f32 v46, v64, v37
	v_dual_fma_f32 v34, v64, v36, -v47 :: v_dual_add_f32 v22, v22, v35
	s_wait_dscnt 0x1
	s_delay_alu instid0(VALU_DEP_2) | instskip(NEXT) | instid1(VALU_DEP_2)
	v_dual_mul_f32 v35, v55, v39 :: v_dual_add_f32 v24, v24, v32
	v_dual_fmac_f32 v46, v65, v36 :: v_dual_add_f32 v8, v8, v34
	s_delay_alu instid0(VALU_DEP_2) | instskip(SKIP_3) | instid1(VALU_DEP_2)
	v_dual_mul_f32 v32, v54, v39 :: v_dual_fma_f32 v47, v54, v38, -v35
	ds_load_2addr_b64 v[34:37], v29 offset0:160 offset1:176
	v_dual_mul_f32 v48, v55, v41 :: v_dual_add_f32 v20, v20, v46
	v_dual_fmac_f32 v32, v55, v38 :: v_dual_add_f32 v30, v30, v47
	v_dual_mul_f32 v50, v54, v41 :: v_dual_fma_f32 v51, v54, v40, -v48
	ds_load_b128 v[46:49], v33 offset:1072
	v_add_f32_e32 v31, v31, v32
	s_wait_dscnt 0x2
	v_dual_mul_f32 v52, v43, v39 :: v_dual_mul_f32 v32, v42, v39
	v_dual_fmac_f32 v50, v55, v40 :: v_dual_add_f32 v26, v26, v51
	s_delay_alu instid0(VALU_DEP_2) | instskip(NEXT) | instid1(VALU_DEP_2)
	v_dual_fma_f32 v39, v42, v38, -v52 :: v_dual_mul_f32 v51, v43, v41
	v_add_f32_e32 v28, v28, v50
	s_delay_alu instid0(VALU_DEP_4) | instskip(NEXT) | instid1(VALU_DEP_3)
	v_dual_fmac_f32 v32, v43, v38 :: v_dual_mul_f32 v50, v42, v41
	v_add_f32_e32 v22, v22, v39
	s_wait_dscnt 0x1
	v_dual_fma_f32 v38, v42, v40, -v51 :: v_dual_mul_f32 v39, v57, v35
	s_delay_alu instid0(VALU_DEP_3) | instskip(SKIP_1) | instid1(VALU_DEP_3)
	v_add_f32_e32 v24, v24, v32
	v_dual_fmac_f32 v50, v43, v40 :: v_dual_mul_f32 v32, v56, v35
	v_dual_add_f32 v8, v8, v38 :: v_dual_mul_f32 v43, v57, v37
	s_delay_alu instid0(VALU_DEP_4) | instskip(SKIP_4) | instid1(VALU_DEP_3)
	v_fma_f32 v42, v56, v34, -v39
	ds_load_2addr_b64 v[38:41], v29 offset0:192 offset1:208
	v_fmac_f32_e32 v32, v57, v34
	v_add_f32_e32 v20, v20, v50
	v_dual_fma_f32 v43, v56, v36, -v43 :: v_dual_add_f32 v30, v30, v42
	v_dual_mul_f32 v42, v56, v37 :: v_dual_add_f32 v31, v31, v32
	v_dual_mul_f32 v32, v45, v35 :: v_dual_mul_f32 v35, v44, v35
	s_delay_alu instid0(VALU_DEP_3) | instskip(NEXT) | instid1(VALU_DEP_2)
	v_dual_add_f32 v26, v26, v43 :: v_dual_mul_f32 v43, v45, v37
	v_dual_fmac_f32 v42, v57, v36 :: v_dual_fma_f32 v32, v44, v34, -v32
	s_delay_alu instid0(VALU_DEP_3) | instskip(NEXT) | instid1(VALU_DEP_3)
	v_fmac_f32_e32 v35, v45, v34
	v_fma_f32 v34, v44, v36, -v43
	s_delay_alu instid0(VALU_DEP_3) | instskip(SKIP_1) | instid1(VALU_DEP_4)
	v_dual_add_f32 v28, v28, v42 :: v_dual_add_f32 v22, v22, v32
	v_mul_f32_e32 v42, v44, v37
	v_add_f32_e32 v24, v24, v35
	s_wait_dscnt 0x0
	v_dual_mul_f32 v32, v59, v39 :: v_dual_add_f32 v8, v8, v34
	s_delay_alu instid0(VALU_DEP_3) | instskip(SKIP_4) | instid1(VALU_DEP_3)
	v_dual_mul_f32 v43, v58, v39 :: v_dual_fmac_f32 v42, v45, v36
	ds_load_2addr_b64 v[34:37], v29 offset0:224 offset1:240
	v_dual_fma_f32 v32, v58, v38, -v32 :: v_dual_mul_f32 v44, v58, v41
	v_fmac_f32_e32 v43, v59, v38
	v_dual_add_f32 v20, v20, v42 :: v_dual_mul_f32 v42, v59, v41
	v_dual_add_f32 v30, v30, v32 :: v_dual_mul_f32 v32, v47, v39
	s_delay_alu instid0(VALU_DEP_3) | instskip(SKIP_1) | instid1(VALU_DEP_4)
	v_add_f32_e32 v31, v31, v43
	v_dual_fmac_f32 v44, v59, v40 :: v_dual_mul_f32 v39, v46, v39
	v_fma_f32 v42, v58, v40, -v42
	s_delay_alu instid0(VALU_DEP_4) | instskip(SKIP_1) | instid1(VALU_DEP_3)
	v_fma_f32 v32, v46, v38, -v32
	s_wait_dscnt 0x0
	v_add_f32_e32 v28, v28, v44
	s_barrier_signal -1
	v_dual_add_f32 v26, v26, v42 :: v_dual_mul_f32 v42, v47, v41
	v_dual_fmac_f32 v39, v47, v38 :: v_dual_add_f32 v22, v22, v32
	v_dual_mul_f32 v32, v46, v41 :: v_dual_mul_f32 v41, v61, v35
	s_delay_alu instid0(VALU_DEP_3) | instskip(NEXT) | instid1(VALU_DEP_2)
	v_dual_fma_f32 v38, v46, v40, -v42 :: v_dual_mul_f32 v42, v60, v35
	v_dual_add_f32 v24, v24, v39 :: v_dual_fmac_f32 v32, v47, v40
	s_delay_alu instid0(VALU_DEP_2) | instskip(NEXT) | instid1(VALU_DEP_3)
	v_dual_mul_f32 v39, v61, v37 :: v_dual_add_f32 v8, v8, v38
	v_dual_fma_f32 v38, v60, v34, -v41 :: v_dual_fmac_f32 v42, v61, v34
	v_mul_f32_e32 v40, v60, v37
	s_delay_alu instid0(VALU_DEP_4) | instskip(SKIP_1) | instid1(VALU_DEP_3)
	v_add_f32_e32 v20, v20, v32
	s_barrier_wait -1
	v_add_f32_e32 v30, v30, v38
	v_dual_add_f32 v32, v31, v42 :: v_dual_fma_f32 v31, v60, v36, -v39
	v_fmac_f32_e32 v40, v61, v36
	v_dual_mul_f32 v38, v49, v35 :: v_dual_mul_f32 v35, v48, v35
	v_dual_mul_f32 v39, v49, v37 :: v_dual_mul_f32 v37, v48, v37
	s_delay_alu instid0(VALU_DEP_2) | instskip(NEXT) | instid1(VALU_DEP_3)
	v_dual_add_f32 v26, v26, v31 :: v_dual_fma_f32 v31, v48, v34, -v38
	v_fmac_f32_e32 v35, v49, v34
	s_delay_alu instid0(VALU_DEP_3) | instskip(NEXT) | instid1(VALU_DEP_3)
	v_dual_fma_f32 v34, v48, v36, -v39 :: v_dual_fmac_f32 v37, v49, v36
	v_dual_add_f32 v28, v28, v40 :: v_dual_add_f32 v22, v22, v31
	s_delay_alu instid0(VALU_DEP_3) | instskip(NEXT) | instid1(VALU_DEP_3)
	v_add_f32_e32 v24, v24, v35
	v_add_f32_e32 v8, v8, v34
	s_delay_alu instid0(VALU_DEP_4)
	v_add_f32_e32 v20, v20, v37
	s_cbranch_scc0 .LBB366_15
.LBB366_9:                              ;   Parent Loop BB366_6 Depth=1
                                        ; =>  This Inner Loop Header: Depth=2
	v_add_nc_u32_e32 v31, s26, v21
	s_delay_alu instid0(VALU_DEP_1) | instskip(SKIP_1) | instid1(SALU_CYCLE_1)
	v_cmp_le_i32_e32 vcc_lo, s23, v31
	s_or_b32 s27, s13, vcc_lo
	s_and_saveexec_b32 s30, s27
	s_delay_alu instid0(SALU_CYCLE_1)
	s_xor_b32 s27, exec_lo, s30
; %bb.10:                               ;   in Loop: Header=BB366_9 Depth=2
	ds_store_b32 v25, v9
; %bb.11:                               ;   in Loop: Header=BB366_9 Depth=2
	s_or_saveexec_b32 s27, s27
	v_dual_mov_b32 v34, 0 :: v_dual_mov_b32 v31, 0
	s_xor_b32 exec_lo, exec_lo, s27
	s_cbranch_execz .LBB366_13
; %bb.12:                               ;   in Loop: Header=BB366_9 Depth=2
	flat_load_b64 v[36:37], v[16:17] offset:-4
	s_wait_loadcnt_dscnt 0x0
	v_xor_b32_e32 v31, 0x80000000, v37
	ds_store_b32 v25, v36
.LBB366_13:                             ;   in Loop: Header=BB366_9 Depth=2
	s_wait_xcnt 0x0
	s_or_b32 exec_lo, exec_lo, s27
	v_add_nc_u32_e32 v35, s26, v23
	ds_store_b32 v25, v31 offset:4
	v_cmp_gt_i32_e32 vcc_lo, s23, v35
	v_mov_b32_e32 v35, 0
	s_and_b32 s30, vcc_lo, s0
	s_delay_alu instid0(SALU_CYCLE_1)
	s_and_saveexec_b32 s27, s30
	s_cbranch_execz .LBB366_8
; %bb.14:                               ;   in Loop: Header=BB366_9 Depth=2
	flat_load_b64 v[34:35], v[18:19]
	s_branch .LBB366_8
.LBB366_15:                             ;   in Loop: Header=BB366_6 Depth=1
	s_wait_loadcnt 0x0
	v_add_nc_u64_e32 v[14:15], s[8:9], v[14:15]
	s_delay_alu instid0(VALU_DEP_1)
	v_lshl_add_u64 v[16:17], v[2:3], 3, v[14:15]
	s_and_saveexec_b32 s26, s19
	s_cbranch_execz .LBB366_20
; %bb.16:                               ;   in Loop: Header=BB366_6 Depth=1
	v_mov_b64_e32 v[18:19], s[4:5]
	v_mov_b64_e32 v[34:35], s[14:15]
	s_and_b32 vcc_lo, exec_lo, s18
	s_mov_b32 s27, -1
	s_delay_alu instid0(VALU_DEP_2) | instskip(NEXT) | instid1(VALU_DEP_1)
	v_pk_mul_f32 v[18:19], v[32:33], v[18:19] op_sel_hi:[0,1]
	v_pk_fma_f32 v[36:37], v[30:31], v[34:35], v[18:19] op_sel_hi:[0,1,1]
	v_pk_fma_f32 v[18:19], v[30:31], v[34:35], v[18:19] neg_lo:[0,0,1] neg_hi:[0,0,1]
	v_lshl_add_u64 v[30:31], v[0:1], 3, v[16:17]
	s_delay_alu instid0(VALU_DEP_3)
	v_mov_b32_e32 v19, v37
	s_cbranch_vccz .LBB366_18
; %bb.17:                               ;   in Loop: Header=BB366_6 Depth=1
	flat_load_b64 v[34:35], v[30:31]
	v_mov_b64_e32 v[36:37], s[20:21]
	v_mov_b64_e32 v[38:39], s[2:3]
	s_mov_b32 s27, 0
	s_wait_loadcnt_dscnt 0x0
	s_delay_alu instid0(VALU_DEP_2) | instskip(NEXT) | instid1(VALU_DEP_1)
	v_pk_mul_f32 v[36:37], v[34:35], v[36:37]
	v_pk_fma_f32 v[40:41], v[34:35], v[38:39], v[36:37] op_sel:[0,0,1] op_sel_hi:[1,1,0]
	v_pk_fma_f32 v[34:35], v[34:35], v[38:39], v[36:37] op_sel:[0,0,1] op_sel_hi:[1,1,0] neg_lo:[0,0,1] neg_hi:[0,0,1]
	s_delay_alu instid0(VALU_DEP_2) | instskip(NEXT) | instid1(VALU_DEP_1)
	v_mov_b32_e32 v35, v41
	v_pk_add_f32 v[34:35], v[18:19], v[34:35]
	flat_store_b64 v[30:31], v[34:35]
.LBB366_18:                             ;   in Loop: Header=BB366_6 Depth=1
	s_and_not1_b32 vcc_lo, exec_lo, s27
	s_cbranch_vccnz .LBB366_20
; %bb.19:                               ;   in Loop: Header=BB366_6 Depth=1
	flat_store_b64 v[30:31], v[18:19]
.LBB366_20:                             ;   in Loop: Header=BB366_6 Depth=1
	s_wait_xcnt 0x0
	s_or_b32 exec_lo, exec_lo, s26
	s_and_saveexec_b32 s26, s1
	s_cbranch_execz .LBB366_25
; %bb.21:                               ;   in Loop: Header=BB366_6 Depth=1
	v_mov_b64_e32 v[18:19], s[4:5]
	v_mov_b64_e32 v[30:31], s[14:15]
	v_lshl_add_u64 v[16:17], v[4:5], 3, v[16:17]
	s_and_not1_b32 vcc_lo, exec_lo, s18
	s_mov_b32 s27, -1
	s_delay_alu instid0(VALU_DEP_3) | instskip(NEXT) | instid1(VALU_DEP_1)
	v_pk_mul_f32 v[18:19], v[28:29], v[18:19] op_sel_hi:[0,1]
	v_pk_fma_f32 v[34:35], v[26:27], v[30:31], v[18:19] op_sel_hi:[0,1,1]
	v_pk_fma_f32 v[18:19], v[26:27], v[30:31], v[18:19] neg_lo:[0,0,1] neg_hi:[0,0,1]
	s_delay_alu instid0(VALU_DEP_2)
	v_mov_b32_e32 v19, v35
	s_cbranch_vccnz .LBB366_23
; %bb.22:                               ;   in Loop: Header=BB366_6 Depth=1
	flat_load_b64 v[30:31], v[16:17]
	v_mov_b64_e32 v[34:35], s[20:21]
	v_mov_b64_e32 v[36:37], s[2:3]
	s_mov_b32 s27, 0
	s_wait_loadcnt_dscnt 0x0
	s_delay_alu instid0(VALU_DEP_2) | instskip(NEXT) | instid1(VALU_DEP_1)
	v_pk_mul_f32 v[34:35], v[30:31], v[34:35]
	v_pk_fma_f32 v[38:39], v[30:31], v[36:37], v[34:35] op_sel:[0,0,1] op_sel_hi:[1,1,0]
	v_pk_fma_f32 v[30:31], v[30:31], v[36:37], v[34:35] op_sel:[0,0,1] op_sel_hi:[1,1,0] neg_lo:[0,0,1] neg_hi:[0,0,1]
	s_delay_alu instid0(VALU_DEP_2) | instskip(NEXT) | instid1(VALU_DEP_1)
	v_mov_b32_e32 v31, v39
	v_pk_add_f32 v[30:31], v[18:19], v[30:31]
	flat_store_b64 v[16:17], v[30:31]
.LBB366_23:                             ;   in Loop: Header=BB366_6 Depth=1
	s_and_not1_b32 vcc_lo, exec_lo, s27
	s_cbranch_vccnz .LBB366_25
; %bb.24:                               ;   in Loop: Header=BB366_6 Depth=1
	flat_store_b64 v[16:17], v[18:19]
.LBB366_25:                             ;   in Loop: Header=BB366_6 Depth=1
	s_wait_xcnt 0x0
	s_or_b32 exec_lo, exec_lo, s26
	v_lshl_add_u64 v[14:15], v[6:7], 3, v[14:15]
	s_and_saveexec_b32 s26, s22
	s_cbranch_execz .LBB366_30
; %bb.26:                               ;   in Loop: Header=BB366_6 Depth=1
	v_mov_b64_e32 v[16:17], s[4:5]
	v_mov_b64_e32 v[18:19], s[14:15]
	s_and_not1_b32 vcc_lo, exec_lo, s18
	s_mov_b32 s27, -1
	s_delay_alu instid0(VALU_DEP_2) | instskip(NEXT) | instid1(VALU_DEP_1)
	v_pk_mul_f32 v[16:17], v[24:25], v[16:17] op_sel_hi:[0,1]
	v_pk_fma_f32 v[30:31], v[22:23], v[18:19], v[16:17] op_sel_hi:[0,1,1]
	v_pk_fma_f32 v[16:17], v[22:23], v[18:19], v[16:17] neg_lo:[0,0,1] neg_hi:[0,0,1]
	v_lshl_add_u64 v[18:19], v[0:1], 3, v[14:15]
	s_delay_alu instid0(VALU_DEP_3)
	v_mov_b32_e32 v17, v31
	s_cbranch_vccnz .LBB366_28
; %bb.27:                               ;   in Loop: Header=BB366_6 Depth=1
	flat_load_b64 v[30:31], v[18:19]
	v_mov_b64_e32 v[34:35], s[20:21]
	v_mov_b64_e32 v[36:37], s[2:3]
	s_mov_b32 s27, 0
	s_wait_loadcnt_dscnt 0x0
	s_delay_alu instid0(VALU_DEP_2) | instskip(NEXT) | instid1(VALU_DEP_1)
	v_pk_mul_f32 v[34:35], v[30:31], v[34:35]
	v_pk_fma_f32 v[38:39], v[30:31], v[36:37], v[34:35] op_sel:[0,0,1] op_sel_hi:[1,1,0]
	v_pk_fma_f32 v[30:31], v[30:31], v[36:37], v[34:35] op_sel:[0,0,1] op_sel_hi:[1,1,0] neg_lo:[0,0,1] neg_hi:[0,0,1]
	s_delay_alu instid0(VALU_DEP_2) | instskip(NEXT) | instid1(VALU_DEP_1)
	v_mov_b32_e32 v31, v39
	v_pk_add_f32 v[30:31], v[16:17], v[30:31]
	flat_store_b64 v[18:19], v[30:31]
.LBB366_28:                             ;   in Loop: Header=BB366_6 Depth=1
	s_and_not1_b32 vcc_lo, exec_lo, s27
	s_cbranch_vccnz .LBB366_30
; %bb.29:                               ;   in Loop: Header=BB366_6 Depth=1
	flat_store_b64 v[18:19], v[16:17]
.LBB366_30:                             ;   in Loop: Header=BB366_6 Depth=1
	s_wait_xcnt 0x0
	s_or_b32 exec_lo, exec_lo, s26
	s_and_saveexec_b32 s26, s29
	s_cbranch_execz .LBB366_5
; %bb.31:                               ;   in Loop: Header=BB366_6 Depth=1
	v_mov_b64_e32 v[16:17], s[4:5]
	v_mov_b64_e32 v[18:19], s[14:15]
	v_lshl_add_u64 v[14:15], v[4:5], 3, v[14:15]
	s_and_not1_b32 vcc_lo, exec_lo, s18
	s_mov_b32 s27, -1
	s_delay_alu instid0(VALU_DEP_3) | instskip(NEXT) | instid1(VALU_DEP_1)
	v_pk_mul_f32 v[16:17], v[20:21], v[16:17] op_sel_hi:[0,1]
	v_pk_fma_f32 v[30:31], v[8:9], v[18:19], v[16:17] op_sel_hi:[0,1,1]
	v_pk_fma_f32 v[16:17], v[8:9], v[18:19], v[16:17] neg_lo:[0,0,1] neg_hi:[0,0,1]
	s_delay_alu instid0(VALU_DEP_2)
	v_mov_b32_e32 v17, v31
	s_cbranch_vccnz .LBB366_33
; %bb.32:                               ;   in Loop: Header=BB366_6 Depth=1
	flat_load_b64 v[18:19], v[14:15]
	v_mov_b64_e32 v[30:31], s[20:21]
	v_mov_b64_e32 v[34:35], s[2:3]
	s_mov_b32 s27, 0
	s_wait_loadcnt_dscnt 0x0
	s_delay_alu instid0(VALU_DEP_2) | instskip(NEXT) | instid1(VALU_DEP_1)
	v_pk_mul_f32 v[30:31], v[18:19], v[30:31]
	v_pk_fma_f32 v[36:37], v[18:19], v[34:35], v[30:31] op_sel:[0,0,1] op_sel_hi:[1,1,0]
	v_pk_fma_f32 v[18:19], v[18:19], v[34:35], v[30:31] op_sel:[0,0,1] op_sel_hi:[1,1,0] neg_lo:[0,0,1] neg_hi:[0,0,1]
	s_delay_alu instid0(VALU_DEP_2) | instskip(NEXT) | instid1(VALU_DEP_1)
	v_mov_b32_e32 v19, v37
	v_pk_add_f32 v[18:19], v[16:17], v[18:19]
	flat_store_b64 v[14:15], v[18:19]
.LBB366_33:                             ;   in Loop: Header=BB366_6 Depth=1
	s_and_not1_b32 vcc_lo, exec_lo, s27
	s_cbranch_vccnz .LBB366_5
; %bb.34:                               ;   in Loop: Header=BB366_6 Depth=1
	flat_store_b64 v[14:15], v[16:17]
	s_branch .LBB366_5
.LBB366_35:
	s_sendmsg sendmsg(MSG_DEALLOC_VGPRS)
	s_endpgm
	.section	.rodata,"a",@progbits
	.p2align	6, 0x0
	.amdhsa_kernel _ZL29rocblas_internal_gemmt_kernelIiLi16ELi32ELi8ELc67ELc78ELc85ELb1ELb0E19rocblas_complex_numIfEPKS1_PKS3_PKPS1_EviT_T9_T10_S9_lSB_S9_lSA_T11_S9_li
		.amdhsa_group_segment_fixed_size 4096
		.amdhsa_private_segment_fixed_size 0
		.amdhsa_kernarg_size 100
		.amdhsa_user_sgpr_count 2
		.amdhsa_user_sgpr_dispatch_ptr 0
		.amdhsa_user_sgpr_queue_ptr 0
		.amdhsa_user_sgpr_kernarg_segment_ptr 1
		.amdhsa_user_sgpr_dispatch_id 0
		.amdhsa_user_sgpr_kernarg_preload_length 0
		.amdhsa_user_sgpr_kernarg_preload_offset 0
		.amdhsa_user_sgpr_private_segment_size 0
		.amdhsa_wavefront_size32 1
		.amdhsa_uses_dynamic_stack 0
		.amdhsa_enable_private_segment 0
		.amdhsa_system_sgpr_workgroup_id_x 1
		.amdhsa_system_sgpr_workgroup_id_y 1
		.amdhsa_system_sgpr_workgroup_id_z 1
		.amdhsa_system_sgpr_workgroup_info 0
		.amdhsa_system_vgpr_workitem_id 1
		.amdhsa_next_free_vgpr 72
		.amdhsa_next_free_sgpr 35
		.amdhsa_named_barrier_count 0
		.amdhsa_reserve_vcc 1
		.amdhsa_float_round_mode_32 0
		.amdhsa_float_round_mode_16_64 0
		.amdhsa_float_denorm_mode_32 3
		.amdhsa_float_denorm_mode_16_64 3
		.amdhsa_fp16_overflow 0
		.amdhsa_memory_ordered 1
		.amdhsa_forward_progress 1
		.amdhsa_inst_pref_size 26
		.amdhsa_round_robin_scheduling 0
		.amdhsa_exception_fp_ieee_invalid_op 0
		.amdhsa_exception_fp_denorm_src 0
		.amdhsa_exception_fp_ieee_div_zero 0
		.amdhsa_exception_fp_ieee_overflow 0
		.amdhsa_exception_fp_ieee_underflow 0
		.amdhsa_exception_fp_ieee_inexact 0
		.amdhsa_exception_int_div_zero 0
	.end_amdhsa_kernel
	.section	.text._ZL29rocblas_internal_gemmt_kernelIiLi16ELi32ELi8ELc67ELc78ELc85ELb1ELb0E19rocblas_complex_numIfEPKS1_PKS3_PKPS1_EviT_T9_T10_S9_lSB_S9_lSA_T11_S9_li,"axG",@progbits,_ZL29rocblas_internal_gemmt_kernelIiLi16ELi32ELi8ELc67ELc78ELc85ELb1ELb0E19rocblas_complex_numIfEPKS1_PKS3_PKPS1_EviT_T9_T10_S9_lSB_S9_lSA_T11_S9_li,comdat
.Lfunc_end366:
	.size	_ZL29rocblas_internal_gemmt_kernelIiLi16ELi32ELi8ELc67ELc78ELc85ELb1ELb0E19rocblas_complex_numIfEPKS1_PKS3_PKPS1_EviT_T9_T10_S9_lSB_S9_lSA_T11_S9_li, .Lfunc_end366-_ZL29rocblas_internal_gemmt_kernelIiLi16ELi32ELi8ELc67ELc78ELc85ELb1ELb0E19rocblas_complex_numIfEPKS1_PKS3_PKPS1_EviT_T9_T10_S9_lSB_S9_lSA_T11_S9_li
                                        ; -- End function
	.set _ZL29rocblas_internal_gemmt_kernelIiLi16ELi32ELi8ELc67ELc78ELc85ELb1ELb0E19rocblas_complex_numIfEPKS1_PKS3_PKPS1_EviT_T9_T10_S9_lSB_S9_lSA_T11_S9_li.num_vgpr, 72
	.set _ZL29rocblas_internal_gemmt_kernelIiLi16ELi32ELi8ELc67ELc78ELc85ELb1ELb0E19rocblas_complex_numIfEPKS1_PKS3_PKPS1_EviT_T9_T10_S9_lSB_S9_lSA_T11_S9_li.num_agpr, 0
	.set _ZL29rocblas_internal_gemmt_kernelIiLi16ELi32ELi8ELc67ELc78ELc85ELb1ELb0E19rocblas_complex_numIfEPKS1_PKS3_PKPS1_EviT_T9_T10_S9_lSB_S9_lSA_T11_S9_li.numbered_sgpr, 35
	.set _ZL29rocblas_internal_gemmt_kernelIiLi16ELi32ELi8ELc67ELc78ELc85ELb1ELb0E19rocblas_complex_numIfEPKS1_PKS3_PKPS1_EviT_T9_T10_S9_lSB_S9_lSA_T11_S9_li.num_named_barrier, 0
	.set _ZL29rocblas_internal_gemmt_kernelIiLi16ELi32ELi8ELc67ELc78ELc85ELb1ELb0E19rocblas_complex_numIfEPKS1_PKS3_PKPS1_EviT_T9_T10_S9_lSB_S9_lSA_T11_S9_li.private_seg_size, 0
	.set _ZL29rocblas_internal_gemmt_kernelIiLi16ELi32ELi8ELc67ELc78ELc85ELb1ELb0E19rocblas_complex_numIfEPKS1_PKS3_PKPS1_EviT_T9_T10_S9_lSB_S9_lSA_T11_S9_li.uses_vcc, 1
	.set _ZL29rocblas_internal_gemmt_kernelIiLi16ELi32ELi8ELc67ELc78ELc85ELb1ELb0E19rocblas_complex_numIfEPKS1_PKS3_PKPS1_EviT_T9_T10_S9_lSB_S9_lSA_T11_S9_li.uses_flat_scratch, 0
	.set _ZL29rocblas_internal_gemmt_kernelIiLi16ELi32ELi8ELc67ELc78ELc85ELb1ELb0E19rocblas_complex_numIfEPKS1_PKS3_PKPS1_EviT_T9_T10_S9_lSB_S9_lSA_T11_S9_li.has_dyn_sized_stack, 0
	.set _ZL29rocblas_internal_gemmt_kernelIiLi16ELi32ELi8ELc67ELc78ELc85ELb1ELb0E19rocblas_complex_numIfEPKS1_PKS3_PKPS1_EviT_T9_T10_S9_lSB_S9_lSA_T11_S9_li.has_recursion, 0
	.set _ZL29rocblas_internal_gemmt_kernelIiLi16ELi32ELi8ELc67ELc78ELc85ELb1ELb0E19rocblas_complex_numIfEPKS1_PKS3_PKPS1_EviT_T9_T10_S9_lSB_S9_lSA_T11_S9_li.has_indirect_call, 0
	.section	.AMDGPU.csdata,"",@progbits
; Kernel info:
; codeLenInByte = 3300
; TotalNumSgprs: 37
; NumVgprs: 72
; ScratchSize: 0
; MemoryBound: 0
; FloatMode: 240
; IeeeMode: 1
; LDSByteSize: 4096 bytes/workgroup (compile time only)
; SGPRBlocks: 0
; VGPRBlocks: 4
; NumSGPRsForWavesPerEU: 37
; NumVGPRsForWavesPerEU: 72
; NamedBarCnt: 0
; Occupancy: 12
; WaveLimiterHint : 1
; COMPUTE_PGM_RSRC2:SCRATCH_EN: 0
; COMPUTE_PGM_RSRC2:USER_SGPR: 2
; COMPUTE_PGM_RSRC2:TRAP_HANDLER: 0
; COMPUTE_PGM_RSRC2:TGID_X_EN: 1
; COMPUTE_PGM_RSRC2:TGID_Y_EN: 1
; COMPUTE_PGM_RSRC2:TGID_Z_EN: 1
; COMPUTE_PGM_RSRC2:TIDIG_COMP_CNT: 1
	.section	.text._ZL29rocblas_internal_gemmt_kernelIiLi16ELi32ELi8ELc67ELc84ELc85ELb1ELb0E19rocblas_complex_numIfEPKS1_PKS3_PKPS1_EviT_T9_T10_S9_lSB_S9_lSA_T11_S9_li,"axG",@progbits,_ZL29rocblas_internal_gemmt_kernelIiLi16ELi32ELi8ELc67ELc84ELc85ELb1ELb0E19rocblas_complex_numIfEPKS1_PKS3_PKPS1_EviT_T9_T10_S9_lSB_S9_lSA_T11_S9_li,comdat
	.globl	_ZL29rocblas_internal_gemmt_kernelIiLi16ELi32ELi8ELc67ELc84ELc85ELb1ELb0E19rocblas_complex_numIfEPKS1_PKS3_PKPS1_EviT_T9_T10_S9_lSB_S9_lSA_T11_S9_li ; -- Begin function _ZL29rocblas_internal_gemmt_kernelIiLi16ELi32ELi8ELc67ELc84ELc85ELb1ELb0E19rocblas_complex_numIfEPKS1_PKS3_PKPS1_EviT_T9_T10_S9_lSB_S9_lSA_T11_S9_li
	.p2align	8
	.type	_ZL29rocblas_internal_gemmt_kernelIiLi16ELi32ELi8ELc67ELc84ELc85ELb1ELb0E19rocblas_complex_numIfEPKS1_PKS3_PKPS1_EviT_T9_T10_S9_lSB_S9_lSA_T11_S9_li,@function
_ZL29rocblas_internal_gemmt_kernelIiLi16ELi32ELi8ELc67ELc84ELc85ELb1ELb0E19rocblas_complex_numIfEPKS1_PKS3_PKPS1_EviT_T9_T10_S9_lSB_S9_lSA_T11_S9_li: ; @_ZL29rocblas_internal_gemmt_kernelIiLi16ELi32ELi8ELc67ELc84ELc85ELb1ELb0E19rocblas_complex_numIfEPKS1_PKS3_PKPS1_EviT_T9_T10_S9_lSB_S9_lSA_T11_S9_li
; %bb.0:
	s_load_b128 s[12:15], s[0:1], 0x38
	s_wait_kmcnt 0x0
	s_load_b64 s[20:21], s[14:15], 0x0
	s_clause 0x1
	s_load_b128 s[4:7], s[0:1], 0x8
	s_load_b64 s[22:23], s[0:1], 0x0
	s_wait_kmcnt 0x0
	s_cmp_neq_f32 s20, 1.0
	s_load_b64 s[14:15], s[4:5], 0x0
	s_cselect_b32 s2, -1, 0
	s_and_b32 s3, s21, 0x7fffffff
	s_delay_alu instid0(SALU_CYCLE_1) | instskip(SKIP_3) | instid1(SALU_CYCLE_1)
	s_cmp_eq_u32 s3, 0
	s_cselect_b32 s29, -1, 0
	s_cmp_lg_u32 s3, 0
	s_cselect_b32 s3, -1, 0
	s_or_b32 s2, s2, s3
	s_delay_alu instid0(SALU_CYCLE_1)
	s_and_b32 vcc_lo, exec_lo, s2
	s_cbranch_vccnz .LBB367_2
; %bb.1:
	s_cmp_lg_u32 s23, 0
	s_cselect_b32 s2, -1, 0
	s_wait_kmcnt 0x0
	s_cmp_neq_f32 s14, 0
	s_cselect_b32 s3, -1, 0
	s_cmp_neq_f32 s15, 0
	s_cselect_b32 s4, -1, 0
	s_delay_alu instid0(SALU_CYCLE_1) | instskip(NEXT) | instid1(SALU_CYCLE_1)
	s_or_b32 s3, s3, s4
	s_and_b32 s2, s2, s3
.LBB367_2:
	s_delay_alu instid0(SALU_CYCLE_1)
	s_and_not1_b32 vcc_lo, exec_lo, s2
	s_cbranch_vccnz .LBB367_35
; %bb.3:
	s_load_b32 s28, s[0:1], 0x60
	s_bfe_u32 s2, ttmp6, 0x40014
	s_lshr_b32 s3, ttmp7, 16
	s_add_co_i32 s2, s2, 1
	s_wait_xcnt 0x0
	s_bfe_u32 s4, ttmp6, 0x40008
	s_mul_i32 s2, s3, s2
	s_getreg_b32 s30, hwreg(HW_REG_IB_STS2, 6, 4)
	s_add_co_i32 s4, s4, s2
	s_cmp_eq_u32 s30, 0
	s_mov_b32 s5, 0
	s_cselect_b32 s4, s3, s4
	s_wait_kmcnt 0x0
	s_cmp_ge_u32 s4, s28
	s_cbranch_scc1 .LBB367_35
; %bb.4:
	s_clause 0x3
	s_load_b32 s2, s[0:1], 0x18
	s_load_b32 s24, s[0:1], 0x30
	s_load_b96 s[16:18], s[0:1], 0x48
	s_load_b128 s[8:11], s[0:1], 0x20
	v_and_b32_e32 v2, 0x3ff, v0
	v_bfe_u32 v7, v0, 10, 10
	s_load_b64 s[26:27], s[0:1], 0x58
	s_wait_xcnt 0x0
	s_bfe_u32 s1, ttmp6, 0x4000c
	s_bfe_u32 s3, ttmp6, 0x40010
	s_and_b32 s31, ttmp7, 0xffff
	s_add_co_i32 s1, s1, 1
	s_add_co_i32 s3, s3, 1
	v_lshl_add_u32 v1, v7, 4, v2
	s_and_b32 s0, ttmp6, 15
	s_bfe_u32 s19, ttmp6, 0x40004
	s_mul_i32 s1, ttmp9, s1
	s_mul_i32 s3, s31, s3
	s_add_co_i32 s0, s0, s1
	s_add_co_i32 s1, s19, s3
	v_dual_lshrrev_b32 v23, 5, v1 :: v_dual_lshrrev_b32 v3, 3, v1
	s_wait_kmcnt 0x0
	s_ashr_i32 s3, s2, 31
	s_ashr_i32 s25, s24, 31
	;; [unrolled: 1-line block ×3, first 2 shown]
	s_cmp_eq_u32 s30, 0
	v_lshl_add_u32 v29, v7, 6, 0x800
	s_cselect_b32 s1, s31, s1
	s_cselect_b32 s0, ttmp9, s0
	s_lshl_b32 s1, s1, 5
	s_delay_alu instid0(SALU_CYCLE_1) | instskip(SKIP_3) | instid1(VALU_DEP_2)
	v_dual_add_nc_u32 v14, s1, v3 :: v_dual_bitop2_b32 v1, 31, v1 bitop3:0x40
	v_and_b32_e32 v0, 7, v0
	s_lshl_b32 s30, s0, 5
	s_cmp_neq_f32 s14, 0
	v_dual_lshlrev_b32 v1, 3, v1 :: v_dual_bitop2_b32 v4, s30, v1 bitop3:0x54
	s_delay_alu instid0(VALU_DEP_2) | instskip(SKIP_2) | instid1(VALU_DEP_2)
	v_lshlrev_b32_e32 v6, 3, v0
	s_cselect_b32 s0, -1, 0
	s_cmp_neq_f32 s15, 0
	v_ashrrev_i32_e32 v5, 31, v4
	v_lshl_or_b32 v25, v23, 8, v1
	v_lshl_or_b32 v6, v3, 6, v6
	v_mov_b32_e32 v3, 0
	v_cmp_gt_i32_e32 vcc_lo, s22, v4
	v_mul_u64_e32 v[12:13], s[2:3], v[4:5]
	v_dual_add_nc_u32 v16, s1, v7 :: v_dual_ashrrev_i32 v15, 31, v14
	s_delay_alu instid0(VALU_DEP_4) | instskip(SKIP_1) | instid1(VALU_DEP_3)
	v_mov_b32_e32 v1, v3
	v_add_nc_u32_e32 v27, 0x800, v6
	v_dual_add_nc_u32 v4, s30, v2 :: v_dual_add_nc_u32 v20, 16, v16
	v_ashrrev_i32_e32 v17, 31, v16
	s_delay_alu instid0(VALU_DEP_4) | instskip(NEXT) | instid1(VALU_DEP_3)
	v_mul_u64_e32 v[18:19], s[24:25], v[0:1]
	v_dual_lshlrev_b32 v1, 3, v2 :: v_dual_add_nc_u32 v6, 16, v4
	v_ashrrev_i32_e32 v5, 31, v4
	v_dual_ashrrev_i32 v21, 31, v20 :: v_dual_lshlrev_b32 v2, 3, v23
	v_mul_u64_e32 v[8:9], s[18:19], v[16:17]
	s_delay_alu instid0(VALU_DEP_4) | instskip(SKIP_1) | instid1(VALU_DEP_3)
	v_ashrrev_i32_e32 v7, 31, v6
	s_cselect_b32 s31, -1, 0
	v_mul_u64_e32 v[10:11], s[18:19], v[20:21]
	s_or_b32 s33, s0, s31
	s_cmp_gt_i32 s23, 0
	v_cmp_gt_i32_e64 s1, s22, v16
	s_cselect_b32 s34, -1, 0
	s_cmp_neq_f32 s20, 0
	v_cmp_le_i32_e64 s2, v4, v16
	v_cmp_le_i32_e64 s3, v6, v16
	v_cmp_gt_i32_e64 s0, s22, v14
	s_cselect_b32 s30, -1, 0
	s_lshl_b64 s[8:9], s[8:9], 3
	s_xor_b32 s29, s29, -1
	s_and_b32 s31, s1, s3
	s_or_b32 s29, s30, s29
	s_and_b32 s30, s1, s2
	v_lshl_add_u64 v[12:13], v[12:13], 3, s[8:9]
	s_lshl_b64 s[8:9], s[12:13], 3
	v_cmp_gt_i32_e64 s1, s22, v20
	v_cmp_le_i32_e64 s2, v4, v20
	v_cmp_le_i32_e64 s3, v6, v20
	v_add_nc_u64_e32 v[12:13], v[12:13], v[2:3]
	s_and_b32 s33, s33, s34
	s_lshl_b64 s[12:13], s[24:25], 6
	v_lshl_add_u64 v[16:17], v[18:19], 3, s[8:9]
	s_and_b32 s22, s1, s2
	s_and_b32 s1, s1, s3
	s_mov_b32 s2, s20
	v_or_b32_e32 v12, 4, v12
	v_lshl_add_u64 v[14:15], v[14:15], 3, v[16:17]
	s_mov_b32 s3, s20
	s_mov_b32 s20, s21
	;; [unrolled: 1-line block ×4, first 2 shown]
	s_xor_b32 s24, vcc_lo, -1
	s_lshl_b64 s[18:19], s[26:27], 3
	s_branch .LBB367_6
.LBB367_5:                              ;   in Loop: Header=BB367_6 Depth=1
	s_wait_xcnt 0x0
	s_or_b32 exec_lo, exec_lo, s25
	s_add_co_i32 s4, s4, 0x10000
	s_delay_alu instid0(SALU_CYCLE_1)
	s_cmp_lt_u32 s4, s28
	s_cbranch_scc0 .LBB367_35
.LBB367_6:                              ; =>This Loop Header: Depth=1
                                        ;     Child Loop BB367_9 Depth 2
	v_dual_mov_b32 v2, s4 :: v_dual_mov_b32 v32, 0
	v_dual_mov_b32 v34, 0 :: v_dual_mov_b32 v28, 0
	;; [unrolled: 1-line block ×3, first 2 shown]
	global_load_b64 v[16:17], v2, s[16:17] scale_offset
	s_wait_xcnt 0x0
	v_dual_mov_b32 v26, 0 :: v_dual_mov_b32 v2, 0
	v_mov_b32_e32 v22, 0
	s_and_not1_b32 vcc_lo, exec_lo, s33
	s_cbranch_vccnz .LBB367_15
; %bb.7:                                ;   in Loop: Header=BB367_6 Depth=1
	s_lshl_b64 s[26:27], s[4:5], 3
	v_dual_mov_b32 v22, 0 :: v_dual_mov_b32 v2, 0
	s_add_nc_u64 s[34:35], s[6:7], s[26:27]
	s_add_nc_u64 s[26:27], s[10:11], s[26:27]
	s_clause 0x1
	global_load_b64 v[18:19], v3, s[34:35]
	global_load_b64 v[20:21], v3, s[26:27]
	v_dual_mov_b32 v26, 0 :: v_dual_mov_b32 v24, 0
	v_dual_mov_b32 v30, 0 :: v_dual_mov_b32 v28, 0
	;; [unrolled: 1-line block ×3, first 2 shown]
	s_mov_b32 s25, 0
	s_wait_loadcnt 0x1
	v_add_nc_u64_e32 v[18:19], v[18:19], v[12:13]
	s_wait_loadcnt 0x0
	v_add_nc_u64_e32 v[20:21], v[20:21], v[14:15]
	s_branch .LBB367_9
.LBB367_8:                              ;   in Loop: Header=BB367_9 Depth=2
	s_wait_xcnt 0x0
	s_or_b32 exec_lo, exec_lo, s26
	s_wait_loadcnt_dscnt 0x0
	ds_store_b64 v27, v[36:37]
	s_wait_dscnt 0x0
	s_barrier_signal -1
	s_barrier_wait -1
	ds_load_b128 v[36:39], v29
	ds_load_2addr_b64 v[40:43], v1 offset1:16
	ds_load_b128 v[44:47], v29 offset:1024
	ds_load_b128 v[48:51], v29 offset:16
	ds_load_2addr_b64 v[52:55], v1 offset0:32 offset1:48
	ds_load_b128 v[56:59], v29 offset:32
	ds_load_b128 v[60:63], v29 offset:48
	;; [unrolled: 1-line block ×3, first 2 shown]
	v_add_nc_u64_e32 v[18:19], 64, v[18:19]
	v_add_nc_u64_e32 v[20:21], s[12:13], v[20:21]
	s_add_co_i32 s25, s25, 8
	s_delay_alu instid0(SALU_CYCLE_1)
	s_cmp_lt_i32 s25, s23
	s_wait_dscnt 0x6
	v_dual_mul_f32 v31, v37, v41 :: v_dual_mul_f32 v33, v36, v41
	v_dual_mul_f32 v35, v37, v43 :: v_dual_mul_f32 v68, v36, v43
	s_wait_dscnt 0x5
	v_dual_mul_f32 v69, v45, v41 :: v_dual_mul_f32 v41, v44, v41
	v_dual_mul_f32 v70, v45, v43 :: v_dual_mul_f32 v43, v44, v43
	v_dual_fma_f32 v31, v36, v40, -v31 :: v_dual_fmac_f32 v33, v37, v40
	v_dual_fma_f32 v35, v36, v42, -v35 :: v_dual_fmac_f32 v68, v37, v42
	s_delay_alu instid0(VALU_DEP_3) | instskip(NEXT) | instid1(VALU_DEP_3)
	v_dual_fma_f32 v36, v44, v40, -v69 :: v_dual_fma_f32 v37, v44, v42, -v70
	v_dual_fmac_f32 v41, v45, v40 :: v_dual_add_f32 v40, v32, v31
	s_delay_alu instid0(VALU_DEP_3) | instskip(NEXT) | instid1(VALU_DEP_4)
	v_dual_add_f32 v34, v34, v33 :: v_dual_add_f32 v28, v28, v35
	v_add_f32_e32 v35, v30, v68
	s_delay_alu instid0(VALU_DEP_3)
	v_dual_add_f32 v24, v24, v36 :: v_dual_add_f32 v26, v26, v41
	s_wait_dscnt 0x3
	v_mul_f32_e32 v36, v39, v53
	ds_load_2addr_b64 v[30:33], v1 offset0:64 offset1:80
	v_dual_fmac_f32 v43, v45, v42 :: v_dual_add_f32 v2, v2, v37
	v_dual_mul_f32 v37, v38, v53 :: v_dual_fma_f32 v36, v38, v52, -v36
	v_mul_f32_e32 v41, v39, v55
	s_delay_alu instid0(VALU_DEP_2) | instskip(NEXT) | instid1(VALU_DEP_3)
	v_dual_add_f32 v22, v22, v43 :: v_dual_fmac_f32 v37, v39, v52
	v_dual_mul_f32 v42, v38, v55 :: v_dual_add_f32 v40, v40, v36
	s_delay_alu instid0(VALU_DEP_3) | instskip(NEXT) | instid1(VALU_DEP_2)
	v_dual_fma_f32 v36, v38, v54, -v41 :: v_dual_mul_f32 v38, v47, v53
	v_dual_add_f32 v41, v34, v37 :: v_dual_fmac_f32 v42, v39, v54
	s_delay_alu instid0(VALU_DEP_2) | instskip(NEXT) | instid1(VALU_DEP_3)
	v_dual_mul_f32 v34, v46, v53 :: v_dual_add_f32 v28, v28, v36
	v_dual_mul_f32 v37, v47, v55 :: v_dual_fma_f32 v36, v46, v52, -v38
	s_delay_alu instid0(VALU_DEP_3) | instskip(NEXT) | instid1(VALU_DEP_3)
	v_add_f32_e32 v38, v35, v42
	v_dual_fmac_f32 v34, v47, v52 :: v_dual_mul_f32 v39, v46, v55
	s_delay_alu instid0(VALU_DEP_3) | instskip(SKIP_1) | instid1(VALU_DEP_2)
	v_dual_fma_f32 v35, v46, v54, -v37 :: v_dual_add_f32 v24, v24, v36
	s_wait_dscnt 0x0
	v_dual_mul_f32 v36, v49, v31 :: v_dual_add_f32 v26, v26, v34
	s_delay_alu instid0(VALU_DEP_3) | instskip(NEXT) | instid1(VALU_DEP_2)
	v_dual_fmac_f32 v39, v47, v54 :: v_dual_mul_f32 v42, v48, v31
	v_dual_add_f32 v2, v2, v35 :: v_dual_fma_f32 v43, v48, v30, -v36
	v_mul_f32_e32 v44, v49, v33
	ds_load_2addr_b64 v[34:37], v1 offset0:96 offset1:112
	v_dual_fmac_f32 v42, v49, v30 :: v_dual_add_f32 v22, v22, v39
	v_add_f32_e32 v39, v40, v43
	v_dual_fma_f32 v43, v48, v32, -v44 :: v_dual_mul_f32 v40, v48, v33
	s_delay_alu instid0(VALU_DEP_3) | instskip(SKIP_1) | instid1(VALU_DEP_3)
	v_add_f32_e32 v41, v41, v42
	v_dual_mul_f32 v42, v65, v31 :: v_dual_mul_f32 v31, v64, v31
	v_dual_add_f32 v28, v28, v43 :: v_dual_mul_f32 v43, v65, v33
	s_delay_alu instid0(VALU_DEP_2) | instskip(NEXT) | instid1(VALU_DEP_3)
	v_dual_fmac_f32 v40, v49, v32 :: v_dual_fma_f32 v42, v64, v30, -v42
	v_dual_fmac_f32 v31, v65, v30 :: v_dual_mul_f32 v44, v64, v33
	s_delay_alu instid0(VALU_DEP_3) | instskip(NEXT) | instid1(VALU_DEP_3)
	v_fma_f32 v30, v64, v32, -v43
	v_dual_add_f32 v45, v38, v40 :: v_dual_add_f32 v24, v24, v42
	s_delay_alu instid0(VALU_DEP_3) | instskip(SKIP_1) | instid1(VALU_DEP_3)
	v_dual_add_f32 v26, v26, v31 :: v_dual_fmac_f32 v44, v65, v32
	s_wait_dscnt 0x0
	v_dual_mul_f32 v38, v51, v35 :: v_dual_add_f32 v2, v2, v30
	ds_load_2addr_b64 v[30:33], v1 offset0:128 offset1:144
	v_dual_mul_f32 v40, v50, v35 :: v_dual_mul_f32 v42, v51, v37
	v_dual_fma_f32 v38, v50, v34, -v38 :: v_dual_mul_f32 v43, v50, v37
	s_delay_alu instid0(VALU_DEP_2) | instskip(NEXT) | instid1(VALU_DEP_2)
	v_dual_fmac_f32 v40, v51, v34 :: v_dual_add_f32 v22, v22, v44
	v_dual_add_f32 v44, v39, v38 :: v_dual_fma_f32 v42, v50, v36, -v42
	s_delay_alu instid0(VALU_DEP_2) | instskip(NEXT) | instid1(VALU_DEP_4)
	v_dual_mul_f32 v38, v67, v35 :: v_dual_add_f32 v46, v41, v40
	v_dual_fmac_f32 v43, v51, v36 :: v_dual_mul_f32 v35, v66, v35
	s_delay_alu instid0(VALU_DEP_3) | instskip(NEXT) | instid1(VALU_DEP_3)
	v_add_f32_e32 v28, v28, v42
	v_dual_fma_f32 v42, v66, v34, -v38 :: v_dual_mul_f32 v47, v67, v37
	s_delay_alu instid0(VALU_DEP_3)
	v_add_f32_e32 v48, v45, v43
	ds_load_b128 v[38:41], v29 offset:1056
	v_dual_fmac_f32 v35, v67, v34 :: v_dual_mul_f32 v43, v66, v37
	v_dual_fma_f32 v34, v66, v36, -v47 :: v_dual_add_f32 v24, v24, v42
	s_wait_dscnt 0x1
	v_dual_mul_f32 v37, v57, v31 :: v_dual_mul_f32 v47, v56, v31
	s_delay_alu instid0(VALU_DEP_3) | instskip(NEXT) | instid1(VALU_DEP_3)
	v_dual_fmac_f32 v43, v67, v36 :: v_dual_add_f32 v26, v26, v35
	v_add_f32_e32 v2, v2, v34
	s_delay_alu instid0(VALU_DEP_3) | instskip(SKIP_4) | instid1(VALU_DEP_3)
	v_fma_f32 v42, v56, v30, -v37
	ds_load_2addr_b64 v[34:37], v1 offset0:160 offset1:176
	v_dual_mul_f32 v45, v57, v33 :: v_dual_add_f32 v22, v22, v43
	v_dual_fmac_f32 v47, v57, v30 :: v_dual_mul_f32 v50, v56, v33
	v_add_f32_e32 v49, v44, v42
	v_fma_f32 v51, v56, v32, -v45
	ds_load_b128 v[42:45], v29 offset:1072
	v_add_f32_e32 v46, v46, v47
	s_wait_dscnt 0x2
	v_dual_mul_f32 v52, v39, v31 :: v_dual_fmac_f32 v50, v57, v32
	v_mul_f32_e32 v31, v38, v31
	v_dual_add_f32 v28, v28, v51 :: v_dual_mul_f32 v51, v39, v33
	s_delay_alu instid0(VALU_DEP_3) | instskip(NEXT) | instid1(VALU_DEP_4)
	v_fma_f32 v47, v38, v30, -v52
	v_add_f32_e32 v48, v48, v50
	s_delay_alu instid0(VALU_DEP_4) | instskip(NEXT) | instid1(VALU_DEP_3)
	v_dual_fmac_f32 v31, v39, v30 :: v_dual_mul_f32 v50, v38, v33
	v_dual_fma_f32 v30, v38, v32, -v51 :: v_dual_add_f32 v24, v24, v47
	s_wait_dscnt 0x1
	v_dual_mul_f32 v33, v59, v35 :: v_dual_mul_f32 v38, v58, v35
	s_delay_alu instid0(VALU_DEP_3) | instskip(NEXT) | instid1(VALU_DEP_3)
	v_dual_add_f32 v26, v26, v31 :: v_dual_fmac_f32 v50, v39, v32
	v_dual_add_f32 v2, v2, v30 :: v_dual_mul_f32 v47, v59, v37
	s_delay_alu instid0(VALU_DEP_3)
	v_dual_fma_f32 v39, v58, v34, -v33 :: v_dual_fmac_f32 v38, v59, v34
	ds_load_2addr_b64 v[30:33], v1 offset0:192 offset1:208
	v_add_f32_e32 v22, v22, v50
	v_dual_fma_f32 v47, v58, v36, -v47 :: v_dual_add_f32 v49, v49, v39
	v_mul_f32_e32 v39, v58, v37
	v_dual_add_f32 v46, v46, v38 :: v_dual_mul_f32 v38, v41, v35
	v_mul_f32_e32 v35, v40, v35
	s_delay_alu instid0(VALU_DEP_4) | instskip(NEXT) | instid1(VALU_DEP_3)
	v_dual_add_f32 v28, v28, v47 :: v_dual_mul_f32 v47, v41, v37
	v_dual_fmac_f32 v39, v59, v36 :: v_dual_fma_f32 v38, v40, v34, -v38
	s_delay_alu instid0(VALU_DEP_1) | instskip(NEXT) | instid1(VALU_DEP_3)
	v_dual_fmac_f32 v35, v41, v34 :: v_dual_add_f32 v34, v48, v39
	v_dual_mul_f32 v48, v40, v37 :: v_dual_fma_f32 v37, v40, v36, -v47
	s_delay_alu instid0(VALU_DEP_2) | instskip(SKIP_2) | instid1(VALU_DEP_3)
	v_dual_add_f32 v24, v24, v38 :: v_dual_add_f32 v26, v26, v35
	s_wait_dscnt 0x0
	v_mul_f32_e32 v35, v61, v31
	v_dual_fmac_f32 v48, v41, v36 :: v_dual_add_f32 v2, v2, v37
	ds_load_2addr_b64 v[36:39], v1 offset0:224 offset1:240
	v_dual_mul_f32 v40, v60, v31 :: v_dual_fma_f32 v35, v60, v30, -v35
	v_dual_add_f32 v22, v22, v48 :: v_dual_mul_f32 v41, v61, v33
	s_delay_alu instid0(VALU_DEP_2) | instskip(NEXT) | instid1(VALU_DEP_3)
	v_dual_mul_f32 v47, v60, v33 :: v_dual_fmac_f32 v40, v61, v30
	v_add_f32_e32 v35, v49, v35
	s_delay_alu instid0(VALU_DEP_3) | instskip(NEXT) | instid1(VALU_DEP_3)
	v_dual_mul_f32 v48, v43, v31 :: v_dual_fma_f32 v41, v60, v32, -v41
	v_dual_fmac_f32 v47, v61, v32 :: v_dual_mul_f32 v31, v42, v31
	s_delay_alu instid0(VALU_DEP_4) | instskip(NEXT) | instid1(VALU_DEP_3)
	v_add_f32_e32 v40, v46, v40
	v_dual_fma_f32 v46, v42, v30, -v48 :: v_dual_add_f32 v28, v28, v41
	s_delay_alu instid0(VALU_DEP_3) | instskip(NEXT) | instid1(VALU_DEP_4)
	v_dual_mul_f32 v41, v43, v33 :: v_dual_add_f32 v47, v34, v47
	v_dual_fmac_f32 v31, v43, v30 :: v_dual_mul_f32 v30, v42, v33
	s_delay_alu instid0(VALU_DEP_2) | instskip(SKIP_2) | instid1(VALU_DEP_3)
	v_dual_add_f32 v24, v24, v46 :: v_dual_fma_f32 v33, v42, v32, -v41
	s_wait_dscnt 0x0
	v_dual_mul_f32 v34, v63, v37 :: v_dual_mul_f32 v41, v62, v37
	v_dual_add_f32 v26, v26, v31 :: v_dual_fmac_f32 v30, v43, v32
	s_delay_alu instid0(VALU_DEP_3) | instskip(NEXT) | instid1(VALU_DEP_3)
	v_add_f32_e32 v2, v2, v33
	v_dual_fma_f32 v31, v62, v36, -v34 :: v_dual_mul_f32 v33, v63, v39
	s_delay_alu instid0(VALU_DEP_4) | instskip(NEXT) | instid1(VALU_DEP_2)
	v_dual_fmac_f32 v41, v63, v36 :: v_dual_mul_f32 v42, v62, v39
	v_dual_add_f32 v22, v22, v30 :: v_dual_add_f32 v32, v35, v31
	v_mul_f32_e32 v31, v45, v37
	s_delay_alu instid0(VALU_DEP_3) | instskip(NEXT) | instid1(VALU_DEP_4)
	v_dual_add_f32 v34, v40, v41 :: v_dual_fma_f32 v30, v62, v38, -v33
	v_dual_fmac_f32 v42, v63, v38 :: v_dual_mul_f32 v33, v44, v37
	v_dual_mul_f32 v35, v45, v39 :: v_dual_mul_f32 v37, v44, v39
	s_delay_alu instid0(VALU_DEP_3) | instskip(NEXT) | instid1(VALU_DEP_3)
	v_add_f32_e32 v28, v28, v30
	v_dual_fma_f32 v31, v44, v36, -v31 :: v_dual_fmac_f32 v33, v45, v36
	s_delay_alu instid0(VALU_DEP_3) | instskip(NEXT) | instid1(VALU_DEP_2)
	v_dual_fma_f32 v35, v44, v38, -v35 :: v_dual_fmac_f32 v37, v45, v38
	v_dual_add_f32 v30, v47, v42 :: v_dual_add_f32 v24, v24, v31
	s_delay_alu instid0(VALU_DEP_3) | instskip(NEXT) | instid1(VALU_DEP_3)
	v_add_f32_e32 v26, v26, v33
	v_add_f32_e32 v2, v2, v35
	s_delay_alu instid0(VALU_DEP_4)
	v_add_f32_e32 v22, v22, v37
	s_barrier_signal -1
	s_barrier_wait -1
	s_cbranch_scc0 .LBB367_15
.LBB367_9:                              ;   Parent Loop BB367_6 Depth=1
                                        ; =>  This Inner Loop Header: Depth=2
	v_add_nc_u32_e32 v31, s25, v23
	s_delay_alu instid0(VALU_DEP_1) | instskip(SKIP_2) | instid1(SALU_CYCLE_1)
	v_cmp_le_i32_e32 vcc_lo, s23, v31
	s_wait_xcnt 0x0
	s_or_b32 s26, s24, vcc_lo
	s_and_saveexec_b32 s27, s26
	s_delay_alu instid0(SALU_CYCLE_1)
	s_xor_b32 s26, exec_lo, s27
; %bb.10:                               ;   in Loop: Header=BB367_9 Depth=2
	ds_store_b32 v25, v3
; %bb.11:                               ;   in Loop: Header=BB367_9 Depth=2
	s_or_saveexec_b32 s26, s26
	v_dual_mov_b32 v36, 0 :: v_dual_mov_b32 v31, 0
	s_xor_b32 exec_lo, exec_lo, s26
	s_cbranch_execz .LBB367_13
; %bb.12:                               ;   in Loop: Header=BB367_9 Depth=2
	flat_load_b64 v[38:39], v[18:19] offset:-4
	s_wait_loadcnt_dscnt 0x0
	v_xor_b32_e32 v31, 0x80000000, v39
	ds_store_b32 v25, v38
.LBB367_13:                             ;   in Loop: Header=BB367_9 Depth=2
	s_wait_xcnt 0x0
	s_or_b32 exec_lo, exec_lo, s26
	v_dual_add_nc_u32 v33, s25, v0 :: v_dual_mov_b32 v37, 0
	ds_store_b32 v25, v31 offset:4
	v_cmp_gt_i32_e32 vcc_lo, s23, v33
	s_and_b32 s27, vcc_lo, s0
	s_delay_alu instid0(SALU_CYCLE_1)
	s_and_saveexec_b32 s26, s27
	s_cbranch_execz .LBB367_8
; %bb.14:                               ;   in Loop: Header=BB367_9 Depth=2
	flat_load_b64 v[36:37], v[20:21]
	s_branch .LBB367_8
.LBB367_15:                             ;   in Loop: Header=BB367_6 Depth=1
	s_wait_loadcnt 0x0
	v_add_nc_u64_e32 v[16:17], s[18:19], v[16:17]
	s_delay_alu instid0(VALU_DEP_1)
	v_lshl_add_u64 v[18:19], v[8:9], 3, v[16:17]
	s_and_saveexec_b32 s25, s30
	s_cbranch_execz .LBB367_20
; %bb.16:                               ;   in Loop: Header=BB367_6 Depth=1
	v_mov_b64_e32 v[20:21], s[8:9]
	v_mov_b64_e32 v[36:37], s[14:15]
	s_and_b32 vcc_lo, exec_lo, s29
	s_mov_b32 s26, -1
	s_delay_alu instid0(VALU_DEP_2) | instskip(NEXT) | instid1(VALU_DEP_1)
	v_pk_mul_f32 v[20:21], v[34:35], v[20:21] op_sel_hi:[0,1]
	v_pk_fma_f32 v[34:35], v[32:33], v[36:37], v[20:21] op_sel_hi:[0,1,1]
	v_pk_fma_f32 v[20:21], v[32:33], v[36:37], v[20:21] neg_lo:[0,0,1] neg_hi:[0,0,1]
	v_lshl_add_u64 v[32:33], v[4:5], 3, v[18:19]
	s_delay_alu instid0(VALU_DEP_3)
	v_mov_b32_e32 v21, v35
	s_cbranch_vccz .LBB367_18
; %bb.17:                               ;   in Loop: Header=BB367_6 Depth=1
	flat_load_b64 v[34:35], v[32:33]
	v_mov_b64_e32 v[36:37], s[20:21]
	v_mov_b64_e32 v[38:39], s[2:3]
	s_mov_b32 s26, 0
	s_wait_loadcnt_dscnt 0x0
	s_delay_alu instid0(VALU_DEP_2) | instskip(NEXT) | instid1(VALU_DEP_1)
	v_pk_mul_f32 v[36:37], v[34:35], v[36:37]
	v_pk_fma_f32 v[40:41], v[34:35], v[38:39], v[36:37] op_sel:[0,0,1] op_sel_hi:[1,1,0]
	v_pk_fma_f32 v[34:35], v[34:35], v[38:39], v[36:37] op_sel:[0,0,1] op_sel_hi:[1,1,0] neg_lo:[0,0,1] neg_hi:[0,0,1]
	s_delay_alu instid0(VALU_DEP_2) | instskip(NEXT) | instid1(VALU_DEP_1)
	v_mov_b32_e32 v35, v41
	v_pk_add_f32 v[34:35], v[20:21], v[34:35]
	flat_store_b64 v[32:33], v[34:35]
.LBB367_18:                             ;   in Loop: Header=BB367_6 Depth=1
	s_and_not1_b32 vcc_lo, exec_lo, s26
	s_cbranch_vccnz .LBB367_20
; %bb.19:                               ;   in Loop: Header=BB367_6 Depth=1
	flat_store_b64 v[32:33], v[20:21]
.LBB367_20:                             ;   in Loop: Header=BB367_6 Depth=1
	s_wait_xcnt 0x0
	s_or_b32 exec_lo, exec_lo, s25
	s_and_saveexec_b32 s25, s31
	s_cbranch_execz .LBB367_25
; %bb.21:                               ;   in Loop: Header=BB367_6 Depth=1
	v_mov_b64_e32 v[20:21], s[8:9]
	v_mov_b64_e32 v[32:33], s[14:15]
	v_lshl_add_u64 v[18:19], v[6:7], 3, v[18:19]
	s_and_not1_b32 vcc_lo, exec_lo, s29
	s_mov_b32 s26, -1
	s_delay_alu instid0(VALU_DEP_3) | instskip(NEXT) | instid1(VALU_DEP_1)
	v_pk_mul_f32 v[20:21], v[30:31], v[20:21] op_sel_hi:[0,1]
	v_pk_fma_f32 v[30:31], v[28:29], v[32:33], v[20:21] op_sel_hi:[0,1,1]
	v_pk_fma_f32 v[20:21], v[28:29], v[32:33], v[20:21] neg_lo:[0,0,1] neg_hi:[0,0,1]
	s_delay_alu instid0(VALU_DEP_2)
	v_mov_b32_e32 v21, v31
	s_cbranch_vccnz .LBB367_23
; %bb.22:                               ;   in Loop: Header=BB367_6 Depth=1
	flat_load_b64 v[30:31], v[18:19]
	v_mov_b64_e32 v[32:33], s[20:21]
	v_mov_b64_e32 v[34:35], s[2:3]
	s_mov_b32 s26, 0
	s_wait_loadcnt_dscnt 0x0
	s_delay_alu instid0(VALU_DEP_2) | instskip(NEXT) | instid1(VALU_DEP_1)
	v_pk_mul_f32 v[32:33], v[30:31], v[32:33]
	v_pk_fma_f32 v[36:37], v[30:31], v[34:35], v[32:33] op_sel:[0,0,1] op_sel_hi:[1,1,0]
	v_pk_fma_f32 v[30:31], v[30:31], v[34:35], v[32:33] op_sel:[0,0,1] op_sel_hi:[1,1,0] neg_lo:[0,0,1] neg_hi:[0,0,1]
	s_delay_alu instid0(VALU_DEP_2) | instskip(NEXT) | instid1(VALU_DEP_1)
	v_mov_b32_e32 v31, v37
	v_pk_add_f32 v[30:31], v[20:21], v[30:31]
	flat_store_b64 v[18:19], v[30:31]
.LBB367_23:                             ;   in Loop: Header=BB367_6 Depth=1
	s_and_not1_b32 vcc_lo, exec_lo, s26
	s_cbranch_vccnz .LBB367_25
; %bb.24:                               ;   in Loop: Header=BB367_6 Depth=1
	flat_store_b64 v[18:19], v[20:21]
.LBB367_25:                             ;   in Loop: Header=BB367_6 Depth=1
	s_wait_xcnt 0x0
	s_or_b32 exec_lo, exec_lo, s25
	v_lshl_add_u64 v[16:17], v[10:11], 3, v[16:17]
	s_and_saveexec_b32 s25, s22
	s_cbranch_execz .LBB367_30
; %bb.26:                               ;   in Loop: Header=BB367_6 Depth=1
	v_mov_b64_e32 v[18:19], s[8:9]
	v_mov_b64_e32 v[20:21], s[14:15]
	s_and_not1_b32 vcc_lo, exec_lo, s29
	s_mov_b32 s26, -1
	s_delay_alu instid0(VALU_DEP_2) | instskip(NEXT) | instid1(VALU_DEP_1)
	v_pk_mul_f32 v[18:19], v[26:27], v[18:19] op_sel_hi:[0,1]
	v_pk_fma_f32 v[30:31], v[24:25], v[20:21], v[18:19] op_sel_hi:[0,1,1]
	v_pk_fma_f32 v[18:19], v[24:25], v[20:21], v[18:19] neg_lo:[0,0,1] neg_hi:[0,0,1]
	v_lshl_add_u64 v[20:21], v[4:5], 3, v[16:17]
	s_delay_alu instid0(VALU_DEP_3)
	v_mov_b32_e32 v19, v31
	s_cbranch_vccnz .LBB367_28
; %bb.27:                               ;   in Loop: Header=BB367_6 Depth=1
	flat_load_b64 v[30:31], v[20:21]
	v_mov_b64_e32 v[32:33], s[20:21]
	v_mov_b64_e32 v[34:35], s[2:3]
	s_mov_b32 s26, 0
	s_wait_loadcnt_dscnt 0x0
	s_delay_alu instid0(VALU_DEP_2) | instskip(NEXT) | instid1(VALU_DEP_1)
	v_pk_mul_f32 v[32:33], v[30:31], v[32:33]
	v_pk_fma_f32 v[36:37], v[30:31], v[34:35], v[32:33] op_sel:[0,0,1] op_sel_hi:[1,1,0]
	v_pk_fma_f32 v[30:31], v[30:31], v[34:35], v[32:33] op_sel:[0,0,1] op_sel_hi:[1,1,0] neg_lo:[0,0,1] neg_hi:[0,0,1]
	s_delay_alu instid0(VALU_DEP_2) | instskip(NEXT) | instid1(VALU_DEP_1)
	v_mov_b32_e32 v31, v37
	v_pk_add_f32 v[30:31], v[18:19], v[30:31]
	flat_store_b64 v[20:21], v[30:31]
.LBB367_28:                             ;   in Loop: Header=BB367_6 Depth=1
	s_and_not1_b32 vcc_lo, exec_lo, s26
	s_cbranch_vccnz .LBB367_30
; %bb.29:                               ;   in Loop: Header=BB367_6 Depth=1
	flat_store_b64 v[20:21], v[18:19]
.LBB367_30:                             ;   in Loop: Header=BB367_6 Depth=1
	s_wait_xcnt 0x0
	s_or_b32 exec_lo, exec_lo, s25
	s_and_saveexec_b32 s25, s1
	s_cbranch_execz .LBB367_5
; %bb.31:                               ;   in Loop: Header=BB367_6 Depth=1
	v_mov_b64_e32 v[18:19], s[8:9]
	v_mov_b64_e32 v[20:21], s[14:15]
	v_lshl_add_u64 v[16:17], v[6:7], 3, v[16:17]
	s_and_not1_b32 vcc_lo, exec_lo, s29
	s_mov_b32 s26, -1
	s_delay_alu instid0(VALU_DEP_3) | instskip(NEXT) | instid1(VALU_DEP_1)
	v_pk_mul_f32 v[18:19], v[22:23], v[18:19] op_sel_hi:[0,1]
	v_pk_fma_f32 v[30:31], v[2:3], v[20:21], v[18:19] op_sel_hi:[0,1,1]
	v_pk_fma_f32 v[18:19], v[2:3], v[20:21], v[18:19] neg_lo:[0,0,1] neg_hi:[0,0,1]
	s_delay_alu instid0(VALU_DEP_2)
	v_mov_b32_e32 v19, v31
	s_cbranch_vccnz .LBB367_33
; %bb.32:                               ;   in Loop: Header=BB367_6 Depth=1
	flat_load_b64 v[20:21], v[16:17]
	v_mov_b64_e32 v[30:31], s[20:21]
	v_mov_b64_e32 v[32:33], s[2:3]
	s_mov_b32 s26, 0
	s_wait_loadcnt_dscnt 0x0
	s_delay_alu instid0(VALU_DEP_2) | instskip(NEXT) | instid1(VALU_DEP_1)
	v_pk_mul_f32 v[30:31], v[20:21], v[30:31]
	v_pk_fma_f32 v[34:35], v[20:21], v[32:33], v[30:31] op_sel:[0,0,1] op_sel_hi:[1,1,0]
	v_pk_fma_f32 v[20:21], v[20:21], v[32:33], v[30:31] op_sel:[0,0,1] op_sel_hi:[1,1,0] neg_lo:[0,0,1] neg_hi:[0,0,1]
	s_delay_alu instid0(VALU_DEP_2) | instskip(NEXT) | instid1(VALU_DEP_1)
	v_mov_b32_e32 v21, v35
	v_pk_add_f32 v[20:21], v[18:19], v[20:21]
	flat_store_b64 v[16:17], v[20:21]
.LBB367_33:                             ;   in Loop: Header=BB367_6 Depth=1
	s_and_not1_b32 vcc_lo, exec_lo, s26
	s_cbranch_vccnz .LBB367_5
; %bb.34:                               ;   in Loop: Header=BB367_6 Depth=1
	flat_store_b64 v[16:17], v[18:19]
	s_branch .LBB367_5
.LBB367_35:
	s_sendmsg sendmsg(MSG_DEALLOC_VGPRS)
	s_endpgm
	.section	.rodata,"a",@progbits
	.p2align	6, 0x0
	.amdhsa_kernel _ZL29rocblas_internal_gemmt_kernelIiLi16ELi32ELi8ELc67ELc84ELc85ELb1ELb0E19rocblas_complex_numIfEPKS1_PKS3_PKPS1_EviT_T9_T10_S9_lSB_S9_lSA_T11_S9_li
		.amdhsa_group_segment_fixed_size 4096
		.amdhsa_private_segment_fixed_size 0
		.amdhsa_kernarg_size 100
		.amdhsa_user_sgpr_count 2
		.amdhsa_user_sgpr_dispatch_ptr 0
		.amdhsa_user_sgpr_queue_ptr 0
		.amdhsa_user_sgpr_kernarg_segment_ptr 1
		.amdhsa_user_sgpr_dispatch_id 0
		.amdhsa_user_sgpr_kernarg_preload_length 0
		.amdhsa_user_sgpr_kernarg_preload_offset 0
		.amdhsa_user_sgpr_private_segment_size 0
		.amdhsa_wavefront_size32 1
		.amdhsa_uses_dynamic_stack 0
		.amdhsa_enable_private_segment 0
		.amdhsa_system_sgpr_workgroup_id_x 1
		.amdhsa_system_sgpr_workgroup_id_y 1
		.amdhsa_system_sgpr_workgroup_id_z 1
		.amdhsa_system_sgpr_workgroup_info 0
		.amdhsa_system_vgpr_workitem_id 1
		.amdhsa_next_free_vgpr 71
		.amdhsa_next_free_sgpr 36
		.amdhsa_named_barrier_count 0
		.amdhsa_reserve_vcc 1
		.amdhsa_float_round_mode_32 0
		.amdhsa_float_round_mode_16_64 0
		.amdhsa_float_denorm_mode_32 3
		.amdhsa_float_denorm_mode_16_64 3
		.amdhsa_fp16_overflow 0
		.amdhsa_memory_ordered 1
		.amdhsa_forward_progress 1
		.amdhsa_inst_pref_size 26
		.amdhsa_round_robin_scheduling 0
		.amdhsa_exception_fp_ieee_invalid_op 0
		.amdhsa_exception_fp_denorm_src 0
		.amdhsa_exception_fp_ieee_div_zero 0
		.amdhsa_exception_fp_ieee_overflow 0
		.amdhsa_exception_fp_ieee_underflow 0
		.amdhsa_exception_fp_ieee_inexact 0
		.amdhsa_exception_int_div_zero 0
	.end_amdhsa_kernel
	.section	.text._ZL29rocblas_internal_gemmt_kernelIiLi16ELi32ELi8ELc67ELc84ELc85ELb1ELb0E19rocblas_complex_numIfEPKS1_PKS3_PKPS1_EviT_T9_T10_S9_lSB_S9_lSA_T11_S9_li,"axG",@progbits,_ZL29rocblas_internal_gemmt_kernelIiLi16ELi32ELi8ELc67ELc84ELc85ELb1ELb0E19rocblas_complex_numIfEPKS1_PKS3_PKPS1_EviT_T9_T10_S9_lSB_S9_lSA_T11_S9_li,comdat
.Lfunc_end367:
	.size	_ZL29rocblas_internal_gemmt_kernelIiLi16ELi32ELi8ELc67ELc84ELc85ELb1ELb0E19rocblas_complex_numIfEPKS1_PKS3_PKPS1_EviT_T9_T10_S9_lSB_S9_lSA_T11_S9_li, .Lfunc_end367-_ZL29rocblas_internal_gemmt_kernelIiLi16ELi32ELi8ELc67ELc84ELc85ELb1ELb0E19rocblas_complex_numIfEPKS1_PKS3_PKPS1_EviT_T9_T10_S9_lSB_S9_lSA_T11_S9_li
                                        ; -- End function
	.set _ZL29rocblas_internal_gemmt_kernelIiLi16ELi32ELi8ELc67ELc84ELc85ELb1ELb0E19rocblas_complex_numIfEPKS1_PKS3_PKPS1_EviT_T9_T10_S9_lSB_S9_lSA_T11_S9_li.num_vgpr, 71
	.set _ZL29rocblas_internal_gemmt_kernelIiLi16ELi32ELi8ELc67ELc84ELc85ELb1ELb0E19rocblas_complex_numIfEPKS1_PKS3_PKPS1_EviT_T9_T10_S9_lSB_S9_lSA_T11_S9_li.num_agpr, 0
	.set _ZL29rocblas_internal_gemmt_kernelIiLi16ELi32ELi8ELc67ELc84ELc85ELb1ELb0E19rocblas_complex_numIfEPKS1_PKS3_PKPS1_EviT_T9_T10_S9_lSB_S9_lSA_T11_S9_li.numbered_sgpr, 36
	.set _ZL29rocblas_internal_gemmt_kernelIiLi16ELi32ELi8ELc67ELc84ELc85ELb1ELb0E19rocblas_complex_numIfEPKS1_PKS3_PKPS1_EviT_T9_T10_S9_lSB_S9_lSA_T11_S9_li.num_named_barrier, 0
	.set _ZL29rocblas_internal_gemmt_kernelIiLi16ELi32ELi8ELc67ELc84ELc85ELb1ELb0E19rocblas_complex_numIfEPKS1_PKS3_PKPS1_EviT_T9_T10_S9_lSB_S9_lSA_T11_S9_li.private_seg_size, 0
	.set _ZL29rocblas_internal_gemmt_kernelIiLi16ELi32ELi8ELc67ELc84ELc85ELb1ELb0E19rocblas_complex_numIfEPKS1_PKS3_PKPS1_EviT_T9_T10_S9_lSB_S9_lSA_T11_S9_li.uses_vcc, 1
	.set _ZL29rocblas_internal_gemmt_kernelIiLi16ELi32ELi8ELc67ELc84ELc85ELb1ELb0E19rocblas_complex_numIfEPKS1_PKS3_PKPS1_EviT_T9_T10_S9_lSB_S9_lSA_T11_S9_li.uses_flat_scratch, 0
	.set _ZL29rocblas_internal_gemmt_kernelIiLi16ELi32ELi8ELc67ELc84ELc85ELb1ELb0E19rocblas_complex_numIfEPKS1_PKS3_PKPS1_EviT_T9_T10_S9_lSB_S9_lSA_T11_S9_li.has_dyn_sized_stack, 0
	.set _ZL29rocblas_internal_gemmt_kernelIiLi16ELi32ELi8ELc67ELc84ELc85ELb1ELb0E19rocblas_complex_numIfEPKS1_PKS3_PKPS1_EviT_T9_T10_S9_lSB_S9_lSA_T11_S9_li.has_recursion, 0
	.set _ZL29rocblas_internal_gemmt_kernelIiLi16ELi32ELi8ELc67ELc84ELc85ELb1ELb0E19rocblas_complex_numIfEPKS1_PKS3_PKPS1_EviT_T9_T10_S9_lSB_S9_lSA_T11_S9_li.has_indirect_call, 0
	.section	.AMDGPU.csdata,"",@progbits
; Kernel info:
; codeLenInByte = 3308
; TotalNumSgprs: 38
; NumVgprs: 71
; ScratchSize: 0
; MemoryBound: 0
; FloatMode: 240
; IeeeMode: 1
; LDSByteSize: 4096 bytes/workgroup (compile time only)
; SGPRBlocks: 0
; VGPRBlocks: 4
; NumSGPRsForWavesPerEU: 38
; NumVGPRsForWavesPerEU: 71
; NamedBarCnt: 0
; Occupancy: 12
; WaveLimiterHint : 1
; COMPUTE_PGM_RSRC2:SCRATCH_EN: 0
; COMPUTE_PGM_RSRC2:USER_SGPR: 2
; COMPUTE_PGM_RSRC2:TRAP_HANDLER: 0
; COMPUTE_PGM_RSRC2:TGID_X_EN: 1
; COMPUTE_PGM_RSRC2:TGID_Y_EN: 1
; COMPUTE_PGM_RSRC2:TGID_Z_EN: 1
; COMPUTE_PGM_RSRC2:TIDIG_COMP_CNT: 1
	.section	.text._ZL29rocblas_internal_gemmt_kernelIiLi16ELi32ELi8ELc67ELc67ELc85ELb1ELb1E19rocblas_complex_numIfEPKS1_PKS3_PKPS1_EviT_T9_T10_S9_lSB_S9_lSA_T11_S9_li,"axG",@progbits,_ZL29rocblas_internal_gemmt_kernelIiLi16ELi32ELi8ELc67ELc67ELc85ELb1ELb1E19rocblas_complex_numIfEPKS1_PKS3_PKPS1_EviT_T9_T10_S9_lSB_S9_lSA_T11_S9_li,comdat
	.globl	_ZL29rocblas_internal_gemmt_kernelIiLi16ELi32ELi8ELc67ELc67ELc85ELb1ELb1E19rocblas_complex_numIfEPKS1_PKS3_PKPS1_EviT_T9_T10_S9_lSB_S9_lSA_T11_S9_li ; -- Begin function _ZL29rocblas_internal_gemmt_kernelIiLi16ELi32ELi8ELc67ELc67ELc85ELb1ELb1E19rocblas_complex_numIfEPKS1_PKS3_PKPS1_EviT_T9_T10_S9_lSB_S9_lSA_T11_S9_li
	.p2align	8
	.type	_ZL29rocblas_internal_gemmt_kernelIiLi16ELi32ELi8ELc67ELc67ELc85ELb1ELb1E19rocblas_complex_numIfEPKS1_PKS3_PKPS1_EviT_T9_T10_S9_lSB_S9_lSA_T11_S9_li,@function
_ZL29rocblas_internal_gemmt_kernelIiLi16ELi32ELi8ELc67ELc67ELc85ELb1ELb1E19rocblas_complex_numIfEPKS1_PKS3_PKPS1_EviT_T9_T10_S9_lSB_S9_lSA_T11_S9_li: ; @_ZL29rocblas_internal_gemmt_kernelIiLi16ELi32ELi8ELc67ELc67ELc85ELb1ELb1E19rocblas_complex_numIfEPKS1_PKS3_PKPS1_EviT_T9_T10_S9_lSB_S9_lSA_T11_S9_li
; %bb.0:
	s_load_b128 s[12:15], s[0:1], 0x38
	s_wait_kmcnt 0x0
	s_load_b64 s[20:21], s[14:15], 0x0
	s_clause 0x1
	s_load_b128 s[4:7], s[0:1], 0x8
	s_load_b64 s[22:23], s[0:1], 0x0
	s_wait_kmcnt 0x0
	s_cmp_neq_f32 s20, 1.0
	s_load_b64 s[14:15], s[4:5], 0x0
	s_cselect_b32 s2, -1, 0
	s_and_b32 s3, s21, 0x7fffffff
	s_delay_alu instid0(SALU_CYCLE_1) | instskip(SKIP_3) | instid1(SALU_CYCLE_1)
	s_cmp_eq_u32 s3, 0
	s_cselect_b32 s30, -1, 0
	s_cmp_lg_u32 s3, 0
	s_cselect_b32 s3, -1, 0
	s_or_b32 s2, s2, s3
	s_delay_alu instid0(SALU_CYCLE_1)
	s_and_b32 vcc_lo, exec_lo, s2
	s_cbranch_vccnz .LBB368_2
; %bb.1:
	s_cmp_lg_u32 s23, 0
	s_cselect_b32 s2, -1, 0
	s_wait_kmcnt 0x0
	s_cmp_neq_f32 s14, 0
	s_cselect_b32 s3, -1, 0
	s_cmp_neq_f32 s15, 0
	s_cselect_b32 s4, -1, 0
	s_delay_alu instid0(SALU_CYCLE_1) | instskip(NEXT) | instid1(SALU_CYCLE_1)
	s_or_b32 s3, s3, s4
	s_and_b32 s2, s2, s3
.LBB368_2:
	s_delay_alu instid0(SALU_CYCLE_1)
	s_and_not1_b32 vcc_lo, exec_lo, s2
	s_cbranch_vccnz .LBB368_37
; %bb.3:
	s_load_b32 s19, s[0:1], 0x60
	s_bfe_u32 s2, ttmp6, 0x40014
	s_lshr_b32 s3, ttmp7, 16
	s_add_co_i32 s2, s2, 1
	s_wait_xcnt 0x0
	s_bfe_u32 s5, ttmp6, 0x40008
	s_mul_i32 s2, s3, s2
	s_getreg_b32 s4, hwreg(HW_REG_IB_STS2, 6, 4)
	s_add_co_i32 s5, s5, s2
	s_cmp_eq_u32 s4, 0
	s_mov_b32 s25, 0
	s_cselect_b32 s24, s3, s5
	s_wait_kmcnt 0x0
	s_cmp_ge_u32 s24, s19
	s_cbranch_scc1 .LBB368_37
; %bb.4:
	s_clause 0x4
	s_load_b32 s2, s[0:1], 0x18
	s_load_b32 s26, s[0:1], 0x30
	s_load_b96 s[16:18], s[0:1], 0x48
	s_load_b128 s[8:11], s[0:1], 0x20
	s_load_b64 s[28:29], s[0:1], 0x58
	s_wait_xcnt 0x0
	s_bfe_u32 s1, ttmp6, 0x4000c
	s_bfe_u32 s3, ttmp6, 0x40010
	v_and_b32_e32 v2, 0x3ff, v0
	v_bfe_u32 v6, v0, 10, 10
	s_and_b32 s31, ttmp7, 0xffff
	s_add_co_i32 s1, s1, 1
	s_add_co_i32 s3, s3, 1
	s_and_b32 s0, ttmp6, 15
	s_bfe_u32 s5, ttmp6, 0x40004
	s_mul_i32 s1, ttmp9, s1
	s_mul_i32 s3, s31, s3
	s_add_co_i32 s0, s0, s1
	s_add_co_i32 s1, s5, s3
	v_lshl_add_u32 v1, v6, 4, v2
	v_mov_b32_e32 v3, 0
	s_wait_kmcnt 0x0
	s_ashr_i32 s3, s2, 31
	s_ashr_i32 s27, s26, 31
	;; [unrolled: 1-line block ×3, first 2 shown]
	s_cmp_eq_u32 s4, 0
	v_dual_lshrrev_b32 v23, 5, v1 :: v_dual_lshrrev_b32 v5, 3, v1
	s_cselect_b32 s1, s31, s1
	s_cselect_b32 s0, ttmp9, s0
	s_lshl_b32 s1, s1, 5
	v_and_b32_e32 v1, 31, v1
	v_dual_add_nc_u32 v12, s1, v5 :: v_dual_bitop2_b32 v0, 7, v0 bitop3:0x40
	s_lshl_b32 s31, s0, 5
	s_cmp_neq_f32 s14, 0
	s_delay_alu instid0(VALU_DEP_1) | instskip(SKIP_2) | instid1(VALU_DEP_3)
	v_dual_lshlrev_b32 v7, 3, v0 :: v_dual_bitop2_b32 v4, s31, v1 bitop3:0x54
	v_dual_mov_b32 v1, v3 :: v_dual_lshlrev_b32 v8, 3, v1
	v_add_nc_u32_e32 v16, s1, v6
	v_cmp_gt_i32_e32 vcc_lo, s22, v4
	s_delay_alu instid0(VALU_DEP_4)
	v_lshl_or_b32 v7, v5, 6, v7
	v_ashrrev_i32_e32 v5, 31, v4
	v_mul_u64_e32 v[14:15], s[26:27], v[0:1]
	v_add_nc_u32_e32 v20, 16, v16
	s_cselect_b32 s0, -1, 0
	s_cmp_neq_f32 s15, 0
	v_mul_u64_e32 v[18:19], s[2:3], v[4:5]
	v_add_nc_u32_e32 v4, s31, v2
	v_lshl_add_u32 v29, v6, 6, 0x800
	v_ashrrev_i32_e32 v21, 31, v20
	s_mov_b32 s4, s18
	s_cselect_b32 s18, -1, 0
	v_dual_add_nc_u32 v6, 16, v4 :: v_dual_ashrrev_i32 v5, 31, v4
	v_ashrrev_i32_e32 v17, 31, v16
	v_lshl_or_b32 v25, v23, 8, v8
	v_add_nc_u32_e32 v1, 0x800, v7
	v_dual_ashrrev_i32 v13, 31, v12 :: v_dual_lshlrev_b32 v27, 3, v2
	v_ashrrev_i32_e32 v7, 31, v6
	v_mul_u64_e32 v[8:9], s[4:5], v[16:17]
	v_lshlrev_b32_e32 v2, 3, v23
	v_mul_u64_e32 v[10:11], s[4:5], v[20:21]
	s_or_b32 s34, s0, s18
	s_cmp_gt_i32 s23, 0
	v_cmp_le_i32_e64 s4, v4, v20
	s_cselect_b32 s35, -1, 0
	s_cmp_neq_f32 s20, 0
	v_cmp_le_i32_e64 s5, v6, v20
	v_cmp_gt_i32_e64 s1, s22, v16
	v_cmp_le_i32_e64 s2, v4, v16
	s_cselect_b32 s3, -1, 0
	s_xor_b32 s18, s30, -1
	v_cmp_gt_i32_e64 s0, s22, v12
	s_or_b32 s18, s3, s18
	v_cmp_gt_i32_e64 s3, s22, v20
	s_and_b32 s30, s1, s2
	v_cmp_le_i32_e64 s2, v6, v16
	s_and_b32 s31, s3, s4
	s_and_b32 s33, s3, s5
	s_lshl_b64 s[4:5], s[12:13], 3
	s_and_b32 s22, s1, s2
	v_lshl_add_u64 v[14:15], v[14:15], 3, s[4:5]
	s_lshl_b64 s[4:5], s[8:9], 3
	s_mov_b32 s2, s20
	v_lshl_add_u64 v[16:17], v[18:19], 3, s[4:5]
	s_mov_b32 s3, s20
	v_lshl_add_u64 v[12:13], v[12:13], 3, v[14:15]
	s_mov_b32 s20, s21
	s_mov_b32 s4, s15
	v_add_nc_u64_e32 v[14:15], v[16:17], v[2:3]
	s_mov_b32 s5, s14
	v_or_b32_e32 v12, 4, v12
	s_lshl_b64 s[8:9], s[26:27], 6
	s_and_b32 s12, s34, s35
	s_xor_b32 s13, vcc_lo, -1
	s_xor_b32 s26, s0, -1
	s_lshl_b64 s[0:1], s[28:29], 3
	s_branch .LBB368_6
.LBB368_5:                              ;   in Loop: Header=BB368_6 Depth=1
	s_wait_xcnt 0x0
	s_or_b32 exec_lo, exec_lo, s27
	s_add_co_i32 s24, s24, 0x10000
	s_delay_alu instid0(SALU_CYCLE_1)
	s_cmp_lt_u32 s24, s19
	s_cbranch_scc0 .LBB368_37
.LBB368_6:                              ; =>This Loop Header: Depth=1
                                        ;     Child Loop BB368_9 Depth 2
	v_dual_mov_b32 v2, s24 :: v_dual_mov_b32 v32, 0
	v_dual_mov_b32 v34, 0 :: v_dual_mov_b32 v28, 0
	;; [unrolled: 1-line block ×3, first 2 shown]
	global_load_b64 v[16:17], v2, s[16:17] scale_offset
	s_wait_xcnt 0x0
	v_dual_mov_b32 v26, 0 :: v_dual_mov_b32 v2, 0
	v_mov_b32_e32 v22, 0
	s_and_not1_b32 vcc_lo, exec_lo, s12
	s_cbranch_vccnz .LBB368_17
; %bb.7:                                ;   in Loop: Header=BB368_6 Depth=1
	s_lshl_b64 s[28:29], s[24:25], 3
	v_dual_mov_b32 v22, 0 :: v_dual_mov_b32 v2, 0
	s_add_nc_u64 s[34:35], s[6:7], s[28:29]
	s_add_nc_u64 s[28:29], s[10:11], s[28:29]
	s_clause 0x1
	global_load_b64 v[18:19], v3, s[34:35]
	global_load_b64 v[20:21], v3, s[28:29]
	v_dual_mov_b32 v26, 0 :: v_dual_mov_b32 v24, 0
	v_dual_mov_b32 v30, 0 :: v_dual_mov_b32 v28, 0
	;; [unrolled: 1-line block ×3, first 2 shown]
	s_mov_b32 s27, 0
	s_wait_loadcnt 0x1
	v_add_nc_u64_e32 v[18:19], v[18:19], v[14:15]
	s_wait_loadcnt 0x0
	v_add_nc_u64_e32 v[20:21], v[20:21], v[12:13]
	s_branch .LBB368_9
.LBB368_8:                              ;   in Loop: Header=BB368_9 Depth=2
	s_wait_xcnt 0x0
	s_or_b32 exec_lo, exec_lo, s28
	ds_store_b32 v1, v31 offset:4
	s_wait_dscnt 0x0
	s_barrier_signal -1
	s_barrier_wait -1
	ds_load_b128 v[36:39], v29
	ds_load_2addr_b64 v[40:43], v27 offset1:16
	ds_load_b128 v[44:47], v29 offset:1024
	ds_load_b128 v[48:51], v29 offset:16
	ds_load_2addr_b64 v[52:55], v27 offset0:32 offset1:48
	ds_load_b128 v[56:59], v29 offset:32
	ds_load_b128 v[60:63], v29 offset:48
	;; [unrolled: 1-line block ×3, first 2 shown]
	v_add_nc_u64_e32 v[18:19], 64, v[18:19]
	v_add_nc_u64_e32 v[20:21], s[8:9], v[20:21]
	s_add_co_i32 s27, s27, 8
	s_delay_alu instid0(SALU_CYCLE_1)
	s_cmp_lt_i32 s27, s23
	s_wait_dscnt 0x6
	v_dual_mul_f32 v31, v37, v41 :: v_dual_mul_f32 v33, v36, v41
	v_dual_mul_f32 v35, v37, v43 :: v_dual_mul_f32 v68, v36, v43
	s_wait_dscnt 0x5
	v_dual_mul_f32 v69, v45, v41 :: v_dual_mul_f32 v41, v44, v41
	v_dual_mul_f32 v70, v45, v43 :: v_dual_mul_f32 v43, v44, v43
	v_dual_fma_f32 v31, v36, v40, -v31 :: v_dual_fmac_f32 v33, v37, v40
	v_dual_fma_f32 v35, v36, v42, -v35 :: v_dual_fmac_f32 v68, v37, v42
	s_delay_alu instid0(VALU_DEP_3) | instskip(NEXT) | instid1(VALU_DEP_3)
	v_dual_fma_f32 v36, v44, v40, -v69 :: v_dual_fma_f32 v37, v44, v42, -v70
	v_dual_fmac_f32 v41, v45, v40 :: v_dual_add_f32 v40, v32, v31
	s_delay_alu instid0(VALU_DEP_3) | instskip(NEXT) | instid1(VALU_DEP_4)
	v_dual_add_f32 v34, v34, v33 :: v_dual_add_f32 v28, v28, v35
	v_add_f32_e32 v35, v30, v68
	s_delay_alu instid0(VALU_DEP_3)
	v_dual_add_f32 v24, v24, v36 :: v_dual_add_f32 v26, v26, v41
	s_wait_dscnt 0x3
	v_mul_f32_e32 v36, v39, v53
	ds_load_2addr_b64 v[30:33], v27 offset0:64 offset1:80
	v_dual_fmac_f32 v43, v45, v42 :: v_dual_add_f32 v2, v2, v37
	v_dual_mul_f32 v37, v38, v53 :: v_dual_fma_f32 v36, v38, v52, -v36
	v_mul_f32_e32 v41, v39, v55
	s_delay_alu instid0(VALU_DEP_2) | instskip(NEXT) | instid1(VALU_DEP_3)
	v_dual_add_f32 v22, v22, v43 :: v_dual_fmac_f32 v37, v39, v52
	v_dual_mul_f32 v42, v38, v55 :: v_dual_add_f32 v40, v40, v36
	s_delay_alu instid0(VALU_DEP_3) | instskip(NEXT) | instid1(VALU_DEP_2)
	v_dual_fma_f32 v36, v38, v54, -v41 :: v_dual_mul_f32 v38, v47, v53
	v_dual_add_f32 v41, v34, v37 :: v_dual_fmac_f32 v42, v39, v54
	s_delay_alu instid0(VALU_DEP_2) | instskip(NEXT) | instid1(VALU_DEP_3)
	v_dual_mul_f32 v34, v46, v53 :: v_dual_add_f32 v28, v28, v36
	v_dual_mul_f32 v37, v47, v55 :: v_dual_fma_f32 v36, v46, v52, -v38
	s_delay_alu instid0(VALU_DEP_3) | instskip(NEXT) | instid1(VALU_DEP_3)
	v_add_f32_e32 v38, v35, v42
	v_dual_fmac_f32 v34, v47, v52 :: v_dual_mul_f32 v39, v46, v55
	s_delay_alu instid0(VALU_DEP_3) | instskip(SKIP_1) | instid1(VALU_DEP_2)
	v_dual_fma_f32 v35, v46, v54, -v37 :: v_dual_add_f32 v24, v24, v36
	s_wait_dscnt 0x0
	v_dual_mul_f32 v36, v49, v31 :: v_dual_add_f32 v26, v26, v34
	s_delay_alu instid0(VALU_DEP_3) | instskip(NEXT) | instid1(VALU_DEP_2)
	v_dual_fmac_f32 v39, v47, v54 :: v_dual_mul_f32 v42, v48, v31
	v_dual_add_f32 v2, v2, v35 :: v_dual_fma_f32 v43, v48, v30, -v36
	v_mul_f32_e32 v44, v49, v33
	ds_load_2addr_b64 v[34:37], v27 offset0:96 offset1:112
	v_dual_fmac_f32 v42, v49, v30 :: v_dual_add_f32 v22, v22, v39
	v_add_f32_e32 v39, v40, v43
	v_dual_fma_f32 v43, v48, v32, -v44 :: v_dual_mul_f32 v40, v48, v33
	s_delay_alu instid0(VALU_DEP_3) | instskip(SKIP_1) | instid1(VALU_DEP_3)
	v_add_f32_e32 v41, v41, v42
	v_dual_mul_f32 v42, v65, v31 :: v_dual_mul_f32 v31, v64, v31
	v_dual_add_f32 v28, v28, v43 :: v_dual_mul_f32 v43, v65, v33
	s_delay_alu instid0(VALU_DEP_2) | instskip(NEXT) | instid1(VALU_DEP_3)
	v_dual_fmac_f32 v40, v49, v32 :: v_dual_fma_f32 v42, v64, v30, -v42
	v_dual_fmac_f32 v31, v65, v30 :: v_dual_mul_f32 v44, v64, v33
	s_delay_alu instid0(VALU_DEP_3) | instskip(NEXT) | instid1(VALU_DEP_3)
	v_fma_f32 v30, v64, v32, -v43
	v_dual_add_f32 v45, v38, v40 :: v_dual_add_f32 v24, v24, v42
	s_delay_alu instid0(VALU_DEP_3) | instskip(SKIP_1) | instid1(VALU_DEP_3)
	v_dual_add_f32 v26, v26, v31 :: v_dual_fmac_f32 v44, v65, v32
	s_wait_dscnt 0x0
	v_dual_mul_f32 v38, v51, v35 :: v_dual_add_f32 v2, v2, v30
	ds_load_2addr_b64 v[30:33], v27 offset0:128 offset1:144
	v_dual_mul_f32 v40, v50, v35 :: v_dual_mul_f32 v42, v51, v37
	v_dual_fma_f32 v38, v50, v34, -v38 :: v_dual_mul_f32 v43, v50, v37
	s_delay_alu instid0(VALU_DEP_2) | instskip(NEXT) | instid1(VALU_DEP_2)
	v_dual_fmac_f32 v40, v51, v34 :: v_dual_add_f32 v22, v22, v44
	v_dual_add_f32 v44, v39, v38 :: v_dual_fma_f32 v42, v50, v36, -v42
	s_delay_alu instid0(VALU_DEP_2) | instskip(NEXT) | instid1(VALU_DEP_4)
	v_dual_mul_f32 v38, v67, v35 :: v_dual_add_f32 v46, v41, v40
	v_dual_fmac_f32 v43, v51, v36 :: v_dual_mul_f32 v35, v66, v35
	s_delay_alu instid0(VALU_DEP_3) | instskip(NEXT) | instid1(VALU_DEP_3)
	v_add_f32_e32 v28, v28, v42
	v_dual_fma_f32 v42, v66, v34, -v38 :: v_dual_mul_f32 v47, v67, v37
	s_delay_alu instid0(VALU_DEP_3)
	v_add_f32_e32 v48, v45, v43
	ds_load_b128 v[38:41], v29 offset:1056
	v_dual_fmac_f32 v35, v67, v34 :: v_dual_mul_f32 v43, v66, v37
	v_dual_fma_f32 v34, v66, v36, -v47 :: v_dual_add_f32 v24, v24, v42
	s_wait_dscnt 0x1
	v_dual_mul_f32 v37, v57, v31 :: v_dual_mul_f32 v47, v56, v31
	s_delay_alu instid0(VALU_DEP_3) | instskip(NEXT) | instid1(VALU_DEP_3)
	v_dual_fmac_f32 v43, v67, v36 :: v_dual_add_f32 v26, v26, v35
	v_add_f32_e32 v2, v2, v34
	s_delay_alu instid0(VALU_DEP_3) | instskip(SKIP_4) | instid1(VALU_DEP_3)
	v_fma_f32 v42, v56, v30, -v37
	ds_load_2addr_b64 v[34:37], v27 offset0:160 offset1:176
	v_dual_mul_f32 v45, v57, v33 :: v_dual_add_f32 v22, v22, v43
	v_dual_fmac_f32 v47, v57, v30 :: v_dual_mul_f32 v50, v56, v33
	v_add_f32_e32 v49, v44, v42
	v_fma_f32 v51, v56, v32, -v45
	ds_load_b128 v[42:45], v29 offset:1072
	v_add_f32_e32 v46, v46, v47
	s_wait_dscnt 0x2
	v_dual_mul_f32 v52, v39, v31 :: v_dual_fmac_f32 v50, v57, v32
	v_mul_f32_e32 v31, v38, v31
	v_dual_add_f32 v28, v28, v51 :: v_dual_mul_f32 v51, v39, v33
	s_delay_alu instid0(VALU_DEP_3) | instskip(NEXT) | instid1(VALU_DEP_4)
	v_fma_f32 v47, v38, v30, -v52
	v_add_f32_e32 v48, v48, v50
	s_delay_alu instid0(VALU_DEP_4) | instskip(NEXT) | instid1(VALU_DEP_3)
	v_dual_fmac_f32 v31, v39, v30 :: v_dual_mul_f32 v50, v38, v33
	v_dual_fma_f32 v30, v38, v32, -v51 :: v_dual_add_f32 v24, v24, v47
	s_wait_dscnt 0x1
	v_dual_mul_f32 v33, v59, v35 :: v_dual_mul_f32 v38, v58, v35
	s_delay_alu instid0(VALU_DEP_3) | instskip(NEXT) | instid1(VALU_DEP_3)
	v_dual_add_f32 v26, v26, v31 :: v_dual_fmac_f32 v50, v39, v32
	v_dual_add_f32 v2, v2, v30 :: v_dual_mul_f32 v47, v59, v37
	s_delay_alu instid0(VALU_DEP_3)
	v_dual_fma_f32 v39, v58, v34, -v33 :: v_dual_fmac_f32 v38, v59, v34
	ds_load_2addr_b64 v[30:33], v27 offset0:192 offset1:208
	v_add_f32_e32 v22, v22, v50
	v_dual_fma_f32 v47, v58, v36, -v47 :: v_dual_add_f32 v49, v49, v39
	v_mul_f32_e32 v39, v58, v37
	v_dual_add_f32 v46, v46, v38 :: v_dual_mul_f32 v38, v41, v35
	v_mul_f32_e32 v35, v40, v35
	s_delay_alu instid0(VALU_DEP_4) | instskip(NEXT) | instid1(VALU_DEP_3)
	v_dual_add_f32 v28, v28, v47 :: v_dual_mul_f32 v47, v41, v37
	v_dual_fmac_f32 v39, v59, v36 :: v_dual_fma_f32 v38, v40, v34, -v38
	s_delay_alu instid0(VALU_DEP_1) | instskip(NEXT) | instid1(VALU_DEP_3)
	v_dual_fmac_f32 v35, v41, v34 :: v_dual_add_f32 v34, v48, v39
	v_dual_mul_f32 v48, v40, v37 :: v_dual_fma_f32 v37, v40, v36, -v47
	s_delay_alu instid0(VALU_DEP_2) | instskip(SKIP_2) | instid1(VALU_DEP_3)
	v_dual_add_f32 v24, v24, v38 :: v_dual_add_f32 v26, v26, v35
	s_wait_dscnt 0x0
	v_mul_f32_e32 v35, v61, v31
	v_dual_fmac_f32 v48, v41, v36 :: v_dual_add_f32 v2, v2, v37
	ds_load_2addr_b64 v[36:39], v27 offset0:224 offset1:240
	v_dual_mul_f32 v40, v60, v31 :: v_dual_fma_f32 v35, v60, v30, -v35
	v_dual_add_f32 v22, v22, v48 :: v_dual_mul_f32 v41, v61, v33
	s_delay_alu instid0(VALU_DEP_2) | instskip(NEXT) | instid1(VALU_DEP_3)
	v_dual_mul_f32 v47, v60, v33 :: v_dual_fmac_f32 v40, v61, v30
	v_add_f32_e32 v35, v49, v35
	s_delay_alu instid0(VALU_DEP_3) | instskip(NEXT) | instid1(VALU_DEP_3)
	v_dual_mul_f32 v48, v43, v31 :: v_dual_fma_f32 v41, v60, v32, -v41
	v_dual_fmac_f32 v47, v61, v32 :: v_dual_mul_f32 v31, v42, v31
	s_delay_alu instid0(VALU_DEP_4) | instskip(NEXT) | instid1(VALU_DEP_3)
	v_add_f32_e32 v40, v46, v40
	v_dual_fma_f32 v46, v42, v30, -v48 :: v_dual_add_f32 v28, v28, v41
	s_delay_alu instid0(VALU_DEP_3) | instskip(NEXT) | instid1(VALU_DEP_4)
	v_dual_mul_f32 v41, v43, v33 :: v_dual_add_f32 v47, v34, v47
	v_dual_fmac_f32 v31, v43, v30 :: v_dual_mul_f32 v30, v42, v33
	s_delay_alu instid0(VALU_DEP_2) | instskip(SKIP_2) | instid1(VALU_DEP_3)
	v_dual_add_f32 v24, v24, v46 :: v_dual_fma_f32 v33, v42, v32, -v41
	s_wait_dscnt 0x0
	v_dual_mul_f32 v34, v63, v37 :: v_dual_mul_f32 v41, v62, v37
	v_dual_add_f32 v26, v26, v31 :: v_dual_fmac_f32 v30, v43, v32
	s_delay_alu instid0(VALU_DEP_3) | instskip(NEXT) | instid1(VALU_DEP_3)
	v_add_f32_e32 v2, v2, v33
	v_dual_fma_f32 v31, v62, v36, -v34 :: v_dual_mul_f32 v33, v63, v39
	s_delay_alu instid0(VALU_DEP_4) | instskip(NEXT) | instid1(VALU_DEP_2)
	v_dual_fmac_f32 v41, v63, v36 :: v_dual_mul_f32 v42, v62, v39
	v_dual_add_f32 v22, v22, v30 :: v_dual_add_f32 v32, v35, v31
	v_mul_f32_e32 v31, v45, v37
	s_delay_alu instid0(VALU_DEP_3) | instskip(NEXT) | instid1(VALU_DEP_4)
	v_dual_add_f32 v34, v40, v41 :: v_dual_fma_f32 v30, v62, v38, -v33
	v_dual_fmac_f32 v42, v63, v38 :: v_dual_mul_f32 v33, v44, v37
	v_dual_mul_f32 v35, v45, v39 :: v_dual_mul_f32 v37, v44, v39
	s_delay_alu instid0(VALU_DEP_3) | instskip(NEXT) | instid1(VALU_DEP_3)
	v_add_f32_e32 v28, v28, v30
	v_dual_fma_f32 v31, v44, v36, -v31 :: v_dual_fmac_f32 v33, v45, v36
	s_delay_alu instid0(VALU_DEP_3) | instskip(NEXT) | instid1(VALU_DEP_2)
	v_dual_fma_f32 v35, v44, v38, -v35 :: v_dual_fmac_f32 v37, v45, v38
	v_dual_add_f32 v30, v47, v42 :: v_dual_add_f32 v24, v24, v31
	s_delay_alu instid0(VALU_DEP_3) | instskip(NEXT) | instid1(VALU_DEP_3)
	v_add_f32_e32 v26, v26, v33
	v_add_f32_e32 v2, v2, v35
	s_delay_alu instid0(VALU_DEP_4)
	v_add_f32_e32 v22, v22, v37
	s_barrier_signal -1
	s_barrier_wait -1
	s_cbranch_scc0 .LBB368_17
.LBB368_9:                              ;   Parent Loop BB368_6 Depth=1
                                        ; =>  This Inner Loop Header: Depth=2
	v_add_nc_u32_e32 v31, s27, v23
	s_delay_alu instid0(VALU_DEP_1) | instskip(SKIP_2) | instid1(SALU_CYCLE_1)
	v_cmp_le_i32_e32 vcc_lo, s23, v31
	s_wait_xcnt 0x0
	s_or_b32 s28, s13, vcc_lo
	s_and_saveexec_b32 s29, s28
	s_delay_alu instid0(SALU_CYCLE_1)
	s_xor_b32 s28, exec_lo, s29
; %bb.10:                               ;   in Loop: Header=BB368_9 Depth=2
	ds_store_b32 v25, v3
; %bb.11:                               ;   in Loop: Header=BB368_9 Depth=2
	s_or_saveexec_b32 s28, s28
	v_mov_b32_e32 v31, 0
	s_xor_b32 exec_lo, exec_lo, s28
	s_cbranch_execz .LBB368_13
; %bb.12:                               ;   in Loop: Header=BB368_9 Depth=2
	flat_load_b64 v[36:37], v[18:19]
	s_wait_loadcnt_dscnt 0x0
	v_xor_b32_e32 v31, 0x80000000, v37
	ds_store_b32 v25, v36
.LBB368_13:                             ;   in Loop: Header=BB368_9 Depth=2
	s_wait_xcnt 0x0
	s_or_b32 exec_lo, exec_lo, s28
	v_add_nc_u32_e32 v33, s27, v0
	ds_store_b32 v25, v31 offset:4
	v_cmp_le_i32_e32 vcc_lo, s23, v33
	s_or_b32 s28, vcc_lo, s26
	s_delay_alu instid0(SALU_CYCLE_1) | instskip(NEXT) | instid1(SALU_CYCLE_1)
	s_and_saveexec_b32 s29, s28
	s_xor_b32 s28, exec_lo, s29
; %bb.14:                               ;   in Loop: Header=BB368_9 Depth=2
	ds_store_b32 v1, v3
; %bb.15:                               ;   in Loop: Header=BB368_9 Depth=2
	s_or_saveexec_b32 s28, s28
	v_mov_b32_e32 v31, 0
	s_xor_b32 exec_lo, exec_lo, s28
	s_cbranch_execz .LBB368_8
; %bb.16:                               ;   in Loop: Header=BB368_9 Depth=2
	flat_load_b64 v[36:37], v[20:21] offset:-4
	s_wait_loadcnt_dscnt 0x0
	v_xor_b32_e32 v31, 0x80000000, v37
	ds_store_b32 v1, v36
	s_branch .LBB368_8
.LBB368_17:                             ;   in Loop: Header=BB368_6 Depth=1
	s_wait_loadcnt 0x0
	v_add_nc_u64_e32 v[16:17], s[0:1], v[16:17]
	s_delay_alu instid0(VALU_DEP_1)
	v_lshl_add_u64 v[18:19], v[8:9], 3, v[16:17]
	s_and_saveexec_b32 s27, s30
	s_cbranch_execz .LBB368_22
; %bb.18:                               ;   in Loop: Header=BB368_6 Depth=1
	v_mov_b64_e32 v[20:21], s[4:5]
	v_mov_b64_e32 v[36:37], s[14:15]
	s_and_b32 vcc_lo, exec_lo, s18
	s_mov_b32 s28, -1
	s_delay_alu instid0(VALU_DEP_2) | instskip(NEXT) | instid1(VALU_DEP_1)
	v_pk_mul_f32 v[20:21], v[34:35], v[20:21] op_sel_hi:[0,1]
	v_pk_fma_f32 v[34:35], v[32:33], v[36:37], v[20:21] op_sel_hi:[0,1,1]
	v_pk_fma_f32 v[20:21], v[32:33], v[36:37], v[20:21] neg_lo:[0,0,1] neg_hi:[0,0,1]
	v_lshl_add_u64 v[32:33], v[4:5], 3, v[18:19]
	s_delay_alu instid0(VALU_DEP_3)
	v_mov_b32_e32 v21, v35
	s_cbranch_vccz .LBB368_20
; %bb.19:                               ;   in Loop: Header=BB368_6 Depth=1
	flat_load_b64 v[34:35], v[32:33]
	v_mov_b64_e32 v[36:37], s[20:21]
	v_mov_b64_e32 v[38:39], s[2:3]
	s_mov_b32 s28, 0
	s_wait_loadcnt_dscnt 0x0
	s_delay_alu instid0(VALU_DEP_2) | instskip(NEXT) | instid1(VALU_DEP_1)
	v_pk_mul_f32 v[36:37], v[34:35], v[36:37]
	v_pk_fma_f32 v[40:41], v[34:35], v[38:39], v[36:37] op_sel:[0,0,1] op_sel_hi:[1,1,0]
	v_pk_fma_f32 v[34:35], v[34:35], v[38:39], v[36:37] op_sel:[0,0,1] op_sel_hi:[1,1,0] neg_lo:[0,0,1] neg_hi:[0,0,1]
	s_delay_alu instid0(VALU_DEP_2) | instskip(NEXT) | instid1(VALU_DEP_1)
	v_mov_b32_e32 v35, v41
	v_pk_add_f32 v[34:35], v[20:21], v[34:35]
	flat_store_b64 v[32:33], v[34:35]
.LBB368_20:                             ;   in Loop: Header=BB368_6 Depth=1
	s_and_not1_b32 vcc_lo, exec_lo, s28
	s_cbranch_vccnz .LBB368_22
; %bb.21:                               ;   in Loop: Header=BB368_6 Depth=1
	flat_store_b64 v[32:33], v[20:21]
.LBB368_22:                             ;   in Loop: Header=BB368_6 Depth=1
	s_wait_xcnt 0x0
	s_or_b32 exec_lo, exec_lo, s27
	s_and_saveexec_b32 s27, s22
	s_cbranch_execz .LBB368_27
; %bb.23:                               ;   in Loop: Header=BB368_6 Depth=1
	v_mov_b64_e32 v[20:21], s[4:5]
	v_mov_b64_e32 v[32:33], s[14:15]
	v_lshl_add_u64 v[18:19], v[6:7], 3, v[18:19]
	s_and_not1_b32 vcc_lo, exec_lo, s18
	s_mov_b32 s28, -1
	s_delay_alu instid0(VALU_DEP_3) | instskip(NEXT) | instid1(VALU_DEP_1)
	v_pk_mul_f32 v[20:21], v[30:31], v[20:21] op_sel_hi:[0,1]
	v_pk_fma_f32 v[30:31], v[28:29], v[32:33], v[20:21] op_sel_hi:[0,1,1]
	v_pk_fma_f32 v[20:21], v[28:29], v[32:33], v[20:21] neg_lo:[0,0,1] neg_hi:[0,0,1]
	s_delay_alu instid0(VALU_DEP_2)
	v_mov_b32_e32 v21, v31
	s_cbranch_vccnz .LBB368_25
; %bb.24:                               ;   in Loop: Header=BB368_6 Depth=1
	flat_load_b64 v[30:31], v[18:19]
	v_mov_b64_e32 v[32:33], s[20:21]
	v_mov_b64_e32 v[34:35], s[2:3]
	s_mov_b32 s28, 0
	s_wait_loadcnt_dscnt 0x0
	s_delay_alu instid0(VALU_DEP_2) | instskip(NEXT) | instid1(VALU_DEP_1)
	v_pk_mul_f32 v[32:33], v[30:31], v[32:33]
	v_pk_fma_f32 v[36:37], v[30:31], v[34:35], v[32:33] op_sel:[0,0,1] op_sel_hi:[1,1,0]
	v_pk_fma_f32 v[30:31], v[30:31], v[34:35], v[32:33] op_sel:[0,0,1] op_sel_hi:[1,1,0] neg_lo:[0,0,1] neg_hi:[0,0,1]
	s_delay_alu instid0(VALU_DEP_2) | instskip(NEXT) | instid1(VALU_DEP_1)
	v_mov_b32_e32 v31, v37
	v_pk_add_f32 v[30:31], v[20:21], v[30:31]
	flat_store_b64 v[18:19], v[30:31]
.LBB368_25:                             ;   in Loop: Header=BB368_6 Depth=1
	s_and_not1_b32 vcc_lo, exec_lo, s28
	s_cbranch_vccnz .LBB368_27
; %bb.26:                               ;   in Loop: Header=BB368_6 Depth=1
	flat_store_b64 v[18:19], v[20:21]
.LBB368_27:                             ;   in Loop: Header=BB368_6 Depth=1
	s_wait_xcnt 0x0
	s_or_b32 exec_lo, exec_lo, s27
	v_lshl_add_u64 v[16:17], v[10:11], 3, v[16:17]
	s_and_saveexec_b32 s27, s31
	s_cbranch_execz .LBB368_32
; %bb.28:                               ;   in Loop: Header=BB368_6 Depth=1
	v_mov_b64_e32 v[18:19], s[4:5]
	v_mov_b64_e32 v[20:21], s[14:15]
	s_and_not1_b32 vcc_lo, exec_lo, s18
	s_mov_b32 s28, -1
	s_delay_alu instid0(VALU_DEP_2) | instskip(NEXT) | instid1(VALU_DEP_1)
	v_pk_mul_f32 v[18:19], v[26:27], v[18:19] op_sel_hi:[0,1]
	v_pk_fma_f32 v[30:31], v[24:25], v[20:21], v[18:19] op_sel_hi:[0,1,1]
	v_pk_fma_f32 v[18:19], v[24:25], v[20:21], v[18:19] neg_lo:[0,0,1] neg_hi:[0,0,1]
	v_lshl_add_u64 v[20:21], v[4:5], 3, v[16:17]
	s_delay_alu instid0(VALU_DEP_3)
	v_mov_b32_e32 v19, v31
	s_cbranch_vccnz .LBB368_30
; %bb.29:                               ;   in Loop: Header=BB368_6 Depth=1
	flat_load_b64 v[30:31], v[20:21]
	v_mov_b64_e32 v[32:33], s[20:21]
	v_mov_b64_e32 v[34:35], s[2:3]
	s_mov_b32 s28, 0
	s_wait_loadcnt_dscnt 0x0
	s_delay_alu instid0(VALU_DEP_2) | instskip(NEXT) | instid1(VALU_DEP_1)
	v_pk_mul_f32 v[32:33], v[30:31], v[32:33]
	v_pk_fma_f32 v[36:37], v[30:31], v[34:35], v[32:33] op_sel:[0,0,1] op_sel_hi:[1,1,0]
	v_pk_fma_f32 v[30:31], v[30:31], v[34:35], v[32:33] op_sel:[0,0,1] op_sel_hi:[1,1,0] neg_lo:[0,0,1] neg_hi:[0,0,1]
	s_delay_alu instid0(VALU_DEP_2) | instskip(NEXT) | instid1(VALU_DEP_1)
	v_mov_b32_e32 v31, v37
	v_pk_add_f32 v[30:31], v[18:19], v[30:31]
	flat_store_b64 v[20:21], v[30:31]
.LBB368_30:                             ;   in Loop: Header=BB368_6 Depth=1
	s_and_not1_b32 vcc_lo, exec_lo, s28
	s_cbranch_vccnz .LBB368_32
; %bb.31:                               ;   in Loop: Header=BB368_6 Depth=1
	flat_store_b64 v[20:21], v[18:19]
.LBB368_32:                             ;   in Loop: Header=BB368_6 Depth=1
	s_wait_xcnt 0x0
	s_or_b32 exec_lo, exec_lo, s27
	s_and_saveexec_b32 s27, s33
	s_cbranch_execz .LBB368_5
; %bb.33:                               ;   in Loop: Header=BB368_6 Depth=1
	v_mov_b64_e32 v[18:19], s[4:5]
	v_mov_b64_e32 v[20:21], s[14:15]
	v_lshl_add_u64 v[16:17], v[6:7], 3, v[16:17]
	s_and_not1_b32 vcc_lo, exec_lo, s18
	s_mov_b32 s28, -1
	s_delay_alu instid0(VALU_DEP_3) | instskip(NEXT) | instid1(VALU_DEP_1)
	v_pk_mul_f32 v[18:19], v[22:23], v[18:19] op_sel_hi:[0,1]
	v_pk_fma_f32 v[30:31], v[2:3], v[20:21], v[18:19] op_sel_hi:[0,1,1]
	v_pk_fma_f32 v[18:19], v[2:3], v[20:21], v[18:19] neg_lo:[0,0,1] neg_hi:[0,0,1]
	s_delay_alu instid0(VALU_DEP_2)
	v_mov_b32_e32 v19, v31
	s_cbranch_vccnz .LBB368_35
; %bb.34:                               ;   in Loop: Header=BB368_6 Depth=1
	flat_load_b64 v[20:21], v[16:17]
	v_mov_b64_e32 v[30:31], s[20:21]
	v_mov_b64_e32 v[32:33], s[2:3]
	s_mov_b32 s28, 0
	s_wait_loadcnt_dscnt 0x0
	s_delay_alu instid0(VALU_DEP_2) | instskip(NEXT) | instid1(VALU_DEP_1)
	v_pk_mul_f32 v[30:31], v[20:21], v[30:31]
	v_pk_fma_f32 v[34:35], v[20:21], v[32:33], v[30:31] op_sel:[0,0,1] op_sel_hi:[1,1,0]
	v_pk_fma_f32 v[20:21], v[20:21], v[32:33], v[30:31] op_sel:[0,0,1] op_sel_hi:[1,1,0] neg_lo:[0,0,1] neg_hi:[0,0,1]
	s_delay_alu instid0(VALU_DEP_2) | instskip(NEXT) | instid1(VALU_DEP_1)
	v_mov_b32_e32 v21, v35
	v_pk_add_f32 v[20:21], v[18:19], v[20:21]
	flat_store_b64 v[16:17], v[20:21]
.LBB368_35:                             ;   in Loop: Header=BB368_6 Depth=1
	s_and_not1_b32 vcc_lo, exec_lo, s28
	s_cbranch_vccnz .LBB368_5
; %bb.36:                               ;   in Loop: Header=BB368_6 Depth=1
	flat_store_b64 v[16:17], v[18:19]
	s_branch .LBB368_5
.LBB368_37:
	s_sendmsg sendmsg(MSG_DEALLOC_VGPRS)
	s_endpgm
	.section	.rodata,"a",@progbits
	.p2align	6, 0x0
	.amdhsa_kernel _ZL29rocblas_internal_gemmt_kernelIiLi16ELi32ELi8ELc67ELc67ELc85ELb1ELb1E19rocblas_complex_numIfEPKS1_PKS3_PKPS1_EviT_T9_T10_S9_lSB_S9_lSA_T11_S9_li
		.amdhsa_group_segment_fixed_size 4096
		.amdhsa_private_segment_fixed_size 0
		.amdhsa_kernarg_size 100
		.amdhsa_user_sgpr_count 2
		.amdhsa_user_sgpr_dispatch_ptr 0
		.amdhsa_user_sgpr_queue_ptr 0
		.amdhsa_user_sgpr_kernarg_segment_ptr 1
		.amdhsa_user_sgpr_dispatch_id 0
		.amdhsa_user_sgpr_kernarg_preload_length 0
		.amdhsa_user_sgpr_kernarg_preload_offset 0
		.amdhsa_user_sgpr_private_segment_size 0
		.amdhsa_wavefront_size32 1
		.amdhsa_uses_dynamic_stack 0
		.amdhsa_enable_private_segment 0
		.amdhsa_system_sgpr_workgroup_id_x 1
		.amdhsa_system_sgpr_workgroup_id_y 1
		.amdhsa_system_sgpr_workgroup_id_z 1
		.amdhsa_system_sgpr_workgroup_info 0
		.amdhsa_system_vgpr_workitem_id 1
		.amdhsa_next_free_vgpr 71
		.amdhsa_next_free_sgpr 36
		.amdhsa_named_barrier_count 0
		.amdhsa_reserve_vcc 1
		.amdhsa_float_round_mode_32 0
		.amdhsa_float_round_mode_16_64 0
		.amdhsa_float_denorm_mode_32 3
		.amdhsa_float_denorm_mode_16_64 3
		.amdhsa_fp16_overflow 0
		.amdhsa_memory_ordered 1
		.amdhsa_forward_progress 1
		.amdhsa_inst_pref_size 26
		.amdhsa_round_robin_scheduling 0
		.amdhsa_exception_fp_ieee_invalid_op 0
		.amdhsa_exception_fp_denorm_src 0
		.amdhsa_exception_fp_ieee_div_zero 0
		.amdhsa_exception_fp_ieee_overflow 0
		.amdhsa_exception_fp_ieee_underflow 0
		.amdhsa_exception_fp_ieee_inexact 0
		.amdhsa_exception_int_div_zero 0
	.end_amdhsa_kernel
	.section	.text._ZL29rocblas_internal_gemmt_kernelIiLi16ELi32ELi8ELc67ELc67ELc85ELb1ELb1E19rocblas_complex_numIfEPKS1_PKS3_PKPS1_EviT_T9_T10_S9_lSB_S9_lSA_T11_S9_li,"axG",@progbits,_ZL29rocblas_internal_gemmt_kernelIiLi16ELi32ELi8ELc67ELc67ELc85ELb1ELb1E19rocblas_complex_numIfEPKS1_PKS3_PKPS1_EviT_T9_T10_S9_lSB_S9_lSA_T11_S9_li,comdat
.Lfunc_end368:
	.size	_ZL29rocblas_internal_gemmt_kernelIiLi16ELi32ELi8ELc67ELc67ELc85ELb1ELb1E19rocblas_complex_numIfEPKS1_PKS3_PKPS1_EviT_T9_T10_S9_lSB_S9_lSA_T11_S9_li, .Lfunc_end368-_ZL29rocblas_internal_gemmt_kernelIiLi16ELi32ELi8ELc67ELc67ELc85ELb1ELb1E19rocblas_complex_numIfEPKS1_PKS3_PKPS1_EviT_T9_T10_S9_lSB_S9_lSA_T11_S9_li
                                        ; -- End function
	.set _ZL29rocblas_internal_gemmt_kernelIiLi16ELi32ELi8ELc67ELc67ELc85ELb1ELb1E19rocblas_complex_numIfEPKS1_PKS3_PKPS1_EviT_T9_T10_S9_lSB_S9_lSA_T11_S9_li.num_vgpr, 71
	.set _ZL29rocblas_internal_gemmt_kernelIiLi16ELi32ELi8ELc67ELc67ELc85ELb1ELb1E19rocblas_complex_numIfEPKS1_PKS3_PKPS1_EviT_T9_T10_S9_lSB_S9_lSA_T11_S9_li.num_agpr, 0
	.set _ZL29rocblas_internal_gemmt_kernelIiLi16ELi32ELi8ELc67ELc67ELc85ELb1ELb1E19rocblas_complex_numIfEPKS1_PKS3_PKPS1_EviT_T9_T10_S9_lSB_S9_lSA_T11_S9_li.numbered_sgpr, 36
	.set _ZL29rocblas_internal_gemmt_kernelIiLi16ELi32ELi8ELc67ELc67ELc85ELb1ELb1E19rocblas_complex_numIfEPKS1_PKS3_PKPS1_EviT_T9_T10_S9_lSB_S9_lSA_T11_S9_li.num_named_barrier, 0
	.set _ZL29rocblas_internal_gemmt_kernelIiLi16ELi32ELi8ELc67ELc67ELc85ELb1ELb1E19rocblas_complex_numIfEPKS1_PKS3_PKPS1_EviT_T9_T10_S9_lSB_S9_lSA_T11_S9_li.private_seg_size, 0
	.set _ZL29rocblas_internal_gemmt_kernelIiLi16ELi32ELi8ELc67ELc67ELc85ELb1ELb1E19rocblas_complex_numIfEPKS1_PKS3_PKPS1_EviT_T9_T10_S9_lSB_S9_lSA_T11_S9_li.uses_vcc, 1
	.set _ZL29rocblas_internal_gemmt_kernelIiLi16ELi32ELi8ELc67ELc67ELc85ELb1ELb1E19rocblas_complex_numIfEPKS1_PKS3_PKPS1_EviT_T9_T10_S9_lSB_S9_lSA_T11_S9_li.uses_flat_scratch, 0
	.set _ZL29rocblas_internal_gemmt_kernelIiLi16ELi32ELi8ELc67ELc67ELc85ELb1ELb1E19rocblas_complex_numIfEPKS1_PKS3_PKPS1_EviT_T9_T10_S9_lSB_S9_lSA_T11_S9_li.has_dyn_sized_stack, 0
	.set _ZL29rocblas_internal_gemmt_kernelIiLi16ELi32ELi8ELc67ELc67ELc85ELb1ELb1E19rocblas_complex_numIfEPKS1_PKS3_PKPS1_EviT_T9_T10_S9_lSB_S9_lSA_T11_S9_li.has_recursion, 0
	.set _ZL29rocblas_internal_gemmt_kernelIiLi16ELi32ELi8ELc67ELc67ELc85ELb1ELb1E19rocblas_complex_numIfEPKS1_PKS3_PKPS1_EviT_T9_T10_S9_lSB_S9_lSA_T11_S9_li.has_indirect_call, 0
	.section	.AMDGPU.csdata,"",@progbits
; Kernel info:
; codeLenInByte = 3324
; TotalNumSgprs: 38
; NumVgprs: 71
; ScratchSize: 0
; MemoryBound: 0
; FloatMode: 240
; IeeeMode: 1
; LDSByteSize: 4096 bytes/workgroup (compile time only)
; SGPRBlocks: 0
; VGPRBlocks: 4
; NumSGPRsForWavesPerEU: 38
; NumVGPRsForWavesPerEU: 71
; NamedBarCnt: 0
; Occupancy: 12
; WaveLimiterHint : 1
; COMPUTE_PGM_RSRC2:SCRATCH_EN: 0
; COMPUTE_PGM_RSRC2:USER_SGPR: 2
; COMPUTE_PGM_RSRC2:TRAP_HANDLER: 0
; COMPUTE_PGM_RSRC2:TGID_X_EN: 1
; COMPUTE_PGM_RSRC2:TGID_Y_EN: 1
; COMPUTE_PGM_RSRC2:TGID_Z_EN: 1
; COMPUTE_PGM_RSRC2:TIDIG_COMP_CNT: 1
	.section	.text._ZL29rocblas_internal_gemmt_kernelIiLi16ELi32ELi8ELc78ELc78ELc76ELb0ELb0E19rocblas_complex_numIfEPKS1_PKS3_PKPS1_EviT_T9_T10_S9_lSB_S9_lSA_T11_S9_li,"axG",@progbits,_ZL29rocblas_internal_gemmt_kernelIiLi16ELi32ELi8ELc78ELc78ELc76ELb0ELb0E19rocblas_complex_numIfEPKS1_PKS3_PKPS1_EviT_T9_T10_S9_lSB_S9_lSA_T11_S9_li,comdat
	.globl	_ZL29rocblas_internal_gemmt_kernelIiLi16ELi32ELi8ELc78ELc78ELc76ELb0ELb0E19rocblas_complex_numIfEPKS1_PKS3_PKPS1_EviT_T9_T10_S9_lSB_S9_lSA_T11_S9_li ; -- Begin function _ZL29rocblas_internal_gemmt_kernelIiLi16ELi32ELi8ELc78ELc78ELc76ELb0ELb0E19rocblas_complex_numIfEPKS1_PKS3_PKPS1_EviT_T9_T10_S9_lSB_S9_lSA_T11_S9_li
	.p2align	8
	.type	_ZL29rocblas_internal_gemmt_kernelIiLi16ELi32ELi8ELc78ELc78ELc76ELb0ELb0E19rocblas_complex_numIfEPKS1_PKS3_PKPS1_EviT_T9_T10_S9_lSB_S9_lSA_T11_S9_li,@function
_ZL29rocblas_internal_gemmt_kernelIiLi16ELi32ELi8ELc78ELc78ELc76ELb0ELb0E19rocblas_complex_numIfEPKS1_PKS3_PKPS1_EviT_T9_T10_S9_lSB_S9_lSA_T11_S9_li: ; @_ZL29rocblas_internal_gemmt_kernelIiLi16ELi32ELi8ELc78ELc78ELc76ELb0ELb0E19rocblas_complex_numIfEPKS1_PKS3_PKPS1_EviT_T9_T10_S9_lSB_S9_lSA_T11_S9_li
; %bb.0:
	s_load_b128 s[12:15], s[0:1], 0x38
	s_wait_kmcnt 0x0
	s_load_b64 s[20:21], s[14:15], 0x0
	s_clause 0x1
	s_load_b128 s[4:7], s[0:1], 0x8
	s_load_b64 s[22:23], s[0:1], 0x0
	s_wait_kmcnt 0x0
	s_cmp_neq_f32 s20, 1.0
	s_load_b64 s[14:15], s[4:5], 0x0
	s_cselect_b32 s2, -1, 0
	s_and_b32 s3, s21, 0x7fffffff
	s_delay_alu instid0(SALU_CYCLE_1) | instskip(SKIP_3) | instid1(SALU_CYCLE_1)
	s_cmp_eq_u32 s3, 0
	s_cselect_b32 s30, -1, 0
	s_cmp_lg_u32 s3, 0
	s_cselect_b32 s3, -1, 0
	s_or_b32 s2, s2, s3
	s_delay_alu instid0(SALU_CYCLE_1)
	s_and_b32 vcc_lo, exec_lo, s2
	s_cbranch_vccnz .LBB369_2
; %bb.1:
	s_cmp_lg_u32 s23, 0
	s_cselect_b32 s2, -1, 0
	s_wait_kmcnt 0x0
	s_cmp_neq_f32 s14, 0
	s_cselect_b32 s3, -1, 0
	s_cmp_neq_f32 s15, 0
	s_cselect_b32 s4, -1, 0
	s_delay_alu instid0(SALU_CYCLE_1) | instskip(NEXT) | instid1(SALU_CYCLE_1)
	s_or_b32 s3, s3, s4
	s_and_b32 s2, s2, s3
.LBB369_2:
	s_delay_alu instid0(SALU_CYCLE_1)
	s_and_not1_b32 vcc_lo, exec_lo, s2
	s_cbranch_vccnz .LBB369_33
; %bb.3:
	s_load_b32 s19, s[0:1], 0x60
	s_bfe_u32 s2, ttmp6, 0x40014
	s_lshr_b32 s3, ttmp7, 16
	s_add_co_i32 s2, s2, 1
	s_wait_xcnt 0x0
	s_bfe_u32 s5, ttmp6, 0x40008
	s_mul_i32 s2, s3, s2
	s_getreg_b32 s4, hwreg(HW_REG_IB_STS2, 6, 4)
	s_add_co_i32 s5, s5, s2
	s_cmp_eq_u32 s4, 0
	s_mov_b32 s25, 0
	s_cselect_b32 s24, s3, s5
	s_wait_kmcnt 0x0
	s_cmp_ge_u32 s24, s19
	s_cbranch_scc1 .LBB369_33
; %bb.4:
	s_clause 0x3
	s_load_b32 s26, s[0:1], 0x18
	s_load_b32 s2, s[0:1], 0x30
	s_load_b96 s[16:18], s[0:1], 0x48
	s_load_b128 s[8:11], s[0:1], 0x20
	v_and_b32_e32 v4, 0x3ff, v0
	v_bfe_u32 v7, v0, 10, 10
	s_load_b64 s[28:29], s[0:1], 0x58
	s_wait_xcnt 0x0
	s_bfe_u32 s1, ttmp6, 0x4000c
	s_bfe_u32 s3, ttmp6, 0x40010
	s_and_b32 s31, ttmp7, 0xffff
	s_add_co_i32 s1, s1, 1
	s_add_co_i32 s3, s3, 1
	v_lshl_add_u32 v1, v7, 4, v4
	s_and_b32 s0, ttmp6, 15
	s_bfe_u32 s5, ttmp6, 0x40004
	s_mul_i32 s1, ttmp9, s1
	s_mul_i32 s3, s31, s3
	s_add_co_i32 s0, s0, s1
	s_add_co_i32 s1, s5, s3
	v_dual_lshrrev_b32 v2, 5, v1 :: v_dual_lshrrev_b32 v5, 3, v1
	s_wait_kmcnt 0x0
	s_ashr_i32 s27, s26, 31
	s_ashr_i32 s3, s2, 31
	;; [unrolled: 1-line block ×3, first 2 shown]
	s_cmp_eq_u32 s4, 0
	v_dual_mov_b32 v3, 0 :: v_dual_bitop2_b32 v1, 31, v1 bitop3:0x40
	s_cselect_b32 s0, ttmp9, s0
	s_cselect_b32 s1, s31, s1
	s_lshl_b32 s31, s0, 5
	s_lshl_b32 s1, s1, 5
	s_delay_alu instid0(SALU_CYCLE_1) | instskip(SKIP_2) | instid1(VALU_DEP_3)
	v_dual_add_nc_u32 v0, s1, v5 :: v_dual_bitop2_b32 v21, 7, v0 bitop3:0x40
	v_dual_lshlrev_b32 v1, 3, v1 :: v_dual_bitop2_b32 v10, s31, v1 bitop3:0x54
	v_dual_add_nc_u32 v16, s1, v7 :: v_dual_lshlrev_b32 v27, 3, v4
	v_lshlrev_b32_e32 v12, 3, v21
	v_mul_u64_e32 v[14:15], s[26:27], v[2:3]
	s_delay_alu instid0(VALU_DEP_4) | instskip(SKIP_4) | instid1(VALU_DEP_3)
	v_lshl_or_b32 v23, v2, 8, v1
	v_ashrrev_i32_e32 v1, 31, v0
	v_dual_add_nc_u32 v28, 16, v16 :: v_dual_ashrrev_i32 v17, 31, v16
	s_cmp_neq_f32 s14, 0
	v_lshl_or_b32 v5, v5, 6, v12
	v_mul_u64_e32 v[18:19], s[2:3], v[0:1]
	s_delay_alu instid0(VALU_DEP_3)
	v_dual_ashrrev_i32 v29, 31, v28 :: v_dual_ashrrev_i32 v11, 31, v10
	s_cselect_b32 s0, -1, 0
	s_cmp_neq_f32 s15, 0
	s_mov_b32 s4, s18
	v_cmp_gt_i32_e64 s1, s22, v0
	v_add_nc_u32_e32 v25, 0x800, v5
	s_cselect_b32 s18, -1, 0
	v_add_nc_u32_e32 v0, s31, v4
	v_mul_u64_e32 v[4:5], s[4:5], v[16:17]
	v_mul_u64_e32 v[8:9], s[4:5], v[28:29]
	s_or_b32 s34, s0, s18
	s_cmp_gt_i32 s23, 0
	v_add_nc_u32_e32 v6, 16, v0
	s_cselect_b32 s35, -1, 0
	s_cmp_neq_f32 s20, 0
	v_lshl_add_u32 v29, v7, 6, 0x800
	s_delay_alu instid0(VALU_DEP_2)
	v_dual_mov_b32 v13, v3 :: v_dual_ashrrev_i32 v7, 31, v6
	s_cselect_b32 s3, -1, 0
	s_xor_b32 s18, s30, -1
	v_ashrrev_i32_e32 v1, 31, v0
	s_or_b32 s18, s3, s18
	v_cmp_le_i32_e64 s3, v16, v6
	v_cmp_gt_i32_e64 s4, s22, v6
	v_cmp_le_i32_e64 s5, v28, v6
	v_cmp_le_i32_e32 vcc_lo, v16, v0
	v_cmp_gt_i32_e64 s2, s22, v0
	v_cmp_gt_i32_e64 s0, s22, v10
	s_and_b32 s30, s3, s4
	s_and_b32 s33, s5, s4
	s_lshl_b64 s[4:5], s[8:9], 3
	s_and_b32 s22, vcc_lo, s2
	v_lshl_add_u64 v[14:15], v[14:15], 3, s[4:5]
	s_lshl_b64 s[4:5], s[12:13], 3
	v_cmp_le_i32_e32 vcc_lo, v28, v0
	v_lshl_add_u64 v[16:17], v[18:19], 3, s[4:5]
	s_mov_b32 s3, s20
	v_lshl_add_u64 v[10:11], v[10:11], 3, v[14:15]
	s_mov_b32 s4, s15
	s_and_b32 s31, vcc_lo, s2
	v_add_nc_u64_e32 v[12:13], v[16:17], v[12:13]
	s_mov_b32 s2, s20
	s_mov_b32 s20, s21
	s_and_b32 s34, s34, s35
	s_mov_b32 s5, s14
	s_lshl_b64 s[8:9], s[26:27], 6
	s_lshl_b64 s[12:13], s[28:29], 3
	s_branch .LBB369_6
.LBB369_5:                              ;   in Loop: Header=BB369_6 Depth=1
	s_wait_xcnt 0x0
	s_or_b32 exec_lo, exec_lo, s26
	s_add_co_i32 s24, s24, 0x10000
	s_delay_alu instid0(SALU_CYCLE_1)
	s_cmp_lt_u32 s24, s19
	s_cbranch_scc0 .LBB369_33
.LBB369_6:                              ; =>This Loop Header: Depth=1
                                        ;     Child Loop BB369_9 Depth 2
	v_dual_mov_b32 v14, s24 :: v_dual_mov_b32 v32, 0
	v_dual_mov_b32 v34, 0 :: v_dual_mov_b32 v28, 0
	v_dual_mov_b32 v30, 0 :: v_dual_mov_b32 v24, 0
	global_load_b64 v[14:15], v14, s[16:17] scale_offset
	v_dual_mov_b32 v26, 0 :: v_dual_mov_b32 v20, 0
	v_mov_b32_e32 v22, 0
	s_and_not1_b32 vcc_lo, exec_lo, s34
	s_cbranch_vccnz .LBB369_13
; %bb.7:                                ;   in Loop: Header=BB369_6 Depth=1
	s_lshl_b64 s[26:27], s[24:25], 3
	v_dual_mov_b32 v22, 0 :: v_dual_mov_b32 v20, 0
	s_add_nc_u64 s[28:29], s[6:7], s[26:27]
	s_add_nc_u64 s[26:27], s[10:11], s[26:27]
	s_clause 0x1
	global_load_b64 v[16:17], v3, s[28:29]
	global_load_b64 v[18:19], v3, s[26:27]
	v_dual_mov_b32 v26, 0 :: v_dual_mov_b32 v24, 0
	v_dual_mov_b32 v30, 0 :: v_dual_mov_b32 v28, 0
	;; [unrolled: 1-line block ×3, first 2 shown]
	s_wait_xcnt 0x0
	s_mov_b32 s26, 0
	s_wait_loadcnt 0x1
	v_add_nc_u64_e32 v[16:17], v[16:17], v[10:11]
	s_wait_loadcnt 0x0
	v_add_nc_u64_e32 v[18:19], v[18:19], v[12:13]
	s_branch .LBB369_9
.LBB369_8:                              ;   in Loop: Header=BB369_9 Depth=2
	s_wait_xcnt 0x0
	s_or_b32 exec_lo, exec_lo, s27
	s_wait_loadcnt_dscnt 0x0
	ds_store_b64 v25, v[38:39]
	s_wait_dscnt 0x0
	s_barrier_signal -1
	s_barrier_wait -1
	ds_load_b128 v[36:39], v29
	ds_load_2addr_b64 v[40:43], v27 offset1:16
	ds_load_b128 v[44:47], v29 offset:1024
	ds_load_b128 v[48:51], v29 offset:16
	ds_load_2addr_b64 v[52:55], v27 offset0:32 offset1:48
	ds_load_b128 v[56:59], v29 offset:32
	ds_load_b128 v[60:63], v29 offset:48
	;; [unrolled: 1-line block ×3, first 2 shown]
	v_add_nc_u64_e32 v[16:17], s[8:9], v[16:17]
	v_add_nc_u64_e32 v[18:19], 64, v[18:19]
	s_add_co_i32 s26, s26, 8
	s_delay_alu instid0(SALU_CYCLE_1)
	s_cmp_lt_i32 s26, s23
	s_wait_dscnt 0x6
	v_dual_mul_f32 v31, v37, v41 :: v_dual_mul_f32 v33, v36, v41
	v_dual_mul_f32 v35, v37, v43 :: v_dual_mul_f32 v68, v36, v43
	s_wait_dscnt 0x5
	v_dual_mul_f32 v69, v45, v41 :: v_dual_mul_f32 v41, v44, v41
	v_dual_mul_f32 v70, v45, v43 :: v_dual_mul_f32 v43, v44, v43
	v_dual_fma_f32 v31, v36, v40, -v31 :: v_dual_fmac_f32 v33, v37, v40
	v_dual_fma_f32 v35, v36, v42, -v35 :: v_dual_fmac_f32 v68, v37, v42
	s_delay_alu instid0(VALU_DEP_3) | instskip(NEXT) | instid1(VALU_DEP_3)
	v_dual_fma_f32 v36, v44, v40, -v69 :: v_dual_fma_f32 v37, v44, v42, -v70
	v_dual_fmac_f32 v41, v45, v40 :: v_dual_add_f32 v40, v32, v31
	s_delay_alu instid0(VALU_DEP_3) | instskip(NEXT) | instid1(VALU_DEP_4)
	v_dual_add_f32 v34, v34, v33 :: v_dual_add_f32 v28, v28, v35
	v_add_f32_e32 v35, v30, v68
	s_delay_alu instid0(VALU_DEP_3)
	v_dual_add_f32 v24, v24, v36 :: v_dual_add_f32 v26, v26, v41
	s_wait_dscnt 0x3
	v_mul_f32_e32 v36, v39, v53
	ds_load_2addr_b64 v[30:33], v27 offset0:64 offset1:80
	v_dual_fmac_f32 v43, v45, v42 :: v_dual_add_f32 v20, v20, v37
	v_dual_mul_f32 v37, v38, v53 :: v_dual_fma_f32 v36, v38, v52, -v36
	v_mul_f32_e32 v41, v39, v55
	s_delay_alu instid0(VALU_DEP_2) | instskip(NEXT) | instid1(VALU_DEP_3)
	v_dual_add_f32 v22, v22, v43 :: v_dual_fmac_f32 v37, v39, v52
	v_dual_mul_f32 v42, v38, v55 :: v_dual_add_f32 v40, v40, v36
	s_delay_alu instid0(VALU_DEP_3) | instskip(NEXT) | instid1(VALU_DEP_2)
	v_dual_fma_f32 v36, v38, v54, -v41 :: v_dual_mul_f32 v38, v47, v53
	v_dual_add_f32 v41, v34, v37 :: v_dual_fmac_f32 v42, v39, v54
	s_delay_alu instid0(VALU_DEP_2) | instskip(NEXT) | instid1(VALU_DEP_3)
	v_dual_mul_f32 v34, v46, v53 :: v_dual_add_f32 v28, v28, v36
	v_dual_mul_f32 v37, v47, v55 :: v_dual_fma_f32 v36, v46, v52, -v38
	s_delay_alu instid0(VALU_DEP_3) | instskip(NEXT) | instid1(VALU_DEP_3)
	v_add_f32_e32 v38, v35, v42
	v_dual_fmac_f32 v34, v47, v52 :: v_dual_mul_f32 v39, v46, v55
	s_delay_alu instid0(VALU_DEP_3) | instskip(SKIP_1) | instid1(VALU_DEP_2)
	v_dual_fma_f32 v35, v46, v54, -v37 :: v_dual_add_f32 v24, v24, v36
	s_wait_dscnt 0x0
	v_dual_mul_f32 v36, v49, v31 :: v_dual_add_f32 v26, v26, v34
	s_delay_alu instid0(VALU_DEP_3) | instskip(NEXT) | instid1(VALU_DEP_3)
	v_dual_fmac_f32 v39, v47, v54 :: v_dual_mul_f32 v42, v48, v31
	v_dual_add_f32 v20, v20, v35 :: v_dual_mul_f32 v44, v49, v33
	s_delay_alu instid0(VALU_DEP_3) | instskip(SKIP_4) | instid1(VALU_DEP_3)
	v_fma_f32 v43, v48, v30, -v36
	ds_load_2addr_b64 v[34:37], v27 offset0:96 offset1:112
	v_dual_fmac_f32 v42, v49, v30 :: v_dual_add_f32 v22, v22, v39
	v_add_f32_e32 v39, v40, v43
	v_dual_fma_f32 v43, v48, v32, -v44 :: v_dual_mul_f32 v40, v48, v33
	v_add_f32_e32 v41, v41, v42
	v_dual_mul_f32 v42, v65, v31 :: v_dual_mul_f32 v31, v64, v31
	s_delay_alu instid0(VALU_DEP_3) | instskip(NEXT) | instid1(VALU_DEP_2)
	v_dual_add_f32 v28, v28, v43 :: v_dual_mul_f32 v43, v65, v33
	v_dual_fmac_f32 v40, v49, v32 :: v_dual_fma_f32 v42, v64, v30, -v42
	s_delay_alu instid0(VALU_DEP_3) | instskip(NEXT) | instid1(VALU_DEP_3)
	v_dual_fmac_f32 v31, v65, v30 :: v_dual_mul_f32 v44, v64, v33
	v_fma_f32 v30, v64, v32, -v43
	s_delay_alu instid0(VALU_DEP_3) | instskip(NEXT) | instid1(VALU_DEP_3)
	v_dual_add_f32 v45, v38, v40 :: v_dual_add_f32 v24, v24, v42
	v_dual_add_f32 v26, v26, v31 :: v_dual_fmac_f32 v44, v65, v32
	s_wait_dscnt 0x0
	s_delay_alu instid0(VALU_DEP_3) | instskip(SKIP_3) | instid1(VALU_DEP_2)
	v_dual_mul_f32 v38, v51, v35 :: v_dual_add_f32 v20, v20, v30
	ds_load_2addr_b64 v[30:33], v27 offset0:128 offset1:144
	v_dual_mul_f32 v40, v50, v35 :: v_dual_mul_f32 v42, v51, v37
	v_dual_fma_f32 v38, v50, v34, -v38 :: v_dual_mul_f32 v43, v50, v37
	v_dual_fmac_f32 v40, v51, v34 :: v_dual_add_f32 v22, v22, v44
	s_delay_alu instid0(VALU_DEP_2) | instskip(NEXT) | instid1(VALU_DEP_2)
	v_dual_add_f32 v44, v39, v38 :: v_dual_fma_f32 v42, v50, v36, -v42
	v_dual_mul_f32 v38, v67, v35 :: v_dual_add_f32 v46, v41, v40
	s_delay_alu instid0(VALU_DEP_4) | instskip(NEXT) | instid1(VALU_DEP_3)
	v_dual_fmac_f32 v43, v51, v36 :: v_dual_mul_f32 v35, v66, v35
	v_add_f32_e32 v28, v28, v42
	s_delay_alu instid0(VALU_DEP_3) | instskip(NEXT) | instid1(VALU_DEP_3)
	v_dual_fma_f32 v42, v66, v34, -v38 :: v_dual_mul_f32 v47, v67, v37
	v_add_f32_e32 v48, v45, v43
	ds_load_b128 v[38:41], v29 offset:1056
	v_dual_fmac_f32 v35, v67, v34 :: v_dual_mul_f32 v43, v66, v37
	v_dual_fma_f32 v34, v66, v36, -v47 :: v_dual_add_f32 v24, v24, v42
	s_wait_dscnt 0x1
	v_mul_f32_e32 v37, v57, v31
	s_delay_alu instid0(VALU_DEP_3) | instskip(NEXT) | instid1(VALU_DEP_3)
	v_dual_add_f32 v26, v26, v35 :: v_dual_fmac_f32 v43, v67, v36
	v_add_f32_e32 v20, v20, v34
	s_delay_alu instid0(VALU_DEP_3) | instskip(SKIP_4) | instid1(VALU_DEP_3)
	v_dual_mul_f32 v47, v56, v31 :: v_dual_fma_f32 v42, v56, v30, -v37
	ds_load_2addr_b64 v[34:37], v27 offset0:160 offset1:176
	v_dual_mul_f32 v45, v57, v33 :: v_dual_add_f32 v22, v22, v43
	v_dual_fmac_f32 v47, v57, v30 :: v_dual_mul_f32 v50, v56, v33
	v_add_f32_e32 v49, v44, v42
	v_fma_f32 v51, v56, v32, -v45
	ds_load_b128 v[42:45], v29 offset:1072
	v_add_f32_e32 v46, v46, v47
	s_wait_dscnt 0x2
	v_dual_mul_f32 v52, v39, v31 :: v_dual_fmac_f32 v50, v57, v32
	v_mul_f32_e32 v31, v38, v31
	v_dual_add_f32 v28, v28, v51 :: v_dual_mul_f32 v51, v39, v33
	s_delay_alu instid0(VALU_DEP_3) | instskip(NEXT) | instid1(VALU_DEP_4)
	v_fma_f32 v47, v38, v30, -v52
	v_add_f32_e32 v48, v48, v50
	s_delay_alu instid0(VALU_DEP_4) | instskip(NEXT) | instid1(VALU_DEP_3)
	v_dual_fmac_f32 v31, v39, v30 :: v_dual_mul_f32 v50, v38, v33
	v_dual_fma_f32 v30, v38, v32, -v51 :: v_dual_add_f32 v24, v24, v47
	s_wait_dscnt 0x1
	v_dual_mul_f32 v33, v59, v35 :: v_dual_mul_f32 v38, v58, v35
	s_delay_alu instid0(VALU_DEP_3) | instskip(NEXT) | instid1(VALU_DEP_3)
	v_dual_add_f32 v26, v26, v31 :: v_dual_fmac_f32 v50, v39, v32
	v_dual_add_f32 v20, v20, v30 :: v_dual_mul_f32 v47, v59, v37
	s_delay_alu instid0(VALU_DEP_3)
	v_dual_fma_f32 v39, v58, v34, -v33 :: v_dual_fmac_f32 v38, v59, v34
	ds_load_2addr_b64 v[30:33], v27 offset0:192 offset1:208
	v_add_f32_e32 v22, v22, v50
	v_dual_fma_f32 v47, v58, v36, -v47 :: v_dual_add_f32 v49, v49, v39
	v_mul_f32_e32 v39, v58, v37
	v_dual_add_f32 v46, v46, v38 :: v_dual_mul_f32 v38, v41, v35
	v_mul_f32_e32 v35, v40, v35
	s_delay_alu instid0(VALU_DEP_4) | instskip(NEXT) | instid1(VALU_DEP_3)
	v_dual_add_f32 v28, v28, v47 :: v_dual_mul_f32 v47, v41, v37
	v_dual_fmac_f32 v39, v59, v36 :: v_dual_fma_f32 v38, v40, v34, -v38
	s_delay_alu instid0(VALU_DEP_1) | instskip(NEXT) | instid1(VALU_DEP_3)
	v_dual_fmac_f32 v35, v41, v34 :: v_dual_add_f32 v34, v48, v39
	v_dual_mul_f32 v48, v40, v37 :: v_dual_fma_f32 v37, v40, v36, -v47
	s_delay_alu instid0(VALU_DEP_2) | instskip(SKIP_2) | instid1(VALU_DEP_3)
	v_dual_add_f32 v24, v24, v38 :: v_dual_add_f32 v26, v26, v35
	s_wait_dscnt 0x0
	v_mul_f32_e32 v35, v61, v31
	v_dual_fmac_f32 v48, v41, v36 :: v_dual_add_f32 v20, v20, v37
	ds_load_2addr_b64 v[36:39], v27 offset0:224 offset1:240
	v_dual_mul_f32 v40, v60, v31 :: v_dual_fma_f32 v35, v60, v30, -v35
	v_dual_add_f32 v22, v22, v48 :: v_dual_mul_f32 v41, v61, v33
	s_delay_alu instid0(VALU_DEP_2) | instskip(NEXT) | instid1(VALU_DEP_3)
	v_dual_mul_f32 v47, v60, v33 :: v_dual_fmac_f32 v40, v61, v30
	v_add_f32_e32 v35, v49, v35
	s_delay_alu instid0(VALU_DEP_3) | instskip(NEXT) | instid1(VALU_DEP_3)
	v_dual_mul_f32 v48, v43, v31 :: v_dual_fma_f32 v41, v60, v32, -v41
	v_dual_fmac_f32 v47, v61, v32 :: v_dual_mul_f32 v31, v42, v31
	s_delay_alu instid0(VALU_DEP_4) | instskip(NEXT) | instid1(VALU_DEP_3)
	v_add_f32_e32 v40, v46, v40
	v_dual_fma_f32 v46, v42, v30, -v48 :: v_dual_add_f32 v28, v28, v41
	s_delay_alu instid0(VALU_DEP_3) | instskip(NEXT) | instid1(VALU_DEP_4)
	v_dual_mul_f32 v41, v43, v33 :: v_dual_add_f32 v47, v34, v47
	v_dual_fmac_f32 v31, v43, v30 :: v_dual_mul_f32 v30, v42, v33
	s_delay_alu instid0(VALU_DEP_2) | instskip(SKIP_2) | instid1(VALU_DEP_3)
	v_dual_add_f32 v24, v24, v46 :: v_dual_fma_f32 v33, v42, v32, -v41
	s_wait_dscnt 0x0
	v_dual_mul_f32 v34, v63, v37 :: v_dual_mul_f32 v41, v62, v37
	v_dual_add_f32 v26, v26, v31 :: v_dual_fmac_f32 v30, v43, v32
	s_delay_alu instid0(VALU_DEP_2) | instskip(NEXT) | instid1(VALU_DEP_3)
	v_dual_add_f32 v20, v20, v33 :: v_dual_fma_f32 v31, v62, v36, -v34
	v_dual_fmac_f32 v41, v63, v36 :: v_dual_mul_f32 v33, v63, v39
	v_mul_f32_e32 v42, v62, v39
	s_delay_alu instid0(VALU_DEP_3) | instskip(NEXT) | instid1(VALU_DEP_3)
	v_dual_add_f32 v22, v22, v30 :: v_dual_add_f32 v32, v35, v31
	v_dual_add_f32 v34, v40, v41 :: v_dual_fma_f32 v30, v62, v38, -v33
	s_delay_alu instid0(VALU_DEP_3) | instskip(SKIP_2) | instid1(VALU_DEP_4)
	v_dual_fmac_f32 v42, v63, v38 :: v_dual_mul_f32 v31, v45, v37
	v_dual_mul_f32 v33, v44, v37 :: v_dual_mul_f32 v35, v45, v39
	v_mul_f32_e32 v37, v44, v39
	v_add_f32_e32 v28, v28, v30
	s_delay_alu instid0(VALU_DEP_3) | instskip(NEXT) | instid1(VALU_DEP_3)
	v_dual_fma_f32 v31, v44, v36, -v31 :: v_dual_fmac_f32 v33, v45, v36
	v_dual_fma_f32 v35, v44, v38, -v35 :: v_dual_fmac_f32 v37, v45, v38
	s_delay_alu instid0(VALU_DEP_2) | instskip(NEXT) | instid1(VALU_DEP_2)
	v_dual_add_f32 v30, v47, v42 :: v_dual_add_f32 v24, v24, v31
	v_dual_add_f32 v26, v26, v33 :: v_dual_add_f32 v20, v20, v35
	s_delay_alu instid0(VALU_DEP_3)
	v_add_f32_e32 v22, v22, v37
	s_barrier_signal -1
	s_barrier_wait -1
	s_cbranch_scc0 .LBB369_13
.LBB369_9:                              ;   Parent Loop BB369_6 Depth=1
                                        ; =>  This Inner Loop Header: Depth=2
	v_dual_mov_b32 v36, 0 :: v_dual_add_nc_u32 v31, s26, v2
	v_mov_b32_e32 v37, 0
	s_delay_alu instid0(VALU_DEP_2) | instskip(SKIP_1) | instid1(SALU_CYCLE_1)
	v_cmp_gt_i32_e32 vcc_lo, s23, v31
	s_and_b32 s28, s0, vcc_lo
	s_and_saveexec_b32 s27, s28
	s_cbranch_execz .LBB369_11
; %bb.10:                               ;   in Loop: Header=BB369_9 Depth=2
	flat_load_b64 v[36:37], v[16:17]
.LBB369_11:                             ;   in Loop: Header=BB369_9 Depth=2
	s_wait_xcnt 0x0
	s_or_b32 exec_lo, exec_lo, s27
	v_dual_mov_b32 v38, 0 :: v_dual_add_nc_u32 v31, s26, v21
	v_mov_b32_e32 v39, 0
	s_wait_loadcnt_dscnt 0x0
	ds_store_b64 v23, v[36:37]
	v_cmp_gt_i32_e32 vcc_lo, s23, v31
	s_and_b32 s28, vcc_lo, s1
	s_delay_alu instid0(SALU_CYCLE_1)
	s_and_saveexec_b32 s27, s28
	s_cbranch_execz .LBB369_8
; %bb.12:                               ;   in Loop: Header=BB369_9 Depth=2
	flat_load_b64 v[38:39], v[18:19]
	s_branch .LBB369_8
.LBB369_13:                             ;   in Loop: Header=BB369_6 Depth=1
	s_wait_loadcnt 0x0
	s_wait_xcnt 0x0
	v_add_nc_u64_e32 v[14:15], s[12:13], v[14:15]
	s_delay_alu instid0(VALU_DEP_1)
	v_lshl_add_u64 v[16:17], v[4:5], 3, v[14:15]
	s_and_saveexec_b32 s26, s22
	s_cbranch_execz .LBB369_18
; %bb.14:                               ;   in Loop: Header=BB369_6 Depth=1
	v_mov_b64_e32 v[18:19], s[4:5]
	v_mov_b64_e32 v[36:37], s[14:15]
	s_and_b32 vcc_lo, exec_lo, s18
	s_mov_b32 s27, -1
	s_delay_alu instid0(VALU_DEP_2) | instskip(NEXT) | instid1(VALU_DEP_1)
	v_pk_mul_f32 v[18:19], v[34:35], v[18:19] op_sel_hi:[0,1]
	v_pk_fma_f32 v[34:35], v[32:33], v[36:37], v[18:19] op_sel_hi:[0,1,1]
	v_pk_fma_f32 v[18:19], v[32:33], v[36:37], v[18:19] neg_lo:[0,0,1] neg_hi:[0,0,1]
	v_lshl_add_u64 v[32:33], v[0:1], 3, v[16:17]
	s_delay_alu instid0(VALU_DEP_3)
	v_mov_b32_e32 v19, v35
	s_cbranch_vccz .LBB369_16
; %bb.15:                               ;   in Loop: Header=BB369_6 Depth=1
	flat_load_b64 v[34:35], v[32:33]
	v_mov_b64_e32 v[36:37], s[20:21]
	v_mov_b64_e32 v[38:39], s[2:3]
	s_mov_b32 s27, 0
	s_wait_loadcnt_dscnt 0x0
	s_delay_alu instid0(VALU_DEP_2) | instskip(NEXT) | instid1(VALU_DEP_1)
	v_pk_mul_f32 v[36:37], v[34:35], v[36:37]
	v_pk_fma_f32 v[40:41], v[34:35], v[38:39], v[36:37] op_sel:[0,0,1] op_sel_hi:[1,1,0]
	v_pk_fma_f32 v[34:35], v[34:35], v[38:39], v[36:37] op_sel:[0,0,1] op_sel_hi:[1,1,0] neg_lo:[0,0,1] neg_hi:[0,0,1]
	s_delay_alu instid0(VALU_DEP_2) | instskip(NEXT) | instid1(VALU_DEP_1)
	v_mov_b32_e32 v35, v41
	v_pk_add_f32 v[34:35], v[18:19], v[34:35]
	flat_store_b64 v[32:33], v[34:35]
.LBB369_16:                             ;   in Loop: Header=BB369_6 Depth=1
	s_and_not1_b32 vcc_lo, exec_lo, s27
	s_cbranch_vccnz .LBB369_18
; %bb.17:                               ;   in Loop: Header=BB369_6 Depth=1
	flat_store_b64 v[32:33], v[18:19]
.LBB369_18:                             ;   in Loop: Header=BB369_6 Depth=1
	s_wait_xcnt 0x0
	s_or_b32 exec_lo, exec_lo, s26
	s_and_saveexec_b32 s26, s30
	s_cbranch_execz .LBB369_23
; %bb.19:                               ;   in Loop: Header=BB369_6 Depth=1
	v_mov_b64_e32 v[18:19], s[4:5]
	v_mov_b64_e32 v[32:33], s[14:15]
	v_lshl_add_u64 v[16:17], v[6:7], 3, v[16:17]
	s_and_not1_b32 vcc_lo, exec_lo, s18
	s_mov_b32 s27, -1
	s_delay_alu instid0(VALU_DEP_3) | instskip(NEXT) | instid1(VALU_DEP_1)
	v_pk_mul_f32 v[18:19], v[30:31], v[18:19] op_sel_hi:[0,1]
	v_pk_fma_f32 v[30:31], v[28:29], v[32:33], v[18:19] op_sel_hi:[0,1,1]
	v_pk_fma_f32 v[18:19], v[28:29], v[32:33], v[18:19] neg_lo:[0,0,1] neg_hi:[0,0,1]
	s_delay_alu instid0(VALU_DEP_2)
	v_mov_b32_e32 v19, v31
	s_cbranch_vccnz .LBB369_21
; %bb.20:                               ;   in Loop: Header=BB369_6 Depth=1
	flat_load_b64 v[30:31], v[16:17]
	v_mov_b64_e32 v[32:33], s[20:21]
	v_mov_b64_e32 v[34:35], s[2:3]
	s_mov_b32 s27, 0
	s_wait_loadcnt_dscnt 0x0
	s_delay_alu instid0(VALU_DEP_2) | instskip(NEXT) | instid1(VALU_DEP_1)
	v_pk_mul_f32 v[32:33], v[30:31], v[32:33]
	v_pk_fma_f32 v[36:37], v[30:31], v[34:35], v[32:33] op_sel:[0,0,1] op_sel_hi:[1,1,0]
	v_pk_fma_f32 v[30:31], v[30:31], v[34:35], v[32:33] op_sel:[0,0,1] op_sel_hi:[1,1,0] neg_lo:[0,0,1] neg_hi:[0,0,1]
	s_delay_alu instid0(VALU_DEP_2) | instskip(NEXT) | instid1(VALU_DEP_1)
	v_mov_b32_e32 v31, v37
	v_pk_add_f32 v[30:31], v[18:19], v[30:31]
	flat_store_b64 v[16:17], v[30:31]
.LBB369_21:                             ;   in Loop: Header=BB369_6 Depth=1
	s_and_not1_b32 vcc_lo, exec_lo, s27
	s_cbranch_vccnz .LBB369_23
; %bb.22:                               ;   in Loop: Header=BB369_6 Depth=1
	flat_store_b64 v[16:17], v[18:19]
.LBB369_23:                             ;   in Loop: Header=BB369_6 Depth=1
	s_wait_xcnt 0x0
	s_or_b32 exec_lo, exec_lo, s26
	v_lshl_add_u64 v[14:15], v[8:9], 3, v[14:15]
	s_and_saveexec_b32 s26, s31
	s_cbranch_execz .LBB369_28
; %bb.24:                               ;   in Loop: Header=BB369_6 Depth=1
	v_mov_b64_e32 v[16:17], s[4:5]
	v_mov_b64_e32 v[18:19], s[14:15]
	s_and_not1_b32 vcc_lo, exec_lo, s18
	s_mov_b32 s27, -1
	s_delay_alu instid0(VALU_DEP_2) | instskip(NEXT) | instid1(VALU_DEP_1)
	v_pk_mul_f32 v[16:17], v[26:27], v[16:17] op_sel_hi:[0,1]
	v_pk_fma_f32 v[30:31], v[24:25], v[18:19], v[16:17] op_sel_hi:[0,1,1]
	v_pk_fma_f32 v[16:17], v[24:25], v[18:19], v[16:17] neg_lo:[0,0,1] neg_hi:[0,0,1]
	v_lshl_add_u64 v[18:19], v[0:1], 3, v[14:15]
	s_delay_alu instid0(VALU_DEP_3)
	v_mov_b32_e32 v17, v31
	s_cbranch_vccnz .LBB369_26
; %bb.25:                               ;   in Loop: Header=BB369_6 Depth=1
	flat_load_b64 v[30:31], v[18:19]
	v_mov_b64_e32 v[32:33], s[20:21]
	v_mov_b64_e32 v[34:35], s[2:3]
	s_mov_b32 s27, 0
	s_wait_loadcnt_dscnt 0x0
	s_delay_alu instid0(VALU_DEP_2) | instskip(NEXT) | instid1(VALU_DEP_1)
	v_pk_mul_f32 v[32:33], v[30:31], v[32:33]
	v_pk_fma_f32 v[36:37], v[30:31], v[34:35], v[32:33] op_sel:[0,0,1] op_sel_hi:[1,1,0]
	v_pk_fma_f32 v[30:31], v[30:31], v[34:35], v[32:33] op_sel:[0,0,1] op_sel_hi:[1,1,0] neg_lo:[0,0,1] neg_hi:[0,0,1]
	s_delay_alu instid0(VALU_DEP_2) | instskip(NEXT) | instid1(VALU_DEP_1)
	v_mov_b32_e32 v31, v37
	v_pk_add_f32 v[30:31], v[16:17], v[30:31]
	flat_store_b64 v[18:19], v[30:31]
.LBB369_26:                             ;   in Loop: Header=BB369_6 Depth=1
	s_and_not1_b32 vcc_lo, exec_lo, s27
	s_cbranch_vccnz .LBB369_28
; %bb.27:                               ;   in Loop: Header=BB369_6 Depth=1
	flat_store_b64 v[18:19], v[16:17]
.LBB369_28:                             ;   in Loop: Header=BB369_6 Depth=1
	s_wait_xcnt 0x0
	s_or_b32 exec_lo, exec_lo, s26
	s_and_saveexec_b32 s26, s33
	s_cbranch_execz .LBB369_5
; %bb.29:                               ;   in Loop: Header=BB369_6 Depth=1
	v_mov_b64_e32 v[16:17], s[4:5]
	v_mov_b64_e32 v[18:19], s[14:15]
	v_lshl_add_u64 v[14:15], v[6:7], 3, v[14:15]
	s_and_not1_b32 vcc_lo, exec_lo, s18
	s_mov_b32 s27, -1
	s_delay_alu instid0(VALU_DEP_3) | instskip(NEXT) | instid1(VALU_DEP_1)
	v_pk_mul_f32 v[16:17], v[22:23], v[16:17] op_sel_hi:[0,1]
	v_pk_fma_f32 v[30:31], v[20:21], v[18:19], v[16:17] op_sel_hi:[0,1,1]
	v_pk_fma_f32 v[16:17], v[20:21], v[18:19], v[16:17] neg_lo:[0,0,1] neg_hi:[0,0,1]
	s_delay_alu instid0(VALU_DEP_2)
	v_mov_b32_e32 v17, v31
	s_cbranch_vccnz .LBB369_31
; %bb.30:                               ;   in Loop: Header=BB369_6 Depth=1
	flat_load_b64 v[18:19], v[14:15]
	v_mov_b64_e32 v[30:31], s[20:21]
	v_mov_b64_e32 v[32:33], s[2:3]
	s_mov_b32 s27, 0
	s_wait_loadcnt_dscnt 0x0
	s_delay_alu instid0(VALU_DEP_2) | instskip(NEXT) | instid1(VALU_DEP_1)
	v_pk_mul_f32 v[30:31], v[18:19], v[30:31]
	v_pk_fma_f32 v[34:35], v[18:19], v[32:33], v[30:31] op_sel:[0,0,1] op_sel_hi:[1,1,0]
	v_pk_fma_f32 v[18:19], v[18:19], v[32:33], v[30:31] op_sel:[0,0,1] op_sel_hi:[1,1,0] neg_lo:[0,0,1] neg_hi:[0,0,1]
	s_delay_alu instid0(VALU_DEP_2) | instskip(NEXT) | instid1(VALU_DEP_1)
	v_mov_b32_e32 v19, v35
	v_pk_add_f32 v[18:19], v[16:17], v[18:19]
	flat_store_b64 v[14:15], v[18:19]
.LBB369_31:                             ;   in Loop: Header=BB369_6 Depth=1
	s_and_not1_b32 vcc_lo, exec_lo, s27
	s_cbranch_vccnz .LBB369_5
; %bb.32:                               ;   in Loop: Header=BB369_6 Depth=1
	flat_store_b64 v[14:15], v[16:17]
	s_branch .LBB369_5
.LBB369_33:
	s_sendmsg sendmsg(MSG_DEALLOC_VGPRS)
	s_endpgm
	.section	.rodata,"a",@progbits
	.p2align	6, 0x0
	.amdhsa_kernel _ZL29rocblas_internal_gemmt_kernelIiLi16ELi32ELi8ELc78ELc78ELc76ELb0ELb0E19rocblas_complex_numIfEPKS1_PKS3_PKPS1_EviT_T9_T10_S9_lSB_S9_lSA_T11_S9_li
		.amdhsa_group_segment_fixed_size 4096
		.amdhsa_private_segment_fixed_size 0
		.amdhsa_kernarg_size 100
		.amdhsa_user_sgpr_count 2
		.amdhsa_user_sgpr_dispatch_ptr 0
		.amdhsa_user_sgpr_queue_ptr 0
		.amdhsa_user_sgpr_kernarg_segment_ptr 1
		.amdhsa_user_sgpr_dispatch_id 0
		.amdhsa_user_sgpr_kernarg_preload_length 0
		.amdhsa_user_sgpr_kernarg_preload_offset 0
		.amdhsa_user_sgpr_private_segment_size 0
		.amdhsa_wavefront_size32 1
		.amdhsa_uses_dynamic_stack 0
		.amdhsa_enable_private_segment 0
		.amdhsa_system_sgpr_workgroup_id_x 1
		.amdhsa_system_sgpr_workgroup_id_y 1
		.amdhsa_system_sgpr_workgroup_id_z 1
		.amdhsa_system_sgpr_workgroup_info 0
		.amdhsa_system_vgpr_workitem_id 1
		.amdhsa_next_free_vgpr 71
		.amdhsa_next_free_sgpr 36
		.amdhsa_named_barrier_count 0
		.amdhsa_reserve_vcc 1
		.amdhsa_float_round_mode_32 0
		.amdhsa_float_round_mode_16_64 0
		.amdhsa_float_denorm_mode_32 3
		.amdhsa_float_denorm_mode_16_64 3
		.amdhsa_fp16_overflow 0
		.amdhsa_memory_ordered 1
		.amdhsa_forward_progress 1
		.amdhsa_inst_pref_size 26
		.amdhsa_round_robin_scheduling 0
		.amdhsa_exception_fp_ieee_invalid_op 0
		.amdhsa_exception_fp_denorm_src 0
		.amdhsa_exception_fp_ieee_div_zero 0
		.amdhsa_exception_fp_ieee_overflow 0
		.amdhsa_exception_fp_ieee_underflow 0
		.amdhsa_exception_fp_ieee_inexact 0
		.amdhsa_exception_int_div_zero 0
	.end_amdhsa_kernel
	.section	.text._ZL29rocblas_internal_gemmt_kernelIiLi16ELi32ELi8ELc78ELc78ELc76ELb0ELb0E19rocblas_complex_numIfEPKS1_PKS3_PKPS1_EviT_T9_T10_S9_lSB_S9_lSA_T11_S9_li,"axG",@progbits,_ZL29rocblas_internal_gemmt_kernelIiLi16ELi32ELi8ELc78ELc78ELc76ELb0ELb0E19rocblas_complex_numIfEPKS1_PKS3_PKPS1_EviT_T9_T10_S9_lSB_S9_lSA_T11_S9_li,comdat
.Lfunc_end369:
	.size	_ZL29rocblas_internal_gemmt_kernelIiLi16ELi32ELi8ELc78ELc78ELc76ELb0ELb0E19rocblas_complex_numIfEPKS1_PKS3_PKPS1_EviT_T9_T10_S9_lSB_S9_lSA_T11_S9_li, .Lfunc_end369-_ZL29rocblas_internal_gemmt_kernelIiLi16ELi32ELi8ELc78ELc78ELc76ELb0ELb0E19rocblas_complex_numIfEPKS1_PKS3_PKPS1_EviT_T9_T10_S9_lSB_S9_lSA_T11_S9_li
                                        ; -- End function
	.set _ZL29rocblas_internal_gemmt_kernelIiLi16ELi32ELi8ELc78ELc78ELc76ELb0ELb0E19rocblas_complex_numIfEPKS1_PKS3_PKPS1_EviT_T9_T10_S9_lSB_S9_lSA_T11_S9_li.num_vgpr, 71
	.set _ZL29rocblas_internal_gemmt_kernelIiLi16ELi32ELi8ELc78ELc78ELc76ELb0ELb0E19rocblas_complex_numIfEPKS1_PKS3_PKPS1_EviT_T9_T10_S9_lSB_S9_lSA_T11_S9_li.num_agpr, 0
	.set _ZL29rocblas_internal_gemmt_kernelIiLi16ELi32ELi8ELc78ELc78ELc76ELb0ELb0E19rocblas_complex_numIfEPKS1_PKS3_PKPS1_EviT_T9_T10_S9_lSB_S9_lSA_T11_S9_li.numbered_sgpr, 36
	.set _ZL29rocblas_internal_gemmt_kernelIiLi16ELi32ELi8ELc78ELc78ELc76ELb0ELb0E19rocblas_complex_numIfEPKS1_PKS3_PKPS1_EviT_T9_T10_S9_lSB_S9_lSA_T11_S9_li.num_named_barrier, 0
	.set _ZL29rocblas_internal_gemmt_kernelIiLi16ELi32ELi8ELc78ELc78ELc76ELb0ELb0E19rocblas_complex_numIfEPKS1_PKS3_PKPS1_EviT_T9_T10_S9_lSB_S9_lSA_T11_S9_li.private_seg_size, 0
	.set _ZL29rocblas_internal_gemmt_kernelIiLi16ELi32ELi8ELc78ELc78ELc76ELb0ELb0E19rocblas_complex_numIfEPKS1_PKS3_PKPS1_EviT_T9_T10_S9_lSB_S9_lSA_T11_S9_li.uses_vcc, 1
	.set _ZL29rocblas_internal_gemmt_kernelIiLi16ELi32ELi8ELc78ELc78ELc76ELb0ELb0E19rocblas_complex_numIfEPKS1_PKS3_PKPS1_EviT_T9_T10_S9_lSB_S9_lSA_T11_S9_li.uses_flat_scratch, 0
	.set _ZL29rocblas_internal_gemmt_kernelIiLi16ELi32ELi8ELc78ELc78ELc76ELb0ELb0E19rocblas_complex_numIfEPKS1_PKS3_PKPS1_EviT_T9_T10_S9_lSB_S9_lSA_T11_S9_li.has_dyn_sized_stack, 0
	.set _ZL29rocblas_internal_gemmt_kernelIiLi16ELi32ELi8ELc78ELc78ELc76ELb0ELb0E19rocblas_complex_numIfEPKS1_PKS3_PKPS1_EviT_T9_T10_S9_lSB_S9_lSA_T11_S9_li.has_recursion, 0
	.set _ZL29rocblas_internal_gemmt_kernelIiLi16ELi32ELi8ELc78ELc78ELc76ELb0ELb0E19rocblas_complex_numIfEPKS1_PKS3_PKPS1_EviT_T9_T10_S9_lSB_S9_lSA_T11_S9_li.has_indirect_call, 0
	.section	.AMDGPU.csdata,"",@progbits
; Kernel info:
; codeLenInByte = 3260
; TotalNumSgprs: 38
; NumVgprs: 71
; ScratchSize: 0
; MemoryBound: 0
; FloatMode: 240
; IeeeMode: 1
; LDSByteSize: 4096 bytes/workgroup (compile time only)
; SGPRBlocks: 0
; VGPRBlocks: 4
; NumSGPRsForWavesPerEU: 38
; NumVGPRsForWavesPerEU: 71
; NamedBarCnt: 0
; Occupancy: 12
; WaveLimiterHint : 1
; COMPUTE_PGM_RSRC2:SCRATCH_EN: 0
; COMPUTE_PGM_RSRC2:USER_SGPR: 2
; COMPUTE_PGM_RSRC2:TRAP_HANDLER: 0
; COMPUTE_PGM_RSRC2:TGID_X_EN: 1
; COMPUTE_PGM_RSRC2:TGID_Y_EN: 1
; COMPUTE_PGM_RSRC2:TGID_Z_EN: 1
; COMPUTE_PGM_RSRC2:TIDIG_COMP_CNT: 1
	.section	.text._ZL29rocblas_internal_gemmt_kernelIiLi16ELi32ELi8ELc78ELc84ELc76ELb0ELb0E19rocblas_complex_numIfEPKS1_PKS3_PKPS1_EviT_T9_T10_S9_lSB_S9_lSA_T11_S9_li,"axG",@progbits,_ZL29rocblas_internal_gemmt_kernelIiLi16ELi32ELi8ELc78ELc84ELc76ELb0ELb0E19rocblas_complex_numIfEPKS1_PKS3_PKPS1_EviT_T9_T10_S9_lSB_S9_lSA_T11_S9_li,comdat
	.globl	_ZL29rocblas_internal_gemmt_kernelIiLi16ELi32ELi8ELc78ELc84ELc76ELb0ELb0E19rocblas_complex_numIfEPKS1_PKS3_PKPS1_EviT_T9_T10_S9_lSB_S9_lSA_T11_S9_li ; -- Begin function _ZL29rocblas_internal_gemmt_kernelIiLi16ELi32ELi8ELc78ELc84ELc76ELb0ELb0E19rocblas_complex_numIfEPKS1_PKS3_PKPS1_EviT_T9_T10_S9_lSB_S9_lSA_T11_S9_li
	.p2align	8
	.type	_ZL29rocblas_internal_gemmt_kernelIiLi16ELi32ELi8ELc78ELc84ELc76ELb0ELb0E19rocblas_complex_numIfEPKS1_PKS3_PKPS1_EviT_T9_T10_S9_lSB_S9_lSA_T11_S9_li,@function
_ZL29rocblas_internal_gemmt_kernelIiLi16ELi32ELi8ELc78ELc84ELc76ELb0ELb0E19rocblas_complex_numIfEPKS1_PKS3_PKPS1_EviT_T9_T10_S9_lSB_S9_lSA_T11_S9_li: ; @_ZL29rocblas_internal_gemmt_kernelIiLi16ELi32ELi8ELc78ELc84ELc76ELb0ELb0E19rocblas_complex_numIfEPKS1_PKS3_PKPS1_EviT_T9_T10_S9_lSB_S9_lSA_T11_S9_li
; %bb.0:
	s_load_b128 s[12:15], s[0:1], 0x38
	s_wait_kmcnt 0x0
	s_load_b64 s[20:21], s[14:15], 0x0
	s_clause 0x1
	s_load_b128 s[4:7], s[0:1], 0x8
	s_load_b64 s[22:23], s[0:1], 0x0
	s_wait_kmcnt 0x0
	s_cmp_neq_f32 s20, 1.0
	s_load_b64 s[14:15], s[4:5], 0x0
	s_cselect_b32 s2, -1, 0
	s_and_b32 s3, s21, 0x7fffffff
	s_delay_alu instid0(SALU_CYCLE_1) | instskip(SKIP_4) | instid1(SALU_CYCLE_1)
	s_cmp_eq_u32 s3, 0
	s_wait_xcnt 0x0
	s_cselect_b32 s4, -1, 0
	s_cmp_lg_u32 s3, 0
	s_cselect_b32 s3, -1, 0
	s_or_b32 s2, s2, s3
	s_delay_alu instid0(SALU_CYCLE_1)
	s_and_b32 vcc_lo, exec_lo, s2
	s_cbranch_vccnz .LBB370_2
; %bb.1:
	s_cmp_lg_u32 s23, 0
	s_cselect_b32 s2, -1, 0
	s_wait_kmcnt 0x0
	s_cmp_neq_f32 s14, 0
	s_cselect_b32 s3, -1, 0
	s_cmp_neq_f32 s15, 0
	s_cselect_b32 s5, -1, 0
	s_delay_alu instid0(SALU_CYCLE_1) | instskip(NEXT) | instid1(SALU_CYCLE_1)
	s_or_b32 s3, s3, s5
	s_and_b32 s2, s2, s3
.LBB370_2:
	s_delay_alu instid0(SALU_CYCLE_1)
	s_and_not1_b32 vcc_lo, exec_lo, s2
	s_cbranch_vccnz .LBB370_33
; %bb.3:
	s_load_b32 s33, s[0:1], 0x60
	s_bfe_u32 s2, ttmp6, 0x40014
	s_lshr_b32 s3, ttmp7, 16
	s_add_co_i32 s2, s2, 1
	s_bfe_u32 s8, ttmp6, 0x40008
	s_mul_i32 s5, s3, s2
	s_getreg_b32 s2, hwreg(HW_REG_IB_STS2, 6, 4)
	s_add_co_i32 s8, s8, s5
	s_cmp_eq_u32 s2, 0
	s_mov_b32 s25, 0
	s_cselect_b32 s24, s3, s8
	s_wait_kmcnt 0x0
	s_cmp_ge_u32 s24, s33
	s_cbranch_scc1 .LBB370_33
; %bb.4:
	s_clause 0x4
	s_load_b32 s26, s[0:1], 0x18
	s_load_b32 s28, s[0:1], 0x30
	s_load_b96 s[16:18], s[0:1], 0x48
	s_load_b128 s[8:11], s[0:1], 0x20
	s_load_b64 s[30:31], s[0:1], 0x58
	s_wait_xcnt 0x0
	s_bfe_u32 s1, ttmp6, 0x4000c
	s_bfe_u32 s3, ttmp6, 0x40010
	v_and_b32_e32 v4, 0x3ff, v0
	v_bfe_u32 v5, v0, 10, 10
	s_and_b32 s5, ttmp7, 0xffff
	s_add_co_i32 s1, s1, 1
	s_add_co_i32 s3, s3, 1
	s_and_b32 s0, ttmp6, 15
	s_bfe_u32 s19, ttmp6, 0x40004
	s_mul_i32 s1, ttmp9, s1
	s_mul_i32 s3, s5, s3
	s_add_co_i32 s0, s0, s1
	s_add_co_i32 s19, s19, s3
	v_lshl_add_u32 v1, v5, 4, v4
	s_wait_kmcnt 0x0
	s_ashr_i32 s27, s26, 31
	s_ashr_i32 s29, s28, 31
	;; [unrolled: 1-line block ×3, first 2 shown]
	s_cmp_eq_u32 s2, 0
	v_dual_lshrrev_b32 v2, 5, v1 :: v_dual_lshrrev_b32 v6, 3, v1
	s_cselect_b32 s1, s5, s19
	s_cselect_b32 s0, ttmp9, s0
	s_lshl_b32 s19, s1, 5
	s_delay_alu instid0(VALU_DEP_1) | instid1(SALU_CYCLE_1)
	v_dual_add_nc_u32 v14, s19, v6 :: v_dual_bitop2_b32 v1, 31, v1 bitop3:0x40
	s_lshl_b32 s5, s0, 5
	v_dual_mov_b32 v3, 0 :: v_dual_bitop2_b32 v0, 7, v0 bitop3:0x40
	v_add_nc_u32_e32 v16, s19, v5
	s_delay_alu instid0(VALU_DEP_3) | instskip(NEXT) | instid1(VALU_DEP_3)
	v_dual_lshlrev_b32 v1, 3, v1 :: v_dual_bitop2_b32 v12, s5, v1 bitop3:0x54
	v_lshlrev_b32_e32 v7, 3, v0
	s_delay_alu instid0(VALU_DEP_4) | instskip(NEXT) | instid1(VALU_DEP_4)
	v_mul_u64_e32 v[18:19], s[26:27], v[2:3]
	v_dual_ashrrev_i32 v15, 31, v14 :: v_dual_add_nc_u32 v26, 16, v16
	v_ashrrev_i32_e32 v17, 31, v16
	v_lshl_or_b32 v23, v2, 8, v1
	v_mov_b32_e32 v1, v3
	s_cmp_neq_f32 s14, 0
	v_lshl_or_b32 v6, v6, 6, v7
	s_mov_b32 s2, s18
	v_ashrrev_i32_e32 v13, 31, v12
	v_mul_u64_e32 v[20:21], s[28:29], v[0:1]
	v_dual_lshlrev_b32 v1, 3, v4 :: v_dual_add_nc_u32 v4, s5, v4
	v_ashrrev_i32_e32 v27, 31, v26
	s_cselect_b32 s0, -1, 0
	s_cmp_neq_f32 s15, 0
	v_add_nc_u32_e32 v25, 0x800, v6
	v_mul_u64_e32 v[6:7], s[2:3], v[16:17]
	v_add_nc_u32_e32 v8, 16, v4
	v_mul_u64_e32 v[10:11], s[2:3], v[26:27]
	s_cselect_b32 s1, -1, 0
	v_cmp_le_i32_e32 vcc_lo, v16, v4
	s_or_b32 s18, s0, s1
	s_cmp_gt_i32 s23, 0
	v_cmp_le_i32_e64 s3, v16, v8
	s_cselect_b32 s38, -1, 0
	s_cmp_neq_f32 s20, 0
	v_cmp_gt_i32_e64 s2, s22, v4
	v_cmp_gt_i32_e64 s0, s22, v12
	;; [unrolled: 1-line block ×3, first 2 shown]
	s_cselect_b32 s5, -1, 0
	s_xor_b32 s4, s4, -1
	v_lshl_add_u32 v27, v5, 6, 0x800
	s_or_b32 s34, s5, s4
	v_cmp_gt_i32_e64 s4, s22, v8
	v_cmp_le_i32_e64 s5, v26, v8
	s_and_b32 s22, vcc_lo, s2
	v_cmp_le_i32_e32 vcc_lo, v26, v4
	v_ashrrev_i32_e32 v5, 31, v4
	s_and_b32 s35, s3, s4
	s_and_b32 s37, s5, s4
	s_lshl_b64 s[4:5], s[8:9], 3
	v_ashrrev_i32_e32 v9, 31, v8
	v_lshl_add_u64 v[16:17], v[18:19], 3, s[4:5]
	s_lshl_b64 s[4:5], s[12:13], 3
	s_and_b32 s36, vcc_lo, s2
	v_lshl_add_u64 v[18:19], v[20:21], 3, s[4:5]
	s_mov_b32 s2, s20
	v_lshl_add_u64 v[12:13], v[12:13], 3, v[16:17]
	s_mov_b32 s3, s20
	s_mov_b32 s20, s21
	v_lshl_add_u64 v[14:15], v[14:15], 3, v[18:19]
	s_mov_b32 s4, s15
	s_mov_b32 s5, s14
	s_and_b32 s38, s18, s38
	s_lshl_b64 s[8:9], s[26:27], 6
	s_lshl_b64 s[12:13], s[28:29], 6
	;; [unrolled: 1-line block ×3, first 2 shown]
	s_branch .LBB370_6
.LBB370_5:                              ;   in Loop: Header=BB370_6 Depth=1
	s_wait_xcnt 0x0
	s_or_b32 exec_lo, exec_lo, s26
	s_add_co_i32 s24, s24, 0x10000
	s_delay_alu instid0(SALU_CYCLE_1)
	s_cmp_lt_u32 s24, s33
	s_cbranch_scc0 .LBB370_33
.LBB370_6:                              ; =>This Loop Header: Depth=1
                                        ;     Child Loop BB370_9 Depth 2
	v_dual_mov_b32 v16, s24 :: v_dual_mov_b32 v34, 0
	v_dual_mov_b32 v36, 0 :: v_dual_mov_b32 v30, 0
	;; [unrolled: 1-line block ×3, first 2 shown]
	global_load_b64 v[16:17], v16, s[16:17] scale_offset
	v_dual_mov_b32 v28, 0 :: v_dual_mov_b32 v22, 0
	v_mov_b32_e32 v24, 0
	s_and_not1_b32 vcc_lo, exec_lo, s38
	s_cbranch_vccnz .LBB370_13
; %bb.7:                                ;   in Loop: Header=BB370_6 Depth=1
	s_lshl_b64 s[26:27], s[24:25], 3
	v_dual_mov_b32 v24, 0 :: v_dual_mov_b32 v22, 0
	s_add_nc_u64 s[28:29], s[6:7], s[26:27]
	s_add_nc_u64 s[26:27], s[10:11], s[26:27]
	s_clause 0x1
	global_load_b64 v[18:19], v3, s[28:29]
	global_load_b64 v[20:21], v3, s[26:27]
	v_dual_mov_b32 v28, 0 :: v_dual_mov_b32 v26, 0
	v_dual_mov_b32 v32, 0 :: v_dual_mov_b32 v30, 0
	;; [unrolled: 1-line block ×3, first 2 shown]
	s_wait_xcnt 0x0
	s_mov_b32 s26, 0
	s_wait_loadcnt 0x1
	v_add_nc_u64_e32 v[18:19], v[18:19], v[12:13]
	s_wait_loadcnt 0x0
	v_add_nc_u64_e32 v[20:21], v[20:21], v[14:15]
	s_branch .LBB370_9
.LBB370_8:                              ;   in Loop: Header=BB370_9 Depth=2
	s_wait_xcnt 0x0
	s_or_b32 exec_lo, exec_lo, s27
	s_wait_loadcnt_dscnt 0x0
	ds_store_b64 v25, v[40:41]
	s_wait_dscnt 0x0
	s_barrier_signal -1
	s_barrier_wait -1
	ds_load_b128 v[38:41], v27
	ds_load_2addr_b64 v[42:45], v1 offset1:16
	ds_load_b128 v[46:49], v27 offset:1024
	ds_load_b128 v[50:53], v27 offset:16
	ds_load_2addr_b64 v[54:57], v1 offset0:32 offset1:48
	ds_load_b128 v[58:61], v27 offset:32
	ds_load_b128 v[62:65], v27 offset:48
	;; [unrolled: 1-line block ×3, first 2 shown]
	v_add_nc_u64_e32 v[18:19], s[8:9], v[18:19]
	v_add_nc_u64_e32 v[20:21], s[12:13], v[20:21]
	s_add_co_i32 s26, s26, 8
	s_delay_alu instid0(SALU_CYCLE_1)
	s_cmp_lt_i32 s26, s23
	s_wait_dscnt 0x6
	v_dual_mul_f32 v29, v39, v43 :: v_dual_mul_f32 v31, v38, v43
	v_dual_mul_f32 v33, v39, v45 :: v_dual_mul_f32 v35, v38, v45
	s_wait_dscnt 0x5
	v_dual_mul_f32 v37, v47, v43 :: v_dual_mul_f32 v43, v46, v43
	v_dual_mul_f32 v70, v47, v45 :: v_dual_mul_f32 v45, v46, v45
	v_dual_fma_f32 v29, v38, v42, -v29 :: v_dual_fmac_f32 v31, v39, v42
	v_dual_fma_f32 v33, v38, v44, -v33 :: v_dual_fmac_f32 v35, v39, v44
	s_delay_alu instid0(VALU_DEP_4) | instskip(NEXT) | instid1(VALU_DEP_3)
	v_dual_fma_f32 v37, v46, v42, -v37 :: v_dual_fmac_f32 v43, v47, v42
	v_dual_fma_f32 v38, v46, v44, -v70 :: v_dual_add_f32 v36, v36, v31
	s_delay_alu instid0(VALU_DEP_3) | instskip(NEXT) | instid1(VALU_DEP_3)
	v_dual_add_f32 v34, v34, v29 :: v_dual_add_f32 v32, v32, v35
	v_dual_add_f32 v33, v30, v33 :: v_dual_add_f32 v35, v28, v43
	s_wait_dscnt 0x3
	v_dual_add_f32 v26, v26, v37 :: v_dual_mul_f32 v37, v41, v55
	ds_load_2addr_b64 v[28:31], v1 offset0:64 offset1:80
	v_dual_fmac_f32 v45, v47, v44 :: v_dual_add_f32 v22, v22, v38
	v_dual_mul_f32 v38, v40, v55 :: v_dual_fma_f32 v37, v40, v54, -v37
	v_mul_f32_e32 v39, v41, v57
	s_delay_alu instid0(VALU_DEP_2) | instskip(SKIP_1) | instid1(VALU_DEP_3)
	v_dual_add_f32 v24, v24, v45 :: v_dual_fmac_f32 v38, v41, v54
	v_mul_f32_e32 v42, v40, v57
	v_dual_add_f32 v37, v34, v37 :: v_dual_fma_f32 v34, v40, v56, -v39
	s_delay_alu instid0(VALU_DEP_3) | instskip(NEXT) | instid1(VALU_DEP_3)
	v_dual_mul_f32 v39, v49, v55 :: v_dual_add_f32 v36, v36, v38
	v_dual_fmac_f32 v42, v41, v56 :: v_dual_mul_f32 v38, v48, v55
	s_delay_alu instid0(VALU_DEP_3) | instskip(NEXT) | instid1(VALU_DEP_3)
	v_dual_add_f32 v40, v33, v34 :: v_dual_mul_f32 v41, v48, v57
	v_dual_fma_f32 v33, v48, v54, -v39 :: v_dual_mul_f32 v34, v49, v57
	s_delay_alu instid0(VALU_DEP_3) | instskip(NEXT) | instid1(VALU_DEP_3)
	v_add_f32_e32 v39, v32, v42
	v_dual_fmac_f32 v38, v49, v54 :: v_dual_fmac_f32 v41, v49, v56
	s_wait_dscnt 0x0
	v_mul_f32_e32 v42, v50, v29
	v_add_f32_e32 v26, v26, v33
	v_dual_mul_f32 v33, v51, v29 :: v_dual_fma_f32 v32, v48, v56, -v34
	v_add_f32_e32 v38, v35, v38
	s_delay_alu instid0(VALU_DEP_4) | instskip(NEXT) | instid1(VALU_DEP_3)
	v_dual_mul_f32 v44, v51, v31 :: v_dual_fmac_f32 v42, v51, v28
	v_fma_f32 v43, v50, v28, -v33
	s_delay_alu instid0(VALU_DEP_4) | instskip(SKIP_4) | instid1(VALU_DEP_3)
	v_add_f32_e32 v22, v22, v32
	ds_load_2addr_b64 v[32:35], v1 offset0:96 offset1:112
	v_dual_add_f32 v24, v24, v41 :: v_dual_mul_f32 v41, v50, v31
	v_dual_add_f32 v37, v37, v43 :: v_dual_fma_f32 v43, v50, v30, -v44
	v_dual_add_f32 v36, v36, v42 :: v_dual_mul_f32 v42, v67, v29
	v_dual_mul_f32 v29, v66, v29 :: v_dual_fmac_f32 v41, v51, v30
	s_delay_alu instid0(VALU_DEP_3) | instskip(NEXT) | instid1(VALU_DEP_3)
	v_add_f32_e32 v40, v40, v43
	v_dual_mul_f32 v43, v67, v31 :: v_dual_fma_f32 v42, v66, v28, -v42
	s_delay_alu instid0(VALU_DEP_3) | instskip(NEXT) | instid1(VALU_DEP_2)
	v_dual_fmac_f32 v29, v67, v28 :: v_dual_mul_f32 v44, v66, v31
	v_dual_add_f32 v41, v39, v41 :: v_dual_fma_f32 v28, v66, v30, -v43
	s_delay_alu instid0(VALU_DEP_3) | instskip(NEXT) | instid1(VALU_DEP_3)
	v_add_f32_e32 v26, v26, v42
	v_dual_add_f32 v42, v38, v29 :: v_dual_fmac_f32 v44, v67, v30
	s_wait_dscnt 0x0
	s_delay_alu instid0(VALU_DEP_3)
	v_dual_mul_f32 v38, v53, v33 :: v_dual_add_f32 v22, v22, v28
	v_mul_f32_e32 v39, v52, v33
	ds_load_2addr_b64 v[28:31], v1 offset0:128 offset1:144
	v_dual_mul_f32 v43, v53, v35 :: v_dual_fma_f32 v38, v52, v32, -v38
	v_fmac_f32_e32 v39, v53, v32
	v_add_f32_e32 v24, v24, v44
	s_delay_alu instid0(VALU_DEP_3) | instskip(NEXT) | instid1(VALU_DEP_4)
	v_dual_mul_f32 v44, v52, v35 :: v_dual_fma_f32 v43, v52, v34, -v43
	v_add_f32_e32 v45, v37, v38
	s_delay_alu instid0(VALU_DEP_4) | instskip(NEXT) | instid1(VALU_DEP_3)
	v_dual_mul_f32 v37, v69, v33 :: v_dual_add_f32 v46, v36, v39
	v_dual_fmac_f32 v44, v53, v34 :: v_dual_add_f32 v47, v40, v43
	s_delay_alu instid0(VALU_DEP_2)
	v_dual_mul_f32 v33, v68, v33 :: v_dual_fma_f32 v40, v68, v32, -v37
	v_mul_f32_e32 v43, v69, v35
	ds_load_b128 v[36:39], v27 offset:1056
	v_dual_add_f32 v44, v41, v44 :: v_dual_mul_f32 v41, v68, v35
	v_dual_fmac_f32 v33, v69, v32 :: v_dual_fma_f32 v32, v68, v34, -v43
	s_wait_dscnt 0x1
	v_dual_add_f32 v26, v26, v40 :: v_dual_mul_f32 v35, v59, v29
	s_delay_alu instid0(VALU_DEP_2) | instskip(NEXT) | instid1(VALU_DEP_3)
	v_dual_fmac_f32 v41, v69, v34 :: v_dual_add_f32 v48, v42, v33
	v_dual_mul_f32 v42, v59, v31 :: v_dual_add_f32 v22, v22, v32
	s_delay_alu instid0(VALU_DEP_3)
	v_dual_mul_f32 v49, v58, v29 :: v_dual_fma_f32 v40, v58, v28, -v35
	ds_load_2addr_b64 v[32:35], v1 offset0:160 offset1:176
	v_dual_add_f32 v24, v24, v41 :: v_dual_mul_f32 v50, v58, v31
	v_fmac_f32_e32 v49, v59, v28
	v_dual_add_f32 v45, v45, v40 :: v_dual_fma_f32 v51, v58, v30, -v42
	ds_load_b128 v[40:43], v27 offset:1072
	s_wait_dscnt 0x2
	v_dual_mul_f32 v52, v37, v29 :: v_dual_fmac_f32 v50, v59, v30
	v_dual_add_f32 v46, v46, v49 :: v_dual_add_f32 v47, v47, v51
	s_delay_alu instid0(VALU_DEP_2) | instskip(NEXT) | instid1(VALU_DEP_3)
	v_dual_mul_f32 v29, v36, v29 :: v_dual_fma_f32 v49, v36, v28, -v52
	v_dual_mul_f32 v51, v37, v31 :: v_dual_add_f32 v44, v44, v50
	s_delay_alu instid0(VALU_DEP_2) | instskip(NEXT) | instid1(VALU_DEP_2)
	v_dual_mul_f32 v50, v36, v31 :: v_dual_fmac_f32 v29, v37, v28
	v_dual_add_f32 v26, v26, v49 :: v_dual_fma_f32 v28, v36, v30, -v51
	s_wait_dscnt 0x1
	v_mul_f32_e32 v31, v61, v33
	s_delay_alu instid0(VALU_DEP_3) | instskip(NEXT) | instid1(VALU_DEP_3)
	v_dual_add_f32 v36, v48, v29 :: v_dual_fmac_f32 v50, v37, v30
	v_dual_mul_f32 v37, v60, v33 :: v_dual_add_f32 v22, v22, v28
	s_delay_alu instid0(VALU_DEP_3) | instskip(SKIP_3) | instid1(VALU_DEP_2)
	v_dual_mul_f32 v49, v61, v35 :: v_dual_fma_f32 v48, v60, v32, -v31
	ds_load_2addr_b64 v[28:31], v1 offset0:192 offset1:208
	v_dual_fmac_f32 v37, v61, v32 :: v_dual_add_f32 v24, v24, v50
	v_dual_fma_f32 v49, v60, v34, -v49 :: v_dual_add_f32 v48, v45, v48
	v_dual_mul_f32 v45, v60, v35 :: v_dual_add_f32 v37, v46, v37
	v_dual_mul_f32 v46, v39, v33 :: v_dual_mul_f32 v33, v38, v33
	s_delay_alu instid0(VALU_DEP_2) | instskip(NEXT) | instid1(VALU_DEP_2)
	v_dual_add_f32 v49, v47, v49 :: v_dual_fmac_f32 v45, v61, v34
	v_dual_mul_f32 v47, v39, v35 :: v_dual_fma_f32 v46, v38, v32, -v46
	s_delay_alu instid0(VALU_DEP_3) | instskip(NEXT) | instid1(VALU_DEP_2)
	v_dual_fmac_f32 v33, v39, v32 :: v_dual_mul_f32 v35, v38, v35
	v_dual_add_f32 v32, v44, v45 :: v_dual_fma_f32 v38, v38, v34, -v47
	s_delay_alu instid0(VALU_DEP_2)
	v_dual_add_f32 v26, v26, v46 :: v_dual_add_f32 v33, v36, v33
	ds_load_2addr_b64 v[44:47], v1 offset0:224 offset1:240
	s_wait_dscnt 0x1
	v_mul_f32_e32 v36, v63, v29
	v_dual_fmac_f32 v35, v39, v34 :: v_dual_mul_f32 v34, v62, v29
	v_add_f32_e32 v22, v22, v38
	s_delay_alu instid0(VALU_DEP_3) | instskip(NEXT) | instid1(VALU_DEP_3)
	v_dual_mul_f32 v38, v62, v31 :: v_dual_fma_f32 v36, v62, v28, -v36
	v_add_f32_e32 v24, v24, v35
	s_delay_alu instid0(VALU_DEP_4) | instskip(NEXT) | instid1(VALU_DEP_3)
	v_dual_mul_f32 v35, v63, v31 :: v_dual_fmac_f32 v34, v63, v28
	v_dual_mul_f32 v39, v41, v29 :: v_dual_add_f32 v36, v48, v36
	s_delay_alu instid0(VALU_DEP_2) | instskip(NEXT) | instid1(VALU_DEP_3)
	v_dual_fmac_f32 v38, v63, v30 :: v_dual_fma_f32 v35, v62, v30, -v35
	v_dual_add_f32 v37, v37, v34 :: v_dual_mul_f32 v29, v40, v29
	s_delay_alu instid0(VALU_DEP_3) | instskip(NEXT) | instid1(VALU_DEP_3)
	v_dual_fma_f32 v34, v40, v28, -v39 :: v_dual_mul_f32 v39, v41, v31
	v_dual_add_f32 v32, v32, v38 :: v_dual_add_f32 v35, v49, v35
	s_delay_alu instid0(VALU_DEP_2) | instskip(NEXT) | instid1(VALU_DEP_3)
	v_dual_fmac_f32 v29, v41, v28 :: v_dual_add_f32 v26, v26, v34
	v_dual_mul_f32 v28, v40, v31 :: v_dual_fma_f32 v31, v40, v30, -v39
	s_wait_dscnt 0x0
	v_dual_mul_f32 v34, v65, v45 :: v_dual_mul_f32 v38, v64, v45
	s_delay_alu instid0(VALU_DEP_3) | instskip(NEXT) | instid1(VALU_DEP_3)
	v_add_f32_e32 v29, v33, v29
	v_dual_fmac_f32 v28, v41, v30 :: v_dual_add_f32 v22, v22, v31
	s_delay_alu instid0(VALU_DEP_3) | instskip(NEXT) | instid1(VALU_DEP_4)
	v_fma_f32 v30, v64, v44, -v34
	v_dual_fmac_f32 v38, v65, v44 :: v_dual_mul_f32 v31, v65, v47
	v_dual_mul_f32 v33, v64, v47 :: v_dual_mul_f32 v39, v42, v47
	s_delay_alu instid0(VALU_DEP_3) | instskip(NEXT) | instid1(VALU_DEP_3)
	v_add_f32_e32 v34, v36, v30
	v_dual_add_f32 v36, v37, v38 :: v_dual_add_f32 v24, v24, v28
	s_delay_alu instid0(VALU_DEP_3) | instskip(SKIP_2) | instid1(VALU_DEP_3)
	v_dual_fmac_f32 v33, v65, v46 :: v_dual_fma_f32 v28, v64, v46, -v31
	v_dual_mul_f32 v37, v42, v45 :: v_dual_mul_f32 v31, v43, v45
	v_dual_mul_f32 v38, v43, v47 :: v_dual_fmac_f32 v39, v43, v46
	v_dual_add_f32 v32, v32, v33 :: v_dual_add_f32 v30, v35, v28
	s_delay_alu instid0(VALU_DEP_3) | instskip(NEXT) | instid1(VALU_DEP_3)
	v_dual_fma_f32 v28, v42, v44, -v31 :: v_dual_fmac_f32 v37, v43, v44
	v_dual_fma_f32 v31, v42, v46, -v38 :: v_dual_add_f32 v24, v24, v39
	s_delay_alu instid0(VALU_DEP_2) | instskip(NEXT) | instid1(VALU_DEP_2)
	v_dual_add_f32 v26, v26, v28 :: v_dual_add_f32 v28, v29, v37
	v_add_f32_e32 v22, v22, v31
	s_barrier_signal -1
	s_barrier_wait -1
	s_cbranch_scc0 .LBB370_13
.LBB370_9:                              ;   Parent Loop BB370_6 Depth=1
                                        ; =>  This Inner Loop Header: Depth=2
	v_dual_mov_b32 v38, 0 :: v_dual_add_nc_u32 v29, s26, v2
	v_mov_b32_e32 v39, 0
	s_delay_alu instid0(VALU_DEP_2) | instskip(SKIP_1) | instid1(SALU_CYCLE_1)
	v_cmp_gt_i32_e32 vcc_lo, s23, v29
	s_and_b32 s28, s0, vcc_lo
	s_and_saveexec_b32 s27, s28
	s_cbranch_execz .LBB370_11
; %bb.10:                               ;   in Loop: Header=BB370_9 Depth=2
	flat_load_b64 v[38:39], v[18:19]
.LBB370_11:                             ;   in Loop: Header=BB370_9 Depth=2
	s_wait_xcnt 0x0
	s_or_b32 exec_lo, exec_lo, s27
	v_dual_mov_b32 v40, 0 :: v_dual_add_nc_u32 v29, s26, v0
	v_mov_b32_e32 v41, 0
	s_wait_loadcnt_dscnt 0x0
	ds_store_b64 v23, v[38:39]
	v_cmp_gt_i32_e32 vcc_lo, s23, v29
	s_and_b32 s28, vcc_lo, s1
	s_delay_alu instid0(SALU_CYCLE_1)
	s_and_saveexec_b32 s27, s28
	s_cbranch_execz .LBB370_8
; %bb.12:                               ;   in Loop: Header=BB370_9 Depth=2
	flat_load_b64 v[40:41], v[20:21]
	s_branch .LBB370_8
.LBB370_13:                             ;   in Loop: Header=BB370_6 Depth=1
	s_wait_loadcnt 0x0
	s_wait_xcnt 0x0
	v_add_nc_u64_e32 v[16:17], s[18:19], v[16:17]
	s_delay_alu instid0(VALU_DEP_1)
	v_lshl_add_u64 v[18:19], v[6:7], 3, v[16:17]
	s_and_saveexec_b32 s26, s22
	s_cbranch_execz .LBB370_18
; %bb.14:                               ;   in Loop: Header=BB370_6 Depth=1
	v_mov_b64_e32 v[20:21], s[4:5]
	v_mov_b64_e32 v[38:39], s[14:15]
	s_and_b32 vcc_lo, exec_lo, s34
	s_mov_b32 s27, -1
	s_delay_alu instid0(VALU_DEP_2) | instskip(NEXT) | instid1(VALU_DEP_1)
	v_pk_mul_f32 v[20:21], v[36:37], v[20:21] op_sel_hi:[0,1]
	v_pk_fma_f32 v[36:37], v[34:35], v[38:39], v[20:21] op_sel_hi:[0,1,1]
	v_pk_fma_f32 v[20:21], v[34:35], v[38:39], v[20:21] neg_lo:[0,0,1] neg_hi:[0,0,1]
	v_lshl_add_u64 v[34:35], v[4:5], 3, v[18:19]
	s_delay_alu instid0(VALU_DEP_3)
	v_mov_b32_e32 v21, v37
	s_cbranch_vccz .LBB370_16
; %bb.15:                               ;   in Loop: Header=BB370_6 Depth=1
	flat_load_b64 v[36:37], v[34:35]
	v_mov_b64_e32 v[38:39], s[20:21]
	v_mov_b64_e32 v[40:41], s[2:3]
	s_mov_b32 s27, 0
	s_wait_loadcnt_dscnt 0x0
	s_delay_alu instid0(VALU_DEP_2) | instskip(NEXT) | instid1(VALU_DEP_1)
	v_pk_mul_f32 v[38:39], v[36:37], v[38:39]
	v_pk_fma_f32 v[42:43], v[36:37], v[40:41], v[38:39] op_sel:[0,0,1] op_sel_hi:[1,1,0]
	v_pk_fma_f32 v[36:37], v[36:37], v[40:41], v[38:39] op_sel:[0,0,1] op_sel_hi:[1,1,0] neg_lo:[0,0,1] neg_hi:[0,0,1]
	s_delay_alu instid0(VALU_DEP_2) | instskip(NEXT) | instid1(VALU_DEP_1)
	v_mov_b32_e32 v37, v43
	v_pk_add_f32 v[36:37], v[20:21], v[36:37]
	flat_store_b64 v[34:35], v[36:37]
.LBB370_16:                             ;   in Loop: Header=BB370_6 Depth=1
	s_and_not1_b32 vcc_lo, exec_lo, s27
	s_cbranch_vccnz .LBB370_18
; %bb.17:                               ;   in Loop: Header=BB370_6 Depth=1
	flat_store_b64 v[34:35], v[20:21]
.LBB370_18:                             ;   in Loop: Header=BB370_6 Depth=1
	s_wait_xcnt 0x0
	s_or_b32 exec_lo, exec_lo, s26
	s_and_saveexec_b32 s26, s35
	s_cbranch_execz .LBB370_23
; %bb.19:                               ;   in Loop: Header=BB370_6 Depth=1
	v_mov_b64_e32 v[20:21], s[4:5]
	v_mov_b64_e32 v[34:35], s[14:15]
	v_lshl_add_u64 v[18:19], v[8:9], 3, v[18:19]
	s_and_not1_b32 vcc_lo, exec_lo, s34
	s_mov_b32 s27, -1
	s_delay_alu instid0(VALU_DEP_3) | instskip(NEXT) | instid1(VALU_DEP_1)
	v_pk_mul_f32 v[20:21], v[32:33], v[20:21] op_sel_hi:[0,1]
	v_pk_fma_f32 v[32:33], v[30:31], v[34:35], v[20:21] op_sel_hi:[0,1,1]
	v_pk_fma_f32 v[20:21], v[30:31], v[34:35], v[20:21] neg_lo:[0,0,1] neg_hi:[0,0,1]
	s_delay_alu instid0(VALU_DEP_2)
	v_mov_b32_e32 v21, v33
	s_cbranch_vccnz .LBB370_21
; %bb.20:                               ;   in Loop: Header=BB370_6 Depth=1
	flat_load_b64 v[30:31], v[18:19]
	v_mov_b64_e32 v[32:33], s[20:21]
	v_mov_b64_e32 v[34:35], s[2:3]
	s_mov_b32 s27, 0
	s_wait_loadcnt_dscnt 0x0
	s_delay_alu instid0(VALU_DEP_2) | instskip(NEXT) | instid1(VALU_DEP_1)
	v_pk_mul_f32 v[32:33], v[30:31], v[32:33]
	v_pk_fma_f32 v[36:37], v[30:31], v[34:35], v[32:33] op_sel:[0,0,1] op_sel_hi:[1,1,0]
	v_pk_fma_f32 v[30:31], v[30:31], v[34:35], v[32:33] op_sel:[0,0,1] op_sel_hi:[1,1,0] neg_lo:[0,0,1] neg_hi:[0,0,1]
	s_delay_alu instid0(VALU_DEP_2) | instskip(NEXT) | instid1(VALU_DEP_1)
	v_mov_b32_e32 v31, v37
	v_pk_add_f32 v[30:31], v[20:21], v[30:31]
	flat_store_b64 v[18:19], v[30:31]
.LBB370_21:                             ;   in Loop: Header=BB370_6 Depth=1
	s_and_not1_b32 vcc_lo, exec_lo, s27
	s_cbranch_vccnz .LBB370_23
; %bb.22:                               ;   in Loop: Header=BB370_6 Depth=1
	flat_store_b64 v[18:19], v[20:21]
.LBB370_23:                             ;   in Loop: Header=BB370_6 Depth=1
	s_wait_xcnt 0x0
	s_or_b32 exec_lo, exec_lo, s26
	v_lshl_add_u64 v[16:17], v[10:11], 3, v[16:17]
	s_and_saveexec_b32 s26, s36
	s_cbranch_execz .LBB370_28
; %bb.24:                               ;   in Loop: Header=BB370_6 Depth=1
	v_mov_b64_e32 v[18:19], s[4:5]
	v_mov_b64_e32 v[20:21], s[14:15]
	s_and_not1_b32 vcc_lo, exec_lo, s34
	s_mov_b32 s27, -1
	s_delay_alu instid0(VALU_DEP_2) | instskip(NEXT) | instid1(VALU_DEP_1)
	v_pk_mul_f32 v[18:19], v[28:29], v[18:19] op_sel_hi:[0,1]
	v_pk_fma_f32 v[28:29], v[26:27], v[20:21], v[18:19] op_sel_hi:[0,1,1]
	v_pk_fma_f32 v[18:19], v[26:27], v[20:21], v[18:19] neg_lo:[0,0,1] neg_hi:[0,0,1]
	v_lshl_add_u64 v[20:21], v[4:5], 3, v[16:17]
	s_delay_alu instid0(VALU_DEP_3)
	v_mov_b32_e32 v19, v29
	s_cbranch_vccnz .LBB370_26
; %bb.25:                               ;   in Loop: Header=BB370_6 Depth=1
	flat_load_b64 v[28:29], v[20:21]
	v_mov_b64_e32 v[30:31], s[20:21]
	v_mov_b64_e32 v[32:33], s[2:3]
	s_mov_b32 s27, 0
	s_wait_loadcnt_dscnt 0x0
	s_delay_alu instid0(VALU_DEP_2) | instskip(NEXT) | instid1(VALU_DEP_1)
	v_pk_mul_f32 v[30:31], v[28:29], v[30:31]
	v_pk_fma_f32 v[34:35], v[28:29], v[32:33], v[30:31] op_sel:[0,0,1] op_sel_hi:[1,1,0]
	v_pk_fma_f32 v[28:29], v[28:29], v[32:33], v[30:31] op_sel:[0,0,1] op_sel_hi:[1,1,0] neg_lo:[0,0,1] neg_hi:[0,0,1]
	s_delay_alu instid0(VALU_DEP_2) | instskip(NEXT) | instid1(VALU_DEP_1)
	v_mov_b32_e32 v29, v35
	v_pk_add_f32 v[28:29], v[18:19], v[28:29]
	flat_store_b64 v[20:21], v[28:29]
.LBB370_26:                             ;   in Loop: Header=BB370_6 Depth=1
	s_and_not1_b32 vcc_lo, exec_lo, s27
	s_cbranch_vccnz .LBB370_28
; %bb.27:                               ;   in Loop: Header=BB370_6 Depth=1
	flat_store_b64 v[20:21], v[18:19]
.LBB370_28:                             ;   in Loop: Header=BB370_6 Depth=1
	s_wait_xcnt 0x0
	s_or_b32 exec_lo, exec_lo, s26
	s_and_saveexec_b32 s26, s37
	s_cbranch_execz .LBB370_5
; %bb.29:                               ;   in Loop: Header=BB370_6 Depth=1
	v_mov_b64_e32 v[18:19], s[4:5]
	v_mov_b64_e32 v[20:21], s[14:15]
	v_lshl_add_u64 v[16:17], v[8:9], 3, v[16:17]
	s_and_not1_b32 vcc_lo, exec_lo, s34
	s_mov_b32 s27, -1
	s_delay_alu instid0(VALU_DEP_3) | instskip(NEXT) | instid1(VALU_DEP_1)
	v_pk_mul_f32 v[18:19], v[24:25], v[18:19] op_sel_hi:[0,1]
	v_pk_fma_f32 v[28:29], v[22:23], v[20:21], v[18:19] op_sel_hi:[0,1,1]
	v_pk_fma_f32 v[18:19], v[22:23], v[20:21], v[18:19] neg_lo:[0,0,1] neg_hi:[0,0,1]
	s_delay_alu instid0(VALU_DEP_2)
	v_mov_b32_e32 v19, v29
	s_cbranch_vccnz .LBB370_31
; %bb.30:                               ;   in Loop: Header=BB370_6 Depth=1
	flat_load_b64 v[20:21], v[16:17]
	v_mov_b64_e32 v[28:29], s[20:21]
	v_mov_b64_e32 v[30:31], s[2:3]
	s_mov_b32 s27, 0
	s_wait_loadcnt_dscnt 0x0
	s_delay_alu instid0(VALU_DEP_2) | instskip(NEXT) | instid1(VALU_DEP_1)
	v_pk_mul_f32 v[28:29], v[20:21], v[28:29]
	v_pk_fma_f32 v[32:33], v[20:21], v[30:31], v[28:29] op_sel:[0,0,1] op_sel_hi:[1,1,0]
	v_pk_fma_f32 v[20:21], v[20:21], v[30:31], v[28:29] op_sel:[0,0,1] op_sel_hi:[1,1,0] neg_lo:[0,0,1] neg_hi:[0,0,1]
	s_delay_alu instid0(VALU_DEP_2) | instskip(NEXT) | instid1(VALU_DEP_1)
	v_mov_b32_e32 v21, v33
	v_pk_add_f32 v[20:21], v[18:19], v[20:21]
	flat_store_b64 v[16:17], v[20:21]
.LBB370_31:                             ;   in Loop: Header=BB370_6 Depth=1
	s_and_not1_b32 vcc_lo, exec_lo, s27
	s_cbranch_vccnz .LBB370_5
; %bb.32:                               ;   in Loop: Header=BB370_6 Depth=1
	flat_store_b64 v[16:17], v[18:19]
	s_branch .LBB370_5
.LBB370_33:
	s_sendmsg sendmsg(MSG_DEALLOC_VGPRS)
	s_endpgm
	.section	.rodata,"a",@progbits
	.p2align	6, 0x0
	.amdhsa_kernel _ZL29rocblas_internal_gemmt_kernelIiLi16ELi32ELi8ELc78ELc84ELc76ELb0ELb0E19rocblas_complex_numIfEPKS1_PKS3_PKPS1_EviT_T9_T10_S9_lSB_S9_lSA_T11_S9_li
		.amdhsa_group_segment_fixed_size 4096
		.amdhsa_private_segment_fixed_size 0
		.amdhsa_kernarg_size 100
		.amdhsa_user_sgpr_count 2
		.amdhsa_user_sgpr_dispatch_ptr 0
		.amdhsa_user_sgpr_queue_ptr 0
		.amdhsa_user_sgpr_kernarg_segment_ptr 1
		.amdhsa_user_sgpr_dispatch_id 0
		.amdhsa_user_sgpr_kernarg_preload_length 0
		.amdhsa_user_sgpr_kernarg_preload_offset 0
		.amdhsa_user_sgpr_private_segment_size 0
		.amdhsa_wavefront_size32 1
		.amdhsa_uses_dynamic_stack 0
		.amdhsa_enable_private_segment 0
		.amdhsa_system_sgpr_workgroup_id_x 1
		.amdhsa_system_sgpr_workgroup_id_y 1
		.amdhsa_system_sgpr_workgroup_id_z 1
		.amdhsa_system_sgpr_workgroup_info 0
		.amdhsa_system_vgpr_workitem_id 1
		.amdhsa_next_free_vgpr 71
		.amdhsa_next_free_sgpr 39
		.amdhsa_named_barrier_count 0
		.amdhsa_reserve_vcc 1
		.amdhsa_float_round_mode_32 0
		.amdhsa_float_round_mode_16_64 0
		.amdhsa_float_denorm_mode_32 3
		.amdhsa_float_denorm_mode_16_64 3
		.amdhsa_fp16_overflow 0
		.amdhsa_memory_ordered 1
		.amdhsa_forward_progress 1
		.amdhsa_inst_pref_size 26
		.amdhsa_round_robin_scheduling 0
		.amdhsa_exception_fp_ieee_invalid_op 0
		.amdhsa_exception_fp_denorm_src 0
		.amdhsa_exception_fp_ieee_div_zero 0
		.amdhsa_exception_fp_ieee_overflow 0
		.amdhsa_exception_fp_ieee_underflow 0
		.amdhsa_exception_fp_ieee_inexact 0
		.amdhsa_exception_int_div_zero 0
	.end_amdhsa_kernel
	.section	.text._ZL29rocblas_internal_gemmt_kernelIiLi16ELi32ELi8ELc78ELc84ELc76ELb0ELb0E19rocblas_complex_numIfEPKS1_PKS3_PKPS1_EviT_T9_T10_S9_lSB_S9_lSA_T11_S9_li,"axG",@progbits,_ZL29rocblas_internal_gemmt_kernelIiLi16ELi32ELi8ELc78ELc84ELc76ELb0ELb0E19rocblas_complex_numIfEPKS1_PKS3_PKPS1_EviT_T9_T10_S9_lSB_S9_lSA_T11_S9_li,comdat
.Lfunc_end370:
	.size	_ZL29rocblas_internal_gemmt_kernelIiLi16ELi32ELi8ELc78ELc84ELc76ELb0ELb0E19rocblas_complex_numIfEPKS1_PKS3_PKPS1_EviT_T9_T10_S9_lSB_S9_lSA_T11_S9_li, .Lfunc_end370-_ZL29rocblas_internal_gemmt_kernelIiLi16ELi32ELi8ELc78ELc84ELc76ELb0ELb0E19rocblas_complex_numIfEPKS1_PKS3_PKPS1_EviT_T9_T10_S9_lSB_S9_lSA_T11_S9_li
                                        ; -- End function
	.set _ZL29rocblas_internal_gemmt_kernelIiLi16ELi32ELi8ELc78ELc84ELc76ELb0ELb0E19rocblas_complex_numIfEPKS1_PKS3_PKPS1_EviT_T9_T10_S9_lSB_S9_lSA_T11_S9_li.num_vgpr, 71
	.set _ZL29rocblas_internal_gemmt_kernelIiLi16ELi32ELi8ELc78ELc84ELc76ELb0ELb0E19rocblas_complex_numIfEPKS1_PKS3_PKPS1_EviT_T9_T10_S9_lSB_S9_lSA_T11_S9_li.num_agpr, 0
	.set _ZL29rocblas_internal_gemmt_kernelIiLi16ELi32ELi8ELc78ELc84ELc76ELb0ELb0E19rocblas_complex_numIfEPKS1_PKS3_PKPS1_EviT_T9_T10_S9_lSB_S9_lSA_T11_S9_li.numbered_sgpr, 39
	.set _ZL29rocblas_internal_gemmt_kernelIiLi16ELi32ELi8ELc78ELc84ELc76ELb0ELb0E19rocblas_complex_numIfEPKS1_PKS3_PKPS1_EviT_T9_T10_S9_lSB_S9_lSA_T11_S9_li.num_named_barrier, 0
	.set _ZL29rocblas_internal_gemmt_kernelIiLi16ELi32ELi8ELc78ELc84ELc76ELb0ELb0E19rocblas_complex_numIfEPKS1_PKS3_PKPS1_EviT_T9_T10_S9_lSB_S9_lSA_T11_S9_li.private_seg_size, 0
	.set _ZL29rocblas_internal_gemmt_kernelIiLi16ELi32ELi8ELc78ELc84ELc76ELb0ELb0E19rocblas_complex_numIfEPKS1_PKS3_PKPS1_EviT_T9_T10_S9_lSB_S9_lSA_T11_S9_li.uses_vcc, 1
	.set _ZL29rocblas_internal_gemmt_kernelIiLi16ELi32ELi8ELc78ELc84ELc76ELb0ELb0E19rocblas_complex_numIfEPKS1_PKS3_PKPS1_EviT_T9_T10_S9_lSB_S9_lSA_T11_S9_li.uses_flat_scratch, 0
	.set _ZL29rocblas_internal_gemmt_kernelIiLi16ELi32ELi8ELc78ELc84ELc76ELb0ELb0E19rocblas_complex_numIfEPKS1_PKS3_PKPS1_EviT_T9_T10_S9_lSB_S9_lSA_T11_S9_li.has_dyn_sized_stack, 0
	.set _ZL29rocblas_internal_gemmt_kernelIiLi16ELi32ELi8ELc78ELc84ELc76ELb0ELb0E19rocblas_complex_numIfEPKS1_PKS3_PKPS1_EviT_T9_T10_S9_lSB_S9_lSA_T11_S9_li.has_recursion, 0
	.set _ZL29rocblas_internal_gemmt_kernelIiLi16ELi32ELi8ELc78ELc84ELc76ELb0ELb0E19rocblas_complex_numIfEPKS1_PKS3_PKPS1_EviT_T9_T10_S9_lSB_S9_lSA_T11_S9_li.has_indirect_call, 0
	.section	.AMDGPU.csdata,"",@progbits
; Kernel info:
; codeLenInByte = 3244
; TotalNumSgprs: 41
; NumVgprs: 71
; ScratchSize: 0
; MemoryBound: 0
; FloatMode: 240
; IeeeMode: 1
; LDSByteSize: 4096 bytes/workgroup (compile time only)
; SGPRBlocks: 0
; VGPRBlocks: 4
; NumSGPRsForWavesPerEU: 41
; NumVGPRsForWavesPerEU: 71
; NamedBarCnt: 0
; Occupancy: 12
; WaveLimiterHint : 1
; COMPUTE_PGM_RSRC2:SCRATCH_EN: 0
; COMPUTE_PGM_RSRC2:USER_SGPR: 2
; COMPUTE_PGM_RSRC2:TRAP_HANDLER: 0
; COMPUTE_PGM_RSRC2:TGID_X_EN: 1
; COMPUTE_PGM_RSRC2:TGID_Y_EN: 1
; COMPUTE_PGM_RSRC2:TGID_Z_EN: 1
; COMPUTE_PGM_RSRC2:TIDIG_COMP_CNT: 1
	.section	.text._ZL29rocblas_internal_gemmt_kernelIiLi16ELi32ELi8ELc78ELc67ELc76ELb0ELb1E19rocblas_complex_numIfEPKS1_PKS3_PKPS1_EviT_T9_T10_S9_lSB_S9_lSA_T11_S9_li,"axG",@progbits,_ZL29rocblas_internal_gemmt_kernelIiLi16ELi32ELi8ELc78ELc67ELc76ELb0ELb1E19rocblas_complex_numIfEPKS1_PKS3_PKPS1_EviT_T9_T10_S9_lSB_S9_lSA_T11_S9_li,comdat
	.globl	_ZL29rocblas_internal_gemmt_kernelIiLi16ELi32ELi8ELc78ELc67ELc76ELb0ELb1E19rocblas_complex_numIfEPKS1_PKS3_PKPS1_EviT_T9_T10_S9_lSB_S9_lSA_T11_S9_li ; -- Begin function _ZL29rocblas_internal_gemmt_kernelIiLi16ELi32ELi8ELc78ELc67ELc76ELb0ELb1E19rocblas_complex_numIfEPKS1_PKS3_PKPS1_EviT_T9_T10_S9_lSB_S9_lSA_T11_S9_li
	.p2align	8
	.type	_ZL29rocblas_internal_gemmt_kernelIiLi16ELi32ELi8ELc78ELc67ELc76ELb0ELb1E19rocblas_complex_numIfEPKS1_PKS3_PKPS1_EviT_T9_T10_S9_lSB_S9_lSA_T11_S9_li,@function
_ZL29rocblas_internal_gemmt_kernelIiLi16ELi32ELi8ELc78ELc67ELc76ELb0ELb1E19rocblas_complex_numIfEPKS1_PKS3_PKPS1_EviT_T9_T10_S9_lSB_S9_lSA_T11_S9_li: ; @_ZL29rocblas_internal_gemmt_kernelIiLi16ELi32ELi8ELc78ELc67ELc76ELb0ELb1E19rocblas_complex_numIfEPKS1_PKS3_PKPS1_EviT_T9_T10_S9_lSB_S9_lSA_T11_S9_li
; %bb.0:
	s_load_b128 s[12:15], s[0:1], 0x38
	s_wait_kmcnt 0x0
	s_load_b64 s[20:21], s[14:15], 0x0
	s_clause 0x1
	s_load_b128 s[4:7], s[0:1], 0x8
	s_load_b64 s[22:23], s[0:1], 0x0
	s_wait_kmcnt 0x0
	s_cmp_neq_f32 s20, 1.0
	s_load_b64 s[14:15], s[4:5], 0x0
	s_cselect_b32 s3, -1, 0
	s_wait_xcnt 0x0
	s_and_b32 s4, s21, 0x7fffffff
	s_delay_alu instid0(SALU_CYCLE_1) | instskip(SKIP_3) | instid1(SALU_CYCLE_1)
	s_cmp_eq_u32 s4, 0
	s_cselect_b32 s2, -1, 0
	s_cmp_lg_u32 s4, 0
	s_cselect_b32 s4, -1, 0
	s_or_b32 s3, s3, s4
	s_delay_alu instid0(SALU_CYCLE_1)
	s_and_b32 vcc_lo, exec_lo, s3
	s_cbranch_vccnz .LBB371_2
; %bb.1:
	s_cmp_lg_u32 s23, 0
	s_cselect_b32 s3, -1, 0
	s_wait_kmcnt 0x0
	s_cmp_neq_f32 s14, 0
	s_cselect_b32 s4, -1, 0
	s_cmp_neq_f32 s15, 0
	s_cselect_b32 s5, -1, 0
	s_delay_alu instid0(SALU_CYCLE_1) | instskip(NEXT) | instid1(SALU_CYCLE_1)
	s_or_b32 s4, s4, s5
	s_and_b32 s3, s3, s4
.LBB371_2:
	s_delay_alu instid0(SALU_CYCLE_1)
	s_and_not1_b32 vcc_lo, exec_lo, s3
	s_cbranch_vccnz .LBB371_35
; %bb.3:
	s_load_b32 s33, s[0:1], 0x60
	s_bfe_u32 s3, ttmp6, 0x40014
	s_lshr_b32 s4, ttmp7, 16
	s_add_co_i32 s3, s3, 1
	s_bfe_u32 s8, ttmp6, 0x40008
	s_mul_i32 s5, s4, s3
	s_getreg_b32 s3, hwreg(HW_REG_IB_STS2, 6, 4)
	s_add_co_i32 s8, s8, s5
	s_cmp_eq_u32 s3, 0
	s_mov_b32 s25, 0
	s_cselect_b32 s24, s4, s8
	s_wait_kmcnt 0x0
	s_cmp_ge_u32 s24, s33
	s_cbranch_scc1 .LBB371_35
; %bb.4:
	s_clause 0x4
	s_load_b32 s28, s[0:1], 0x18
	s_load_b32 s26, s[0:1], 0x30
	s_load_b96 s[16:18], s[0:1], 0x48
	s_load_b128 s[8:11], s[0:1], 0x20
	s_load_b64 s[30:31], s[0:1], 0x58
	s_wait_xcnt 0x0
	s_bfe_u32 s1, ttmp6, 0x4000c
	s_bfe_u32 s5, ttmp6, 0x40010
	v_and_b32_e32 v4, 0x3ff, v0
	v_bfe_u32 v5, v0, 10, 10
	s_and_b32 s4, ttmp7, 0xffff
	s_add_co_i32 s1, s1, 1
	s_add_co_i32 s5, s5, 1
	s_and_b32 s0, ttmp6, 15
	s_bfe_u32 s19, ttmp6, 0x40004
	s_mul_i32 s1, ttmp9, s1
	s_mul_i32 s5, s4, s5
	s_add_co_i32 s0, s0, s1
	s_add_co_i32 s19, s19, s5
	v_lshl_add_u32 v1, v5, 4, v4
	v_dual_mov_b32 v3, 0 :: v_dual_bitop2_b32 v0, 7, v0 bitop3:0x40
	s_wait_kmcnt 0x0
	s_ashr_i32 s29, s28, 31
	s_ashr_i32 s27, s26, 31
	;; [unrolled: 1-line block ×3, first 2 shown]
	s_cmp_eq_u32 s3, 0
	v_dual_lshrrev_b32 v2, 5, v1 :: v_dual_lshrrev_b32 v6, 3, v1
	s_cselect_b32 s1, s4, s19
	s_cselect_b32 s0, ttmp9, s0
	s_lshl_b32 s1, s1, 5
	s_delay_alu instid0(VALU_DEP_1) | instid1(SALU_CYCLE_1)
	v_dual_add_nc_u32 v12, s1, v6 :: v_dual_bitop2_b32 v1, 31, v1 bitop3:0x40
	s_lshl_b32 s3, s0, 5
	v_dual_add_nc_u32 v18, s1, v5 :: v_dual_lshlrev_b32 v7, 3, v0
	s_delay_alu instid0(VALU_DEP_2) | instskip(SKIP_2) | instid1(VALU_DEP_4)
	v_dual_lshlrev_b32 v8, 3, v1 :: v_dual_bitop2_b32 v14, s3, v1 bitop3:0x54
	v_mov_b32_e32 v1, v3
	v_mul_u64_e32 v[20:21], s[28:29], v[2:3]
	v_dual_ashrrev_i32 v13, 31, v12 :: v_dual_add_nc_u32 v28, 16, v18
	s_cmp_neq_f32 s14, 0
	s_delay_alu instid0(VALU_DEP_3)
	v_mul_u64_e32 v[16:17], s[26:27], v[0:1]
	v_lshlrev_b32_e32 v1, 3, v4
	v_lshl_or_b32 v6, v6, 6, v7
	s_cselect_b32 s0, -1, 0
	s_cmp_neq_f32 s15, 0
	v_dual_ashrrev_i32 v19, 31, v18 :: v_dual_add_nc_u32 v4, s3, v4
	v_dual_ashrrev_i32 v29, 31, v28 :: v_dual_ashrrev_i32 v15, 31, v14
	s_mov_b32 s4, s18
	s_cselect_b32 s18, -1, 0
	v_add_nc_u32_e32 v25, 0x800, v6
	v_mul_u64_e32 v[6:7], s[4:5], v[18:19]
	v_mul_u64_e32 v[10:11], s[4:5], v[28:29]
	s_or_b32 s18, s0, s18
	s_cmp_gt_i32 s23, 0
	v_lshl_or_b32 v23, v2, 8, v8
	s_cselect_b32 s19, -1, 0
	s_cmp_neq_f32 s20, 0
	v_add_nc_u32_e32 v8, 16, v4
	v_lshl_add_u32 v27, v5, 6, 0x800
	v_ashrrev_i32_e32 v5, 31, v4
	s_cselect_b32 s3, -1, 0
	s_xor_b32 s34, s2, -1
	v_cmp_gt_i32_e64 s4, s22, v8
	s_or_b32 s34, s3, s34
	v_cmp_le_i32_e64 s3, v18, v8
	v_cmp_le_i32_e64 s5, v28, v8
	;; [unrolled: 1-line block ×3, first 2 shown]
	v_cmp_gt_i32_e64 s2, s22, v4
	s_lshl_b64 s[8:9], s[8:9], 3
	s_and_b32 s35, s3, s4
	s_and_b32 s36, s5, s4
	s_lshl_b64 s[4:5], s[12:13], 3
	v_cmp_gt_i32_e32 vcc_lo, s22, v12
	v_lshl_add_u64 v[16:17], v[16:17], 3, s[4:5]
	v_lshl_add_u64 v[18:19], v[20:21], 3, s[8:9]
	v_cmp_gt_i32_e64 s0, s22, v14
	s_and_b32 s22, s1, s2
	v_cmp_le_i32_e64 s1, v28, v4
	v_lshl_add_u64 v[12:13], v[12:13], 3, v[16:17]
	v_ashrrev_i32_e32 v9, 31, v8
	v_lshl_add_u64 v[14:15], v[14:15], 3, v[18:19]
	s_mov_b32 s3, s20
	s_and_b32 s1, s1, s2
	v_or_b32_e32 v12, 4, v12
	s_mov_b32 s2, s20
	s_mov_b32 s20, s21
	;; [unrolled: 1-line block ×4, first 2 shown]
	s_lshl_b64 s[8:9], s[28:29], 6
	s_and_b32 s28, s18, s19
	s_lshl_b64 s[12:13], s[26:27], 6
	s_xor_b32 s26, vcc_lo, -1
	s_lshl_b64 s[18:19], s[30:31], 3
	s_branch .LBB371_6
.LBB371_5:                              ;   in Loop: Header=BB371_6 Depth=1
	s_wait_xcnt 0x0
	s_or_b32 exec_lo, exec_lo, s27
	s_add_co_i32 s24, s24, 0x10000
	s_delay_alu instid0(SALU_CYCLE_1)
	s_cmp_lt_u32 s24, s33
	s_cbranch_scc0 .LBB371_35
.LBB371_6:                              ; =>This Loop Header: Depth=1
                                        ;     Child Loop BB371_9 Depth 2
	v_dual_mov_b32 v16, s24 :: v_dual_mov_b32 v34, 0
	v_dual_mov_b32 v36, 0 :: v_dual_mov_b32 v30, 0
	;; [unrolled: 1-line block ×3, first 2 shown]
	global_load_b64 v[16:17], v16, s[16:17] scale_offset
	v_dual_mov_b32 v28, 0 :: v_dual_mov_b32 v22, 0
	v_mov_b32_e32 v24, 0
	s_and_not1_b32 vcc_lo, exec_lo, s28
	s_cbranch_vccnz .LBB371_15
; %bb.7:                                ;   in Loop: Header=BB371_6 Depth=1
	s_lshl_b64 s[30:31], s[24:25], 3
	v_dual_mov_b32 v24, 0 :: v_dual_mov_b32 v22, 0
	s_add_nc_u64 s[38:39], s[6:7], s[30:31]
	s_add_nc_u64 s[30:31], s[10:11], s[30:31]
	s_clause 0x1
	global_load_b64 v[18:19], v3, s[38:39]
	global_load_b64 v[20:21], v3, s[30:31]
	v_dual_mov_b32 v28, 0 :: v_dual_mov_b32 v26, 0
	v_dual_mov_b32 v32, 0 :: v_dual_mov_b32 v30, 0
	;; [unrolled: 1-line block ×3, first 2 shown]
	s_mov_b32 s27, 0
	s_wait_loadcnt 0x1
	v_add_nc_u64_e32 v[18:19], v[18:19], v[14:15]
	s_wait_loadcnt 0x0
	v_add_nc_u64_e32 v[20:21], v[20:21], v[12:13]
	s_branch .LBB371_9
.LBB371_8:                              ;   in Loop: Header=BB371_9 Depth=2
	s_wait_xcnt 0x0
	s_or_b32 exec_lo, exec_lo, s29
	ds_store_b32 v25, v29 offset:4
	s_wait_dscnt 0x0
	s_barrier_signal -1
	s_barrier_wait -1
	ds_load_b128 v[38:41], v27
	ds_load_2addr_b64 v[42:45], v1 offset1:16
	ds_load_b128 v[46:49], v27 offset:1024
	ds_load_b128 v[50:53], v27 offset:16
	ds_load_2addr_b64 v[54:57], v1 offset0:32 offset1:48
	ds_load_b128 v[58:61], v27 offset:32
	ds_load_b128 v[62:65], v27 offset:48
	;; [unrolled: 1-line block ×3, first 2 shown]
	v_add_nc_u64_e32 v[18:19], s[8:9], v[18:19]
	v_add_nc_u64_e32 v[20:21], s[12:13], v[20:21]
	s_add_co_i32 s27, s27, 8
	s_delay_alu instid0(SALU_CYCLE_1)
	s_cmp_lt_i32 s27, s23
	s_wait_dscnt 0x6
	v_dual_mul_f32 v29, v39, v43 :: v_dual_mul_f32 v31, v38, v43
	v_dual_mul_f32 v33, v39, v45 :: v_dual_mul_f32 v35, v38, v45
	s_wait_dscnt 0x5
	v_dual_mul_f32 v37, v47, v43 :: v_dual_mul_f32 v43, v46, v43
	v_dual_mul_f32 v70, v47, v45 :: v_dual_mul_f32 v45, v46, v45
	v_dual_fma_f32 v29, v38, v42, -v29 :: v_dual_fmac_f32 v31, v39, v42
	v_dual_fma_f32 v33, v38, v44, -v33 :: v_dual_fmac_f32 v35, v39, v44
	s_delay_alu instid0(VALU_DEP_4) | instskip(NEXT) | instid1(VALU_DEP_3)
	v_dual_fma_f32 v37, v46, v42, -v37 :: v_dual_fmac_f32 v43, v47, v42
	v_dual_fma_f32 v38, v46, v44, -v70 :: v_dual_add_f32 v36, v36, v31
	s_delay_alu instid0(VALU_DEP_3) | instskip(NEXT) | instid1(VALU_DEP_3)
	v_dual_add_f32 v34, v34, v29 :: v_dual_add_f32 v32, v32, v35
	v_dual_add_f32 v33, v30, v33 :: v_dual_add_f32 v35, v28, v43
	s_wait_dscnt 0x3
	v_dual_add_f32 v26, v26, v37 :: v_dual_mul_f32 v37, v41, v55
	ds_load_2addr_b64 v[28:31], v1 offset0:64 offset1:80
	v_dual_fmac_f32 v45, v47, v44 :: v_dual_add_f32 v22, v22, v38
	v_dual_mul_f32 v38, v40, v55 :: v_dual_fma_f32 v37, v40, v54, -v37
	v_mul_f32_e32 v39, v41, v57
	s_delay_alu instid0(VALU_DEP_2) | instskip(SKIP_1) | instid1(VALU_DEP_3)
	v_dual_add_f32 v24, v24, v45 :: v_dual_fmac_f32 v38, v41, v54
	v_mul_f32_e32 v42, v40, v57
	v_dual_add_f32 v37, v34, v37 :: v_dual_fma_f32 v34, v40, v56, -v39
	s_delay_alu instid0(VALU_DEP_3) | instskip(NEXT) | instid1(VALU_DEP_3)
	v_dual_mul_f32 v39, v49, v55 :: v_dual_add_f32 v36, v36, v38
	v_dual_fmac_f32 v42, v41, v56 :: v_dual_mul_f32 v38, v48, v55
	s_delay_alu instid0(VALU_DEP_3) | instskip(NEXT) | instid1(VALU_DEP_3)
	v_dual_add_f32 v40, v33, v34 :: v_dual_mul_f32 v41, v48, v57
	v_dual_fma_f32 v33, v48, v54, -v39 :: v_dual_mul_f32 v34, v49, v57
	s_delay_alu instid0(VALU_DEP_3) | instskip(NEXT) | instid1(VALU_DEP_3)
	v_add_f32_e32 v39, v32, v42
	v_dual_fmac_f32 v38, v49, v54 :: v_dual_fmac_f32 v41, v49, v56
	s_wait_dscnt 0x0
	v_mul_f32_e32 v42, v50, v29
	v_add_f32_e32 v26, v26, v33
	v_dual_mul_f32 v33, v51, v29 :: v_dual_fma_f32 v32, v48, v56, -v34
	v_add_f32_e32 v38, v35, v38
	s_delay_alu instid0(VALU_DEP_4) | instskip(NEXT) | instid1(VALU_DEP_3)
	v_dual_mul_f32 v44, v51, v31 :: v_dual_fmac_f32 v42, v51, v28
	v_fma_f32 v43, v50, v28, -v33
	s_delay_alu instid0(VALU_DEP_4) | instskip(SKIP_4) | instid1(VALU_DEP_3)
	v_add_f32_e32 v22, v22, v32
	ds_load_2addr_b64 v[32:35], v1 offset0:96 offset1:112
	v_dual_add_f32 v24, v24, v41 :: v_dual_mul_f32 v41, v50, v31
	v_dual_add_f32 v37, v37, v43 :: v_dual_fma_f32 v43, v50, v30, -v44
	v_dual_add_f32 v36, v36, v42 :: v_dual_mul_f32 v42, v67, v29
	v_dual_mul_f32 v29, v66, v29 :: v_dual_fmac_f32 v41, v51, v30
	s_delay_alu instid0(VALU_DEP_3) | instskip(NEXT) | instid1(VALU_DEP_3)
	v_add_f32_e32 v40, v40, v43
	v_dual_mul_f32 v43, v67, v31 :: v_dual_fma_f32 v42, v66, v28, -v42
	s_delay_alu instid0(VALU_DEP_3) | instskip(NEXT) | instid1(VALU_DEP_2)
	v_dual_fmac_f32 v29, v67, v28 :: v_dual_mul_f32 v44, v66, v31
	v_dual_add_f32 v41, v39, v41 :: v_dual_fma_f32 v28, v66, v30, -v43
	s_delay_alu instid0(VALU_DEP_3) | instskip(NEXT) | instid1(VALU_DEP_3)
	v_add_f32_e32 v26, v26, v42
	v_dual_add_f32 v42, v38, v29 :: v_dual_fmac_f32 v44, v67, v30
	s_wait_dscnt 0x0
	s_delay_alu instid0(VALU_DEP_3)
	v_dual_mul_f32 v38, v53, v33 :: v_dual_add_f32 v22, v22, v28
	v_mul_f32_e32 v39, v52, v33
	ds_load_2addr_b64 v[28:31], v1 offset0:128 offset1:144
	v_dual_mul_f32 v43, v53, v35 :: v_dual_fma_f32 v38, v52, v32, -v38
	v_fmac_f32_e32 v39, v53, v32
	v_add_f32_e32 v24, v24, v44
	s_delay_alu instid0(VALU_DEP_3) | instskip(NEXT) | instid1(VALU_DEP_4)
	v_dual_mul_f32 v44, v52, v35 :: v_dual_fma_f32 v43, v52, v34, -v43
	v_add_f32_e32 v45, v37, v38
	s_delay_alu instid0(VALU_DEP_4) | instskip(NEXT) | instid1(VALU_DEP_3)
	v_dual_mul_f32 v37, v69, v33 :: v_dual_add_f32 v46, v36, v39
	v_dual_fmac_f32 v44, v53, v34 :: v_dual_add_f32 v47, v40, v43
	s_delay_alu instid0(VALU_DEP_2)
	v_dual_mul_f32 v33, v68, v33 :: v_dual_fma_f32 v40, v68, v32, -v37
	v_mul_f32_e32 v43, v69, v35
	ds_load_b128 v[36:39], v27 offset:1056
	v_dual_add_f32 v44, v41, v44 :: v_dual_mul_f32 v41, v68, v35
	v_dual_fmac_f32 v33, v69, v32 :: v_dual_fma_f32 v32, v68, v34, -v43
	s_wait_dscnt 0x1
	v_dual_add_f32 v26, v26, v40 :: v_dual_mul_f32 v35, v59, v29
	s_delay_alu instid0(VALU_DEP_2) | instskip(NEXT) | instid1(VALU_DEP_3)
	v_dual_fmac_f32 v41, v69, v34 :: v_dual_add_f32 v48, v42, v33
	v_dual_mul_f32 v42, v59, v31 :: v_dual_add_f32 v22, v22, v32
	s_delay_alu instid0(VALU_DEP_3)
	v_dual_mul_f32 v49, v58, v29 :: v_dual_fma_f32 v40, v58, v28, -v35
	ds_load_2addr_b64 v[32:35], v1 offset0:160 offset1:176
	v_dual_add_f32 v24, v24, v41 :: v_dual_mul_f32 v50, v58, v31
	v_fmac_f32_e32 v49, v59, v28
	v_dual_add_f32 v45, v45, v40 :: v_dual_fma_f32 v51, v58, v30, -v42
	ds_load_b128 v[40:43], v27 offset:1072
	s_wait_dscnt 0x2
	v_dual_mul_f32 v52, v37, v29 :: v_dual_fmac_f32 v50, v59, v30
	v_dual_add_f32 v46, v46, v49 :: v_dual_add_f32 v47, v47, v51
	s_delay_alu instid0(VALU_DEP_2) | instskip(NEXT) | instid1(VALU_DEP_3)
	v_dual_mul_f32 v29, v36, v29 :: v_dual_fma_f32 v49, v36, v28, -v52
	v_dual_mul_f32 v51, v37, v31 :: v_dual_add_f32 v44, v44, v50
	s_delay_alu instid0(VALU_DEP_2) | instskip(NEXT) | instid1(VALU_DEP_2)
	v_dual_mul_f32 v50, v36, v31 :: v_dual_fmac_f32 v29, v37, v28
	v_dual_add_f32 v26, v26, v49 :: v_dual_fma_f32 v28, v36, v30, -v51
	s_wait_dscnt 0x1
	v_mul_f32_e32 v31, v61, v33
	s_delay_alu instid0(VALU_DEP_3) | instskip(NEXT) | instid1(VALU_DEP_3)
	v_dual_add_f32 v36, v48, v29 :: v_dual_fmac_f32 v50, v37, v30
	v_dual_mul_f32 v37, v60, v33 :: v_dual_add_f32 v22, v22, v28
	s_delay_alu instid0(VALU_DEP_3) | instskip(SKIP_3) | instid1(VALU_DEP_2)
	v_dual_mul_f32 v49, v61, v35 :: v_dual_fma_f32 v48, v60, v32, -v31
	ds_load_2addr_b64 v[28:31], v1 offset0:192 offset1:208
	v_dual_fmac_f32 v37, v61, v32 :: v_dual_add_f32 v24, v24, v50
	v_dual_fma_f32 v49, v60, v34, -v49 :: v_dual_add_f32 v48, v45, v48
	v_dual_mul_f32 v45, v60, v35 :: v_dual_add_f32 v37, v46, v37
	v_dual_mul_f32 v46, v39, v33 :: v_dual_mul_f32 v33, v38, v33
	s_delay_alu instid0(VALU_DEP_2) | instskip(NEXT) | instid1(VALU_DEP_2)
	v_dual_add_f32 v49, v47, v49 :: v_dual_fmac_f32 v45, v61, v34
	v_dual_mul_f32 v47, v39, v35 :: v_dual_fma_f32 v46, v38, v32, -v46
	s_delay_alu instid0(VALU_DEP_3) | instskip(NEXT) | instid1(VALU_DEP_2)
	v_dual_fmac_f32 v33, v39, v32 :: v_dual_mul_f32 v35, v38, v35
	v_dual_add_f32 v32, v44, v45 :: v_dual_fma_f32 v38, v38, v34, -v47
	s_delay_alu instid0(VALU_DEP_2)
	v_dual_add_f32 v26, v26, v46 :: v_dual_add_f32 v33, v36, v33
	ds_load_2addr_b64 v[44:47], v1 offset0:224 offset1:240
	s_wait_dscnt 0x1
	v_mul_f32_e32 v36, v63, v29
	v_dual_fmac_f32 v35, v39, v34 :: v_dual_mul_f32 v34, v62, v29
	v_add_f32_e32 v22, v22, v38
	s_delay_alu instid0(VALU_DEP_3) | instskip(NEXT) | instid1(VALU_DEP_3)
	v_dual_mul_f32 v38, v62, v31 :: v_dual_fma_f32 v36, v62, v28, -v36
	v_add_f32_e32 v24, v24, v35
	s_delay_alu instid0(VALU_DEP_4) | instskip(NEXT) | instid1(VALU_DEP_3)
	v_dual_mul_f32 v35, v63, v31 :: v_dual_fmac_f32 v34, v63, v28
	v_dual_mul_f32 v39, v41, v29 :: v_dual_add_f32 v36, v48, v36
	s_delay_alu instid0(VALU_DEP_2) | instskip(NEXT) | instid1(VALU_DEP_3)
	v_dual_fmac_f32 v38, v63, v30 :: v_dual_fma_f32 v35, v62, v30, -v35
	v_dual_add_f32 v37, v37, v34 :: v_dual_mul_f32 v29, v40, v29
	s_delay_alu instid0(VALU_DEP_3) | instskip(NEXT) | instid1(VALU_DEP_3)
	v_dual_fma_f32 v34, v40, v28, -v39 :: v_dual_mul_f32 v39, v41, v31
	v_dual_add_f32 v32, v32, v38 :: v_dual_add_f32 v35, v49, v35
	s_delay_alu instid0(VALU_DEP_2) | instskip(NEXT) | instid1(VALU_DEP_3)
	v_dual_fmac_f32 v29, v41, v28 :: v_dual_add_f32 v26, v26, v34
	v_dual_mul_f32 v28, v40, v31 :: v_dual_fma_f32 v31, v40, v30, -v39
	s_wait_dscnt 0x0
	v_dual_mul_f32 v34, v65, v45 :: v_dual_mul_f32 v38, v64, v45
	s_delay_alu instid0(VALU_DEP_3) | instskip(NEXT) | instid1(VALU_DEP_3)
	v_add_f32_e32 v29, v33, v29
	v_dual_fmac_f32 v28, v41, v30 :: v_dual_add_f32 v22, v22, v31
	s_delay_alu instid0(VALU_DEP_3) | instskip(NEXT) | instid1(VALU_DEP_4)
	v_fma_f32 v30, v64, v44, -v34
	v_dual_fmac_f32 v38, v65, v44 :: v_dual_mul_f32 v31, v65, v47
	v_dual_mul_f32 v33, v64, v47 :: v_dual_mul_f32 v39, v42, v47
	s_delay_alu instid0(VALU_DEP_3) | instskip(NEXT) | instid1(VALU_DEP_3)
	v_add_f32_e32 v34, v36, v30
	v_dual_add_f32 v36, v37, v38 :: v_dual_add_f32 v24, v24, v28
	s_delay_alu instid0(VALU_DEP_3) | instskip(SKIP_2) | instid1(VALU_DEP_3)
	v_dual_fmac_f32 v33, v65, v46 :: v_dual_fma_f32 v28, v64, v46, -v31
	v_dual_mul_f32 v37, v42, v45 :: v_dual_mul_f32 v31, v43, v45
	v_dual_mul_f32 v38, v43, v47 :: v_dual_fmac_f32 v39, v43, v46
	v_dual_add_f32 v32, v32, v33 :: v_dual_add_f32 v30, v35, v28
	s_delay_alu instid0(VALU_DEP_3) | instskip(NEXT) | instid1(VALU_DEP_3)
	v_dual_fma_f32 v28, v42, v44, -v31 :: v_dual_fmac_f32 v37, v43, v44
	v_dual_fma_f32 v31, v42, v46, -v38 :: v_dual_add_f32 v24, v24, v39
	s_delay_alu instid0(VALU_DEP_2) | instskip(NEXT) | instid1(VALU_DEP_2)
	v_dual_add_f32 v26, v26, v28 :: v_dual_add_f32 v28, v29, v37
	v_add_f32_e32 v22, v22, v31
	s_barrier_signal -1
	s_barrier_wait -1
	s_cbranch_scc0 .LBB371_15
.LBB371_9:                              ;   Parent Loop BB371_6 Depth=1
                                        ; =>  This Inner Loop Header: Depth=2
	v_dual_mov_b32 v38, 0 :: v_dual_add_nc_u32 v29, s27, v2
	v_mov_b32_e32 v39, 0
	s_delay_alu instid0(VALU_DEP_2) | instskip(SKIP_2) | instid1(SALU_CYCLE_1)
	v_cmp_gt_i32_e32 vcc_lo, s23, v29
	s_wait_xcnt 0x0
	s_and_b32 s30, s0, vcc_lo
	s_and_saveexec_b32 s29, s30
	s_cbranch_execz .LBB371_11
; %bb.10:                               ;   in Loop: Header=BB371_9 Depth=2
	flat_load_b64 v[38:39], v[18:19]
.LBB371_11:                             ;   in Loop: Header=BB371_9 Depth=2
	s_wait_xcnt 0x0
	s_or_b32 exec_lo, exec_lo, s29
	v_add_nc_u32_e32 v29, s27, v0
	s_wait_loadcnt_dscnt 0x0
	ds_store_b64 v23, v[38:39]
	v_cmp_le_i32_e32 vcc_lo, s23, v29
	s_or_b32 s29, vcc_lo, s26
	s_delay_alu instid0(SALU_CYCLE_1) | instskip(NEXT) | instid1(SALU_CYCLE_1)
	s_and_saveexec_b32 s30, s29
	s_xor_b32 s29, exec_lo, s30
; %bb.12:                               ;   in Loop: Header=BB371_9 Depth=2
	ds_store_b32 v25, v3
; %bb.13:                               ;   in Loop: Header=BB371_9 Depth=2
	s_or_saveexec_b32 s29, s29
	v_mov_b32_e32 v29, 0
	s_xor_b32 exec_lo, exec_lo, s29
	s_cbranch_execz .LBB371_8
; %bb.14:                               ;   in Loop: Header=BB371_9 Depth=2
	flat_load_b64 v[38:39], v[20:21] offset:-4
	s_wait_loadcnt_dscnt 0x0
	v_xor_b32_e32 v29, 0x80000000, v39
	ds_store_b32 v25, v38
	s_branch .LBB371_8
.LBB371_15:                             ;   in Loop: Header=BB371_6 Depth=1
	s_wait_loadcnt 0x0
	s_wait_xcnt 0x0
	v_add_nc_u64_e32 v[16:17], s[18:19], v[16:17]
	s_delay_alu instid0(VALU_DEP_1)
	v_lshl_add_u64 v[18:19], v[6:7], 3, v[16:17]
	s_and_saveexec_b32 s27, s22
	s_cbranch_execz .LBB371_20
; %bb.16:                               ;   in Loop: Header=BB371_6 Depth=1
	v_mov_b64_e32 v[20:21], s[4:5]
	v_mov_b64_e32 v[38:39], s[14:15]
	s_and_b32 vcc_lo, exec_lo, s34
	s_mov_b32 s29, -1
	s_delay_alu instid0(VALU_DEP_2) | instskip(NEXT) | instid1(VALU_DEP_1)
	v_pk_mul_f32 v[20:21], v[36:37], v[20:21] op_sel_hi:[0,1]
	v_pk_fma_f32 v[36:37], v[34:35], v[38:39], v[20:21] op_sel_hi:[0,1,1]
	v_pk_fma_f32 v[20:21], v[34:35], v[38:39], v[20:21] neg_lo:[0,0,1] neg_hi:[0,0,1]
	v_lshl_add_u64 v[34:35], v[4:5], 3, v[18:19]
	s_delay_alu instid0(VALU_DEP_3)
	v_mov_b32_e32 v21, v37
	s_cbranch_vccz .LBB371_18
; %bb.17:                               ;   in Loop: Header=BB371_6 Depth=1
	flat_load_b64 v[36:37], v[34:35]
	v_mov_b64_e32 v[38:39], s[20:21]
	v_mov_b64_e32 v[40:41], s[2:3]
	s_mov_b32 s29, 0
	s_wait_loadcnt_dscnt 0x0
	s_delay_alu instid0(VALU_DEP_2) | instskip(NEXT) | instid1(VALU_DEP_1)
	v_pk_mul_f32 v[38:39], v[36:37], v[38:39]
	v_pk_fma_f32 v[42:43], v[36:37], v[40:41], v[38:39] op_sel:[0,0,1] op_sel_hi:[1,1,0]
	v_pk_fma_f32 v[36:37], v[36:37], v[40:41], v[38:39] op_sel:[0,0,1] op_sel_hi:[1,1,0] neg_lo:[0,0,1] neg_hi:[0,0,1]
	s_delay_alu instid0(VALU_DEP_2) | instskip(NEXT) | instid1(VALU_DEP_1)
	v_mov_b32_e32 v37, v43
	v_pk_add_f32 v[36:37], v[20:21], v[36:37]
	flat_store_b64 v[34:35], v[36:37]
.LBB371_18:                             ;   in Loop: Header=BB371_6 Depth=1
	s_and_not1_b32 vcc_lo, exec_lo, s29
	s_cbranch_vccnz .LBB371_20
; %bb.19:                               ;   in Loop: Header=BB371_6 Depth=1
	flat_store_b64 v[34:35], v[20:21]
.LBB371_20:                             ;   in Loop: Header=BB371_6 Depth=1
	s_wait_xcnt 0x0
	s_or_b32 exec_lo, exec_lo, s27
	s_and_saveexec_b32 s27, s35
	s_cbranch_execz .LBB371_25
; %bb.21:                               ;   in Loop: Header=BB371_6 Depth=1
	v_mov_b64_e32 v[20:21], s[4:5]
	v_mov_b64_e32 v[34:35], s[14:15]
	v_lshl_add_u64 v[18:19], v[8:9], 3, v[18:19]
	s_and_not1_b32 vcc_lo, exec_lo, s34
	s_mov_b32 s29, -1
	s_delay_alu instid0(VALU_DEP_3) | instskip(NEXT) | instid1(VALU_DEP_1)
	v_pk_mul_f32 v[20:21], v[32:33], v[20:21] op_sel_hi:[0,1]
	v_pk_fma_f32 v[32:33], v[30:31], v[34:35], v[20:21] op_sel_hi:[0,1,1]
	v_pk_fma_f32 v[20:21], v[30:31], v[34:35], v[20:21] neg_lo:[0,0,1] neg_hi:[0,0,1]
	s_delay_alu instid0(VALU_DEP_2)
	v_mov_b32_e32 v21, v33
	s_cbranch_vccnz .LBB371_23
; %bb.22:                               ;   in Loop: Header=BB371_6 Depth=1
	flat_load_b64 v[30:31], v[18:19]
	v_mov_b64_e32 v[32:33], s[20:21]
	v_mov_b64_e32 v[34:35], s[2:3]
	s_mov_b32 s29, 0
	s_wait_loadcnt_dscnt 0x0
	s_delay_alu instid0(VALU_DEP_2) | instskip(NEXT) | instid1(VALU_DEP_1)
	v_pk_mul_f32 v[32:33], v[30:31], v[32:33]
	v_pk_fma_f32 v[36:37], v[30:31], v[34:35], v[32:33] op_sel:[0,0,1] op_sel_hi:[1,1,0]
	v_pk_fma_f32 v[30:31], v[30:31], v[34:35], v[32:33] op_sel:[0,0,1] op_sel_hi:[1,1,0] neg_lo:[0,0,1] neg_hi:[0,0,1]
	s_delay_alu instid0(VALU_DEP_2) | instskip(NEXT) | instid1(VALU_DEP_1)
	v_mov_b32_e32 v31, v37
	v_pk_add_f32 v[30:31], v[20:21], v[30:31]
	flat_store_b64 v[18:19], v[30:31]
.LBB371_23:                             ;   in Loop: Header=BB371_6 Depth=1
	s_and_not1_b32 vcc_lo, exec_lo, s29
	s_cbranch_vccnz .LBB371_25
; %bb.24:                               ;   in Loop: Header=BB371_6 Depth=1
	flat_store_b64 v[18:19], v[20:21]
.LBB371_25:                             ;   in Loop: Header=BB371_6 Depth=1
	s_wait_xcnt 0x0
	s_or_b32 exec_lo, exec_lo, s27
	v_lshl_add_u64 v[16:17], v[10:11], 3, v[16:17]
	s_and_saveexec_b32 s27, s1
	s_cbranch_execz .LBB371_30
; %bb.26:                               ;   in Loop: Header=BB371_6 Depth=1
	v_mov_b64_e32 v[18:19], s[4:5]
	v_mov_b64_e32 v[20:21], s[14:15]
	s_and_not1_b32 vcc_lo, exec_lo, s34
	s_mov_b32 s29, -1
	s_delay_alu instid0(VALU_DEP_2) | instskip(NEXT) | instid1(VALU_DEP_1)
	v_pk_mul_f32 v[18:19], v[28:29], v[18:19] op_sel_hi:[0,1]
	v_pk_fma_f32 v[28:29], v[26:27], v[20:21], v[18:19] op_sel_hi:[0,1,1]
	v_pk_fma_f32 v[18:19], v[26:27], v[20:21], v[18:19] neg_lo:[0,0,1] neg_hi:[0,0,1]
	v_lshl_add_u64 v[20:21], v[4:5], 3, v[16:17]
	s_delay_alu instid0(VALU_DEP_3)
	v_mov_b32_e32 v19, v29
	s_cbranch_vccnz .LBB371_28
; %bb.27:                               ;   in Loop: Header=BB371_6 Depth=1
	flat_load_b64 v[28:29], v[20:21]
	v_mov_b64_e32 v[30:31], s[20:21]
	v_mov_b64_e32 v[32:33], s[2:3]
	s_mov_b32 s29, 0
	s_wait_loadcnt_dscnt 0x0
	s_delay_alu instid0(VALU_DEP_2) | instskip(NEXT) | instid1(VALU_DEP_1)
	v_pk_mul_f32 v[30:31], v[28:29], v[30:31]
	v_pk_fma_f32 v[34:35], v[28:29], v[32:33], v[30:31] op_sel:[0,0,1] op_sel_hi:[1,1,0]
	v_pk_fma_f32 v[28:29], v[28:29], v[32:33], v[30:31] op_sel:[0,0,1] op_sel_hi:[1,1,0] neg_lo:[0,0,1] neg_hi:[0,0,1]
	s_delay_alu instid0(VALU_DEP_2) | instskip(NEXT) | instid1(VALU_DEP_1)
	v_mov_b32_e32 v29, v35
	v_pk_add_f32 v[28:29], v[18:19], v[28:29]
	flat_store_b64 v[20:21], v[28:29]
.LBB371_28:                             ;   in Loop: Header=BB371_6 Depth=1
	s_and_not1_b32 vcc_lo, exec_lo, s29
	s_cbranch_vccnz .LBB371_30
; %bb.29:                               ;   in Loop: Header=BB371_6 Depth=1
	flat_store_b64 v[20:21], v[18:19]
.LBB371_30:                             ;   in Loop: Header=BB371_6 Depth=1
	s_wait_xcnt 0x0
	s_or_b32 exec_lo, exec_lo, s27
	s_and_saveexec_b32 s27, s36
	s_cbranch_execz .LBB371_5
; %bb.31:                               ;   in Loop: Header=BB371_6 Depth=1
	v_mov_b64_e32 v[18:19], s[4:5]
	v_mov_b64_e32 v[20:21], s[14:15]
	v_lshl_add_u64 v[16:17], v[8:9], 3, v[16:17]
	s_and_not1_b32 vcc_lo, exec_lo, s34
	s_mov_b32 s29, -1
	s_delay_alu instid0(VALU_DEP_3) | instskip(NEXT) | instid1(VALU_DEP_1)
	v_pk_mul_f32 v[18:19], v[24:25], v[18:19] op_sel_hi:[0,1]
	v_pk_fma_f32 v[28:29], v[22:23], v[20:21], v[18:19] op_sel_hi:[0,1,1]
	v_pk_fma_f32 v[18:19], v[22:23], v[20:21], v[18:19] neg_lo:[0,0,1] neg_hi:[0,0,1]
	s_delay_alu instid0(VALU_DEP_2)
	v_mov_b32_e32 v19, v29
	s_cbranch_vccnz .LBB371_33
; %bb.32:                               ;   in Loop: Header=BB371_6 Depth=1
	flat_load_b64 v[20:21], v[16:17]
	v_mov_b64_e32 v[28:29], s[20:21]
	v_mov_b64_e32 v[30:31], s[2:3]
	s_mov_b32 s29, 0
	s_wait_loadcnt_dscnt 0x0
	s_delay_alu instid0(VALU_DEP_2) | instskip(NEXT) | instid1(VALU_DEP_1)
	v_pk_mul_f32 v[28:29], v[20:21], v[28:29]
	v_pk_fma_f32 v[32:33], v[20:21], v[30:31], v[28:29] op_sel:[0,0,1] op_sel_hi:[1,1,0]
	v_pk_fma_f32 v[20:21], v[20:21], v[30:31], v[28:29] op_sel:[0,0,1] op_sel_hi:[1,1,0] neg_lo:[0,0,1] neg_hi:[0,0,1]
	s_delay_alu instid0(VALU_DEP_2) | instskip(NEXT) | instid1(VALU_DEP_1)
	v_mov_b32_e32 v21, v33
	v_pk_add_f32 v[20:21], v[18:19], v[20:21]
	flat_store_b64 v[16:17], v[20:21]
.LBB371_33:                             ;   in Loop: Header=BB371_6 Depth=1
	s_and_not1_b32 vcc_lo, exec_lo, s29
	s_cbranch_vccnz .LBB371_5
; %bb.34:                               ;   in Loop: Header=BB371_6 Depth=1
	flat_store_b64 v[16:17], v[18:19]
	s_branch .LBB371_5
.LBB371_35:
	s_sendmsg sendmsg(MSG_DEALLOC_VGPRS)
	s_endpgm
	.section	.rodata,"a",@progbits
	.p2align	6, 0x0
	.amdhsa_kernel _ZL29rocblas_internal_gemmt_kernelIiLi16ELi32ELi8ELc78ELc67ELc76ELb0ELb1E19rocblas_complex_numIfEPKS1_PKS3_PKPS1_EviT_T9_T10_S9_lSB_S9_lSA_T11_S9_li
		.amdhsa_group_segment_fixed_size 4096
		.amdhsa_private_segment_fixed_size 0
		.amdhsa_kernarg_size 100
		.amdhsa_user_sgpr_count 2
		.amdhsa_user_sgpr_dispatch_ptr 0
		.amdhsa_user_sgpr_queue_ptr 0
		.amdhsa_user_sgpr_kernarg_segment_ptr 1
		.amdhsa_user_sgpr_dispatch_id 0
		.amdhsa_user_sgpr_kernarg_preload_length 0
		.amdhsa_user_sgpr_kernarg_preload_offset 0
		.amdhsa_user_sgpr_private_segment_size 0
		.amdhsa_wavefront_size32 1
		.amdhsa_uses_dynamic_stack 0
		.amdhsa_enable_private_segment 0
		.amdhsa_system_sgpr_workgroup_id_x 1
		.amdhsa_system_sgpr_workgroup_id_y 1
		.amdhsa_system_sgpr_workgroup_id_z 1
		.amdhsa_system_sgpr_workgroup_info 0
		.amdhsa_system_vgpr_workitem_id 1
		.amdhsa_next_free_vgpr 71
		.amdhsa_next_free_sgpr 40
		.amdhsa_named_barrier_count 0
		.amdhsa_reserve_vcc 1
		.amdhsa_float_round_mode_32 0
		.amdhsa_float_round_mode_16_64 0
		.amdhsa_float_denorm_mode_32 3
		.amdhsa_float_denorm_mode_16_64 3
		.amdhsa_fp16_overflow 0
		.amdhsa_memory_ordered 1
		.amdhsa_forward_progress 1
		.amdhsa_inst_pref_size 26
		.amdhsa_round_robin_scheduling 0
		.amdhsa_exception_fp_ieee_invalid_op 0
		.amdhsa_exception_fp_denorm_src 0
		.amdhsa_exception_fp_ieee_div_zero 0
		.amdhsa_exception_fp_ieee_overflow 0
		.amdhsa_exception_fp_ieee_underflow 0
		.amdhsa_exception_fp_ieee_inexact 0
		.amdhsa_exception_int_div_zero 0
	.end_amdhsa_kernel
	.section	.text._ZL29rocblas_internal_gemmt_kernelIiLi16ELi32ELi8ELc78ELc67ELc76ELb0ELb1E19rocblas_complex_numIfEPKS1_PKS3_PKPS1_EviT_T9_T10_S9_lSB_S9_lSA_T11_S9_li,"axG",@progbits,_ZL29rocblas_internal_gemmt_kernelIiLi16ELi32ELi8ELc78ELc67ELc76ELb0ELb1E19rocblas_complex_numIfEPKS1_PKS3_PKPS1_EviT_T9_T10_S9_lSB_S9_lSA_T11_S9_li,comdat
.Lfunc_end371:
	.size	_ZL29rocblas_internal_gemmt_kernelIiLi16ELi32ELi8ELc78ELc67ELc76ELb0ELb1E19rocblas_complex_numIfEPKS1_PKS3_PKPS1_EviT_T9_T10_S9_lSB_S9_lSA_T11_S9_li, .Lfunc_end371-_ZL29rocblas_internal_gemmt_kernelIiLi16ELi32ELi8ELc78ELc67ELc76ELb0ELb1E19rocblas_complex_numIfEPKS1_PKS3_PKPS1_EviT_T9_T10_S9_lSB_S9_lSA_T11_S9_li
                                        ; -- End function
	.set _ZL29rocblas_internal_gemmt_kernelIiLi16ELi32ELi8ELc78ELc67ELc76ELb0ELb1E19rocblas_complex_numIfEPKS1_PKS3_PKPS1_EviT_T9_T10_S9_lSB_S9_lSA_T11_S9_li.num_vgpr, 71
	.set _ZL29rocblas_internal_gemmt_kernelIiLi16ELi32ELi8ELc78ELc67ELc76ELb0ELb1E19rocblas_complex_numIfEPKS1_PKS3_PKPS1_EviT_T9_T10_S9_lSB_S9_lSA_T11_S9_li.num_agpr, 0
	.set _ZL29rocblas_internal_gemmt_kernelIiLi16ELi32ELi8ELc78ELc67ELc76ELb0ELb1E19rocblas_complex_numIfEPKS1_PKS3_PKPS1_EviT_T9_T10_S9_lSB_S9_lSA_T11_S9_li.numbered_sgpr, 40
	.set _ZL29rocblas_internal_gemmt_kernelIiLi16ELi32ELi8ELc78ELc67ELc76ELb0ELb1E19rocblas_complex_numIfEPKS1_PKS3_PKPS1_EviT_T9_T10_S9_lSB_S9_lSA_T11_S9_li.num_named_barrier, 0
	.set _ZL29rocblas_internal_gemmt_kernelIiLi16ELi32ELi8ELc78ELc67ELc76ELb0ELb1E19rocblas_complex_numIfEPKS1_PKS3_PKPS1_EviT_T9_T10_S9_lSB_S9_lSA_T11_S9_li.private_seg_size, 0
	.set _ZL29rocblas_internal_gemmt_kernelIiLi16ELi32ELi8ELc78ELc67ELc76ELb0ELb1E19rocblas_complex_numIfEPKS1_PKS3_PKPS1_EviT_T9_T10_S9_lSB_S9_lSA_T11_S9_li.uses_vcc, 1
	.set _ZL29rocblas_internal_gemmt_kernelIiLi16ELi32ELi8ELc78ELc67ELc76ELb0ELb1E19rocblas_complex_numIfEPKS1_PKS3_PKPS1_EviT_T9_T10_S9_lSB_S9_lSA_T11_S9_li.uses_flat_scratch, 0
	.set _ZL29rocblas_internal_gemmt_kernelIiLi16ELi32ELi8ELc78ELc67ELc76ELb0ELb1E19rocblas_complex_numIfEPKS1_PKS3_PKPS1_EviT_T9_T10_S9_lSB_S9_lSA_T11_S9_li.has_dyn_sized_stack, 0
	.set _ZL29rocblas_internal_gemmt_kernelIiLi16ELi32ELi8ELc78ELc67ELc76ELb0ELb1E19rocblas_complex_numIfEPKS1_PKS3_PKPS1_EviT_T9_T10_S9_lSB_S9_lSA_T11_S9_li.has_recursion, 0
	.set _ZL29rocblas_internal_gemmt_kernelIiLi16ELi32ELi8ELc78ELc67ELc76ELb0ELb1E19rocblas_complex_numIfEPKS1_PKS3_PKPS1_EviT_T9_T10_S9_lSB_S9_lSA_T11_S9_li.has_indirect_call, 0
	.section	.AMDGPU.csdata,"",@progbits
; Kernel info:
; codeLenInByte = 3296
; TotalNumSgprs: 42
; NumVgprs: 71
; ScratchSize: 0
; MemoryBound: 0
; FloatMode: 240
; IeeeMode: 1
; LDSByteSize: 4096 bytes/workgroup (compile time only)
; SGPRBlocks: 0
; VGPRBlocks: 4
; NumSGPRsForWavesPerEU: 42
; NumVGPRsForWavesPerEU: 71
; NamedBarCnt: 0
; Occupancy: 12
; WaveLimiterHint : 1
; COMPUTE_PGM_RSRC2:SCRATCH_EN: 0
; COMPUTE_PGM_RSRC2:USER_SGPR: 2
; COMPUTE_PGM_RSRC2:TRAP_HANDLER: 0
; COMPUTE_PGM_RSRC2:TGID_X_EN: 1
; COMPUTE_PGM_RSRC2:TGID_Y_EN: 1
; COMPUTE_PGM_RSRC2:TGID_Z_EN: 1
; COMPUTE_PGM_RSRC2:TIDIG_COMP_CNT: 1
	.section	.text._ZL29rocblas_internal_gemmt_kernelIiLi16ELi32ELi8ELc84ELc78ELc76ELb0ELb0E19rocblas_complex_numIfEPKS1_PKS3_PKPS1_EviT_T9_T10_S9_lSB_S9_lSA_T11_S9_li,"axG",@progbits,_ZL29rocblas_internal_gemmt_kernelIiLi16ELi32ELi8ELc84ELc78ELc76ELb0ELb0E19rocblas_complex_numIfEPKS1_PKS3_PKPS1_EviT_T9_T10_S9_lSB_S9_lSA_T11_S9_li,comdat
	.globl	_ZL29rocblas_internal_gemmt_kernelIiLi16ELi32ELi8ELc84ELc78ELc76ELb0ELb0E19rocblas_complex_numIfEPKS1_PKS3_PKPS1_EviT_T9_T10_S9_lSB_S9_lSA_T11_S9_li ; -- Begin function _ZL29rocblas_internal_gemmt_kernelIiLi16ELi32ELi8ELc84ELc78ELc76ELb0ELb0E19rocblas_complex_numIfEPKS1_PKS3_PKPS1_EviT_T9_T10_S9_lSB_S9_lSA_T11_S9_li
	.p2align	8
	.type	_ZL29rocblas_internal_gemmt_kernelIiLi16ELi32ELi8ELc84ELc78ELc76ELb0ELb0E19rocblas_complex_numIfEPKS1_PKS3_PKPS1_EviT_T9_T10_S9_lSB_S9_lSA_T11_S9_li,@function
_ZL29rocblas_internal_gemmt_kernelIiLi16ELi32ELi8ELc84ELc78ELc76ELb0ELb0E19rocblas_complex_numIfEPKS1_PKS3_PKPS1_EviT_T9_T10_S9_lSB_S9_lSA_T11_S9_li: ; @_ZL29rocblas_internal_gemmt_kernelIiLi16ELi32ELi8ELc84ELc78ELc76ELb0ELb0E19rocblas_complex_numIfEPKS1_PKS3_PKPS1_EviT_T9_T10_S9_lSB_S9_lSA_T11_S9_li
; %bb.0:
	s_load_b128 s[12:15], s[0:1], 0x38
	s_wait_kmcnt 0x0
	s_load_b64 s[20:21], s[14:15], 0x0
	s_clause 0x1
	s_load_b128 s[4:7], s[0:1], 0x8
	s_load_b64 s[22:23], s[0:1], 0x0
	s_wait_kmcnt 0x0
	s_cmp_neq_f32 s20, 1.0
	s_load_b64 s[14:15], s[4:5], 0x0
	s_cselect_b32 s2, -1, 0
	s_and_b32 s3, s21, 0x7fffffff
	s_delay_alu instid0(SALU_CYCLE_1) | instskip(SKIP_3) | instid1(SALU_CYCLE_1)
	s_cmp_eq_u32 s3, 0
	s_cselect_b32 s29, -1, 0
	s_cmp_lg_u32 s3, 0
	s_cselect_b32 s3, -1, 0
	s_or_b32 s2, s2, s3
	s_delay_alu instid0(SALU_CYCLE_1)
	s_and_b32 vcc_lo, exec_lo, s2
	s_cbranch_vccnz .LBB372_2
; %bb.1:
	s_cmp_lg_u32 s23, 0
	s_cselect_b32 s2, -1, 0
	s_wait_kmcnt 0x0
	s_cmp_neq_f32 s14, 0
	s_cselect_b32 s3, -1, 0
	s_cmp_neq_f32 s15, 0
	s_cselect_b32 s4, -1, 0
	s_delay_alu instid0(SALU_CYCLE_1) | instskip(NEXT) | instid1(SALU_CYCLE_1)
	s_or_b32 s3, s3, s4
	s_and_b32 s2, s2, s3
.LBB372_2:
	s_delay_alu instid0(SALU_CYCLE_1)
	s_and_not1_b32 vcc_lo, exec_lo, s2
	s_cbranch_vccnz .LBB372_33
; %bb.3:
	s_load_b32 s28, s[0:1], 0x60
	s_bfe_u32 s2, ttmp6, 0x40014
	s_lshr_b32 s3, ttmp7, 16
	s_add_co_i32 s2, s2, 1
	s_wait_xcnt 0x0
	s_bfe_u32 s4, ttmp6, 0x40008
	s_mul_i32 s2, s3, s2
	s_getreg_b32 s30, hwreg(HW_REG_IB_STS2, 6, 4)
	s_add_co_i32 s4, s4, s2
	s_cmp_eq_u32 s30, 0
	s_mov_b32 s25, 0
	s_cselect_b32 s24, s3, s4
	s_wait_kmcnt 0x0
	s_cmp_ge_u32 s24, s28
	s_cbranch_scc1 .LBB372_33
; %bb.4:
	s_clause 0x4
	s_load_b32 s4, s[0:1], 0x18
	s_load_b32 s2, s[0:1], 0x30
	s_load_b96 s[16:18], s[0:1], 0x48
	s_load_b128 s[8:11], s[0:1], 0x20
	s_load_b64 s[26:27], s[0:1], 0x58
	s_wait_xcnt 0x0
	s_bfe_u32 s1, ttmp6, 0x4000c
	s_bfe_u32 s3, ttmp6, 0x40010
	v_and_b32_e32 v4, 0x3ff, v0
	v_bfe_u32 v5, v0, 10, 10
	s_and_b32 s31, ttmp7, 0xffff
	s_add_co_i32 s1, s1, 1
	s_add_co_i32 s3, s3, 1
	s_and_b32 s0, ttmp6, 15
	s_bfe_u32 s5, ttmp6, 0x40004
	s_mul_i32 s1, ttmp9, s1
	s_mul_i32 s3, s31, s3
	s_add_co_i32 s0, s0, s1
	s_add_co_i32 s1, s5, s3
	v_lshl_add_u32 v1, v5, 4, v4
	v_lshl_add_u32 v33, v5, 6, 0x800
	s_wait_kmcnt 0x0
	s_ashr_i32 s5, s4, 31
	s_ashr_i32 s3, s2, 31
	;; [unrolled: 1-line block ×3, first 2 shown]
	s_cmp_eq_u32 s30, 0
	v_dual_lshrrev_b32 v21, 5, v1 :: v_dual_lshrrev_b32 v6, 3, v1
	s_cselect_b32 s1, s31, s1
	s_cselect_b32 s0, ttmp9, s0
	s_lshl_b32 s1, s1, 5
	s_delay_alu instid0(VALU_DEP_1) | instid1(SALU_CYCLE_1)
	v_dual_add_nc_u32 v2, s1, v6 :: v_dual_bitop2_b32 v1, 31, v1 bitop3:0x40
	s_lshl_b32 s30, s0, 5
	v_dual_add_nc_u32 v8, s1, v5 :: v_dual_bitop2_b32 v23, 7, v0 bitop3:0x40
	s_delay_alu instid0(VALU_DEP_2) | instskip(NEXT) | instid1(VALU_DEP_2)
	v_dual_lshlrev_b32 v29, 3, v4 :: v_dual_lshlrev_b32 v3, 3, v1
	v_dual_lshlrev_b32 v12, 3, v23 :: v_dual_bitop2_b32 v0, s30, v1 bitop3:0x54
	s_cmp_neq_f32 s14, 0
	s_delay_alu instid0(VALU_DEP_3) | instskip(NEXT) | instid1(VALU_DEP_2)
	v_dual_add_nc_u32 v16, 16, v8 :: v_dual_ashrrev_i32 v9, 31, v8
	v_ashrrev_i32_e32 v1, 31, v0
	v_lshl_or_b32 v25, v21, 8, v3
	v_ashrrev_i32_e32 v3, 31, v2
	s_cselect_b32 s0, -1, 0
	s_cmp_neq_f32 s15, 0
	v_mul_u64_e32 v[10:11], s[4:5], v[0:1]
	v_lshl_or_b32 v6, v6, 6, v12
	v_mul_u64_e32 v[14:15], s[2:3], v[2:3]
	s_cselect_b32 s31, -1, 0
	v_ashrrev_i32_e32 v17, 31, v16
	s_or_b32 s31, s0, s31
	v_cmp_gt_i32_e64 s0, s22, v0
	v_add_nc_u32_e32 v0, s30, v4
	v_cmp_gt_i32_e64 s1, s22, v2
	v_add_nc_u32_e32 v27, 0x800, v6
	v_mul_u64_e32 v[2:3], s[18:19], v[8:9]
	v_mov_b32_e32 v9, 0
	v_mul_u64_e32 v[6:7], s[18:19], v[16:17]
	v_add_nc_u32_e32 v4, 16, v0
	s_cmp_gt_i32 s23, 0
	s_cselect_b32 s33, -1, 0
	s_cmp_neq_f32 s20, 0
	s_delay_alu instid0(VALU_DEP_1)
	v_ashrrev_i32_e32 v5, 31, v4
	v_cmp_le_i32_e32 vcc_lo, v8, v0
	v_cmp_gt_i32_e64 s2, s22, v0
	s_cselect_b32 s3, -1, 0
	s_xor_b32 s4, s29, -1
	v_ashrrev_i32_e32 v1, 31, v0
	s_or_b32 s18, s3, s4
	v_cmp_le_i32_e64 s3, v8, v4
	v_cmp_gt_i32_e64 s4, s22, v4
	s_and_b32 s19, vcc_lo, s2
	v_cmp_le_i32_e32 vcc_lo, v16, v0
	v_dual_mov_b32 v13, v9 :: v_dual_lshlrev_b32 v8, 3, v21
	s_and_b32 s22, s3, s4
	v_cmp_le_i32_e64 s5, v16, v4
	s_and_b32 s29, vcc_lo, s2
	s_lshl_b64 s[2:3], s[8:9], 3
	s_lshl_b64 s[8:9], s[26:27], 3
	v_lshl_add_u64 v[10:11], v[10:11], 3, s[2:3]
	s_lshl_b64 s[2:3], s[12:13], 3
	s_and_b32 s30, s5, s4
	v_lshl_add_u64 v[14:15], v[14:15], 3, s[2:3]
	s_mov_b32 s2, s20
	v_add_nc_u64_e32 v[10:11], v[10:11], v[8:9]
	s_mov_b32 s3, s20
	s_mov_b32 s20, s21
	v_add_nc_u64_e32 v[12:13], v[14:15], v[12:13]
	s_and_b32 s12, s31, s33
	s_mov_b32 s4, s15
	s_mov_b32 s5, s14
	s_branch .LBB372_6
.LBB372_5:                              ;   in Loop: Header=BB372_6 Depth=1
	s_wait_xcnt 0x0
	s_or_b32 exec_lo, exec_lo, s13
	s_add_co_i32 s24, s24, 0x10000
	s_delay_alu instid0(SALU_CYCLE_1)
	s_cmp_lt_u32 s24, s28
	s_cbranch_scc0 .LBB372_33
.LBB372_6:                              ; =>This Loop Header: Depth=1
                                        ;     Child Loop BB372_9 Depth 2
	v_dual_mov_b32 v8, s24 :: v_dual_mov_b32 v30, 0
	v_dual_mov_b32 v32, 0 :: v_dual_mov_b32 v26, 0
	;; [unrolled: 1-line block ×3, first 2 shown]
	global_load_b64 v[14:15], v8, s[16:17] scale_offset
	s_wait_xcnt 0x0
	v_dual_mov_b32 v24, 0 :: v_dual_mov_b32 v8, 0
	v_mov_b32_e32 v20, 0
	s_and_not1_b32 vcc_lo, exec_lo, s12
	s_cbranch_vccnz .LBB372_13
; %bb.7:                                ;   in Loop: Header=BB372_6 Depth=1
	s_lshl_b64 s[26:27], s[24:25], 3
	v_dual_mov_b32 v20, 0 :: v_dual_mov_b32 v8, 0
	s_add_nc_u64 s[34:35], s[6:7], s[26:27]
	s_add_nc_u64 s[26:27], s[10:11], s[26:27]
	s_clause 0x1
	global_load_b64 v[16:17], v9, s[34:35]
	global_load_b64 v[18:19], v9, s[26:27]
	v_dual_mov_b32 v24, 0 :: v_dual_mov_b32 v22, 0
	v_dual_mov_b32 v28, 0 :: v_dual_mov_b32 v26, 0
	;; [unrolled: 1-line block ×3, first 2 shown]
	s_mov_b32 s13, 0
	s_wait_loadcnt 0x1
	v_add_nc_u64_e32 v[16:17], v[16:17], v[10:11]
	s_wait_loadcnt 0x0
	v_add_nc_u64_e32 v[18:19], v[18:19], v[12:13]
	s_branch .LBB372_9
.LBB372_8:                              ;   in Loop: Header=BB372_9 Depth=2
	s_wait_xcnt 0x0
	s_or_b32 exec_lo, exec_lo, s26
	s_wait_loadcnt_dscnt 0x0
	ds_store_b64 v27, v[36:37]
	s_wait_dscnt 0x0
	s_barrier_signal -1
	s_barrier_wait -1
	ds_load_b128 v[34:37], v33
	ds_load_2addr_b64 v[38:41], v29 offset1:16
	ds_load_b128 v[42:45], v33 offset:1024
	ds_load_b128 v[46:49], v33 offset:16
	ds_load_2addr_b64 v[50:53], v29 offset0:32 offset1:48
	ds_load_b128 v[54:57], v33 offset:32
	ds_load_b128 v[58:61], v33 offset:48
	;; [unrolled: 1-line block ×3, first 2 shown]
	v_add_nc_u64_e32 v[16:17], 64, v[16:17]
	v_add_nc_u64_e32 v[18:19], 64, v[18:19]
	s_add_co_i32 s13, s13, 8
	s_delay_alu instid0(SALU_CYCLE_1)
	s_cmp_lt_i32 s13, s23
	s_wait_dscnt 0x6
	v_dual_mul_f32 v31, v35, v39 :: v_dual_mul_f32 v66, v34, v39
	v_dual_mul_f32 v67, v35, v41 :: v_dual_mul_f32 v68, v34, v41
	s_wait_dscnt 0x5
	v_dual_mul_f32 v69, v43, v39 :: v_dual_mul_f32 v39, v42, v39
	v_dual_mul_f32 v70, v43, v41 :: v_dual_mul_f32 v71, v42, v41
	v_dual_fma_f32 v31, v34, v38, -v31 :: v_dual_fmac_f32 v66, v35, v38
	v_dual_fma_f32 v34, v34, v40, -v67 :: v_dual_fmac_f32 v68, v35, v40
	s_delay_alu instid0(VALU_DEP_4) | instskip(NEXT) | instid1(VALU_DEP_4)
	v_dual_fma_f32 v35, v42, v38, -v69 :: v_dual_fmac_f32 v39, v43, v38
	v_fma_f32 v38, v42, v40, -v70
	s_delay_alu instid0(VALU_DEP_3) | instskip(SKIP_1) | instid1(VALU_DEP_4)
	v_dual_add_f32 v30, v30, v31 :: v_dual_add_f32 v28, v28, v68
	v_add_f32_e32 v31, v32, v66
	v_dual_add_f32 v26, v26, v34 :: v_dual_add_f32 v24, v24, v39
	v_dual_add_f32 v22, v22, v35 :: v_dual_fmac_f32 v71, v43, v40
	s_wait_dscnt 0x3
	v_dual_mul_f32 v32, v37, v51 :: v_dual_add_f32 v8, v8, v38
	ds_load_2addr_b64 v[38:41], v29 offset0:64 offset1:80
	v_dual_mul_f32 v34, v36, v51 :: v_dual_mul_f32 v35, v37, v53
	v_add_f32_e32 v20, v20, v71
	v_dual_fma_f32 v32, v36, v50, -v32 :: v_dual_mul_f32 v42, v36, v53
	s_delay_alu instid0(VALU_DEP_1) | instskip(NEXT) | instid1(VALU_DEP_1)
	v_dual_fmac_f32 v34, v37, v50 :: v_dual_add_f32 v30, v30, v32
	v_dual_fma_f32 v32, v36, v52, -v35 :: v_dual_add_f32 v31, v31, v34
	v_mul_f32_e32 v35, v45, v51
	s_delay_alu instid0(VALU_DEP_4) | instskip(NEXT) | instid1(VALU_DEP_2)
	v_dual_fmac_f32 v42, v37, v52 :: v_dual_mul_f32 v34, v44, v51
	v_dual_add_f32 v26, v26, v32 :: v_dual_fma_f32 v32, v44, v50, -v35
	s_delay_alu instid0(VALU_DEP_2) | instskip(NEXT) | instid1(VALU_DEP_3)
	v_dual_mul_f32 v35, v45, v53 :: v_dual_add_f32 v28, v28, v42
	v_dual_fmac_f32 v34, v45, v50 :: v_dual_mul_f32 v42, v44, v53
	s_delay_alu instid0(VALU_DEP_3) | instskip(SKIP_1) | instid1(VALU_DEP_3)
	v_add_f32_e32 v22, v22, v32
	s_wait_dscnt 0x0
	v_dual_fma_f32 v32, v44, v52, -v35 :: v_dual_mul_f32 v35, v47, v39
	s_delay_alu instid0(VALU_DEP_3) | instskip(SKIP_1) | instid1(VALU_DEP_3)
	v_dual_add_f32 v24, v24, v34 :: v_dual_mul_f32 v43, v46, v39
	v_fmac_f32_e32 v42, v45, v52
	v_dual_add_f32 v8, v8, v32 :: v_dual_fma_f32 v32, v46, v38, -v35
	ds_load_2addr_b64 v[34:37], v29 offset0:96 offset1:112
	v_dual_mul_f32 v44, v47, v41 :: v_dual_fmac_f32 v43, v47, v38
	v_dual_add_f32 v20, v20, v42 :: v_dual_add_f32 v30, v30, v32
	s_delay_alu instid0(VALU_DEP_2) | instskip(NEXT) | instid1(VALU_DEP_3)
	v_dual_mul_f32 v32, v46, v41 :: v_dual_fma_f32 v42, v46, v40, -v44
	v_add_f32_e32 v31, v31, v43
	v_dual_mul_f32 v43, v63, v39 :: v_dual_mul_f32 v39, v62, v39
	s_delay_alu instid0(VALU_DEP_3) | instskip(NEXT) | instid1(VALU_DEP_2)
	v_dual_fmac_f32 v32, v47, v40 :: v_dual_add_f32 v26, v26, v42
	v_dual_mul_f32 v42, v63, v41 :: v_dual_fma_f32 v43, v62, v38, -v43
	s_delay_alu instid0(VALU_DEP_3) | instskip(NEXT) | instid1(VALU_DEP_3)
	v_dual_fmac_f32 v39, v63, v38 :: v_dual_mul_f32 v44, v62, v41
	v_add_f32_e32 v28, v28, v32
	s_delay_alu instid0(VALU_DEP_3) | instskip(NEXT) | instid1(VALU_DEP_4)
	v_fma_f32 v32, v62, v40, -v42
	v_add_f32_e32 v22, v22, v43
	s_delay_alu instid0(VALU_DEP_4) | instskip(SKIP_1) | instid1(VALU_DEP_3)
	v_dual_add_f32 v24, v24, v39 :: v_dual_fmac_f32 v44, v63, v40
	s_wait_dscnt 0x0
	v_dual_mul_f32 v42, v49, v35 :: v_dual_add_f32 v8, v8, v32
	ds_load_2addr_b64 v[38:41], v29 offset0:128 offset1:144
	v_dual_mul_f32 v32, v48, v35 :: v_dual_mul_f32 v43, v49, v37
	v_dual_fma_f32 v42, v48, v34, -v42 :: v_dual_mul_f32 v46, v48, v37
	s_delay_alu instid0(VALU_DEP_2) | instskip(NEXT) | instid1(VALU_DEP_2)
	v_dual_fmac_f32 v32, v49, v34 :: v_dual_add_f32 v20, v20, v44
	v_dual_add_f32 v30, v30, v42 :: v_dual_fma_f32 v43, v48, v36, -v43
	s_delay_alu instid0(VALU_DEP_2) | instskip(NEXT) | instid1(VALU_DEP_4)
	v_dual_mul_f32 v42, v65, v35 :: v_dual_add_f32 v31, v31, v32
	v_dual_fmac_f32 v46, v49, v36 :: v_dual_mul_f32 v32, v64, v35
	s_delay_alu instid0(VALU_DEP_2) | instskip(NEXT) | instid1(VALU_DEP_2)
	v_dual_add_f32 v26, v26, v43 :: v_dual_fma_f32 v35, v64, v34, -v42
	v_dual_mul_f32 v47, v65, v37 :: v_dual_add_f32 v28, v28, v46
	ds_load_b128 v[42:45], v33 offset:1056
	v_dual_fmac_f32 v32, v65, v34 :: v_dual_mul_f32 v46, v64, v37
	v_dual_fma_f32 v34, v64, v36, -v47 :: v_dual_add_f32 v22, v22, v35
	s_wait_dscnt 0x1
	s_delay_alu instid0(VALU_DEP_2) | instskip(NEXT) | instid1(VALU_DEP_2)
	v_dual_mul_f32 v35, v55, v39 :: v_dual_add_f32 v24, v24, v32
	v_dual_fmac_f32 v46, v65, v36 :: v_dual_add_f32 v8, v8, v34
	s_delay_alu instid0(VALU_DEP_2) | instskip(SKIP_3) | instid1(VALU_DEP_2)
	v_dual_mul_f32 v32, v54, v39 :: v_dual_fma_f32 v47, v54, v38, -v35
	ds_load_2addr_b64 v[34:37], v29 offset0:160 offset1:176
	v_dual_mul_f32 v48, v55, v41 :: v_dual_add_f32 v20, v20, v46
	v_dual_fmac_f32 v32, v55, v38 :: v_dual_add_f32 v30, v30, v47
	v_dual_mul_f32 v50, v54, v41 :: v_dual_fma_f32 v51, v54, v40, -v48
	ds_load_b128 v[46:49], v33 offset:1072
	v_add_f32_e32 v31, v31, v32
	s_wait_dscnt 0x2
	v_dual_mul_f32 v52, v43, v39 :: v_dual_mul_f32 v32, v42, v39
	v_dual_fmac_f32 v50, v55, v40 :: v_dual_add_f32 v26, v26, v51
	s_delay_alu instid0(VALU_DEP_2) | instskip(NEXT) | instid1(VALU_DEP_2)
	v_dual_fma_f32 v39, v42, v38, -v52 :: v_dual_mul_f32 v51, v43, v41
	v_add_f32_e32 v28, v28, v50
	s_delay_alu instid0(VALU_DEP_4) | instskip(NEXT) | instid1(VALU_DEP_3)
	v_dual_fmac_f32 v32, v43, v38 :: v_dual_mul_f32 v50, v42, v41
	v_add_f32_e32 v22, v22, v39
	s_wait_dscnt 0x1
	v_dual_fma_f32 v38, v42, v40, -v51 :: v_dual_mul_f32 v39, v57, v35
	s_delay_alu instid0(VALU_DEP_3) | instskip(SKIP_1) | instid1(VALU_DEP_3)
	v_add_f32_e32 v24, v24, v32
	v_dual_fmac_f32 v50, v43, v40 :: v_dual_mul_f32 v32, v56, v35
	v_dual_add_f32 v8, v8, v38 :: v_dual_mul_f32 v43, v57, v37
	s_delay_alu instid0(VALU_DEP_4) | instskip(SKIP_4) | instid1(VALU_DEP_3)
	v_fma_f32 v42, v56, v34, -v39
	ds_load_2addr_b64 v[38:41], v29 offset0:192 offset1:208
	v_fmac_f32_e32 v32, v57, v34
	v_add_f32_e32 v20, v20, v50
	v_dual_fma_f32 v43, v56, v36, -v43 :: v_dual_add_f32 v30, v30, v42
	v_dual_mul_f32 v42, v56, v37 :: v_dual_add_f32 v31, v31, v32
	v_dual_mul_f32 v32, v45, v35 :: v_dual_mul_f32 v35, v44, v35
	s_delay_alu instid0(VALU_DEP_3) | instskip(NEXT) | instid1(VALU_DEP_2)
	v_dual_add_f32 v26, v26, v43 :: v_dual_mul_f32 v43, v45, v37
	v_dual_fmac_f32 v42, v57, v36 :: v_dual_fma_f32 v32, v44, v34, -v32
	s_delay_alu instid0(VALU_DEP_3) | instskip(NEXT) | instid1(VALU_DEP_3)
	v_fmac_f32_e32 v35, v45, v34
	v_fma_f32 v34, v44, v36, -v43
	s_delay_alu instid0(VALU_DEP_3) | instskip(SKIP_1) | instid1(VALU_DEP_4)
	v_dual_add_f32 v28, v28, v42 :: v_dual_add_f32 v22, v22, v32
	v_mul_f32_e32 v42, v44, v37
	v_add_f32_e32 v24, v24, v35
	s_wait_dscnt 0x0
	v_dual_mul_f32 v32, v59, v39 :: v_dual_add_f32 v8, v8, v34
	s_delay_alu instid0(VALU_DEP_3) | instskip(SKIP_4) | instid1(VALU_DEP_3)
	v_dual_mul_f32 v43, v58, v39 :: v_dual_fmac_f32 v42, v45, v36
	ds_load_2addr_b64 v[34:37], v29 offset0:224 offset1:240
	v_dual_fma_f32 v32, v58, v38, -v32 :: v_dual_mul_f32 v44, v58, v41
	v_fmac_f32_e32 v43, v59, v38
	v_dual_add_f32 v20, v20, v42 :: v_dual_mul_f32 v42, v59, v41
	v_dual_add_f32 v30, v30, v32 :: v_dual_mul_f32 v32, v47, v39
	s_delay_alu instid0(VALU_DEP_3) | instskip(SKIP_1) | instid1(VALU_DEP_4)
	v_add_f32_e32 v31, v31, v43
	v_dual_fmac_f32 v44, v59, v40 :: v_dual_mul_f32 v39, v46, v39
	v_fma_f32 v42, v58, v40, -v42
	s_delay_alu instid0(VALU_DEP_4) | instskip(SKIP_1) | instid1(VALU_DEP_3)
	v_fma_f32 v32, v46, v38, -v32
	s_wait_dscnt 0x0
	v_add_f32_e32 v28, v28, v44
	s_barrier_signal -1
	v_dual_add_f32 v26, v26, v42 :: v_dual_mul_f32 v42, v47, v41
	v_dual_fmac_f32 v39, v47, v38 :: v_dual_add_f32 v22, v22, v32
	v_dual_mul_f32 v32, v46, v41 :: v_dual_mul_f32 v41, v61, v35
	s_delay_alu instid0(VALU_DEP_3) | instskip(NEXT) | instid1(VALU_DEP_2)
	v_dual_fma_f32 v38, v46, v40, -v42 :: v_dual_mul_f32 v42, v60, v35
	v_dual_add_f32 v24, v24, v39 :: v_dual_fmac_f32 v32, v47, v40
	s_delay_alu instid0(VALU_DEP_2) | instskip(NEXT) | instid1(VALU_DEP_3)
	v_dual_mul_f32 v39, v61, v37 :: v_dual_add_f32 v8, v8, v38
	v_dual_fma_f32 v38, v60, v34, -v41 :: v_dual_fmac_f32 v42, v61, v34
	v_mul_f32_e32 v40, v60, v37
	s_delay_alu instid0(VALU_DEP_4) | instskip(SKIP_1) | instid1(VALU_DEP_3)
	v_add_f32_e32 v20, v20, v32
	s_barrier_wait -1
	v_add_f32_e32 v30, v30, v38
	v_dual_add_f32 v32, v31, v42 :: v_dual_fma_f32 v31, v60, v36, -v39
	v_fmac_f32_e32 v40, v61, v36
	v_dual_mul_f32 v38, v49, v35 :: v_dual_mul_f32 v35, v48, v35
	v_dual_mul_f32 v39, v49, v37 :: v_dual_mul_f32 v37, v48, v37
	s_delay_alu instid0(VALU_DEP_2) | instskip(NEXT) | instid1(VALU_DEP_3)
	v_dual_add_f32 v26, v26, v31 :: v_dual_fma_f32 v31, v48, v34, -v38
	v_fmac_f32_e32 v35, v49, v34
	s_delay_alu instid0(VALU_DEP_3) | instskip(NEXT) | instid1(VALU_DEP_3)
	v_dual_fma_f32 v34, v48, v36, -v39 :: v_dual_fmac_f32 v37, v49, v36
	v_dual_add_f32 v28, v28, v40 :: v_dual_add_f32 v22, v22, v31
	s_delay_alu instid0(VALU_DEP_3) | instskip(NEXT) | instid1(VALU_DEP_3)
	v_add_f32_e32 v24, v24, v35
	v_add_f32_e32 v8, v8, v34
	s_delay_alu instid0(VALU_DEP_4)
	v_add_f32_e32 v20, v20, v37
	s_cbranch_scc0 .LBB372_13
.LBB372_9:                              ;   Parent Loop BB372_6 Depth=1
                                        ; =>  This Inner Loop Header: Depth=2
	v_dual_mov_b32 v34, 0 :: v_dual_add_nc_u32 v31, s13, v21
	v_mov_b32_e32 v35, 0
	s_delay_alu instid0(VALU_DEP_2) | instskip(SKIP_2) | instid1(SALU_CYCLE_1)
	v_cmp_gt_i32_e32 vcc_lo, s23, v31
	s_wait_xcnt 0x0
	s_and_b32 s27, s0, vcc_lo
	s_and_saveexec_b32 s26, s27
	s_cbranch_execz .LBB372_11
; %bb.10:                               ;   in Loop: Header=BB372_9 Depth=2
	flat_load_b64 v[34:35], v[16:17]
.LBB372_11:                             ;   in Loop: Header=BB372_9 Depth=2
	s_wait_xcnt 0x0
	s_or_b32 exec_lo, exec_lo, s26
	v_dual_mov_b32 v36, 0 :: v_dual_add_nc_u32 v31, s13, v23
	v_mov_b32_e32 v37, 0
	s_wait_loadcnt_dscnt 0x0
	ds_store_b64 v25, v[34:35]
	v_cmp_gt_i32_e32 vcc_lo, s23, v31
	s_and_b32 s27, vcc_lo, s1
	s_delay_alu instid0(SALU_CYCLE_1)
	s_and_saveexec_b32 s26, s27
	s_cbranch_execz .LBB372_8
; %bb.12:                               ;   in Loop: Header=BB372_9 Depth=2
	flat_load_b64 v[36:37], v[18:19]
	s_branch .LBB372_8
.LBB372_13:                             ;   in Loop: Header=BB372_6 Depth=1
	s_wait_loadcnt 0x0
	v_add_nc_u64_e32 v[14:15], s[8:9], v[14:15]
	s_delay_alu instid0(VALU_DEP_1)
	v_lshl_add_u64 v[16:17], v[2:3], 3, v[14:15]
	s_and_saveexec_b32 s13, s19
	s_cbranch_execz .LBB372_18
; %bb.14:                               ;   in Loop: Header=BB372_6 Depth=1
	v_mov_b64_e32 v[18:19], s[4:5]
	v_mov_b64_e32 v[34:35], s[14:15]
	s_and_b32 vcc_lo, exec_lo, s18
	s_mov_b32 s26, -1
	s_delay_alu instid0(VALU_DEP_2) | instskip(NEXT) | instid1(VALU_DEP_1)
	v_pk_mul_f32 v[18:19], v[32:33], v[18:19] op_sel_hi:[0,1]
	v_pk_fma_f32 v[36:37], v[30:31], v[34:35], v[18:19] op_sel_hi:[0,1,1]
	v_pk_fma_f32 v[18:19], v[30:31], v[34:35], v[18:19] neg_lo:[0,0,1] neg_hi:[0,0,1]
	v_lshl_add_u64 v[30:31], v[0:1], 3, v[16:17]
	s_delay_alu instid0(VALU_DEP_3)
	v_mov_b32_e32 v19, v37
	s_cbranch_vccz .LBB372_16
; %bb.15:                               ;   in Loop: Header=BB372_6 Depth=1
	flat_load_b64 v[34:35], v[30:31]
	v_mov_b64_e32 v[36:37], s[20:21]
	v_mov_b64_e32 v[38:39], s[2:3]
	s_mov_b32 s26, 0
	s_wait_loadcnt_dscnt 0x0
	s_delay_alu instid0(VALU_DEP_2) | instskip(NEXT) | instid1(VALU_DEP_1)
	v_pk_mul_f32 v[36:37], v[34:35], v[36:37]
	v_pk_fma_f32 v[40:41], v[34:35], v[38:39], v[36:37] op_sel:[0,0,1] op_sel_hi:[1,1,0]
	v_pk_fma_f32 v[34:35], v[34:35], v[38:39], v[36:37] op_sel:[0,0,1] op_sel_hi:[1,1,0] neg_lo:[0,0,1] neg_hi:[0,0,1]
	s_delay_alu instid0(VALU_DEP_2) | instskip(NEXT) | instid1(VALU_DEP_1)
	v_mov_b32_e32 v35, v41
	v_pk_add_f32 v[34:35], v[18:19], v[34:35]
	flat_store_b64 v[30:31], v[34:35]
.LBB372_16:                             ;   in Loop: Header=BB372_6 Depth=1
	s_and_not1_b32 vcc_lo, exec_lo, s26
	s_cbranch_vccnz .LBB372_18
; %bb.17:                               ;   in Loop: Header=BB372_6 Depth=1
	flat_store_b64 v[30:31], v[18:19]
.LBB372_18:                             ;   in Loop: Header=BB372_6 Depth=1
	s_wait_xcnt 0x0
	s_or_b32 exec_lo, exec_lo, s13
	s_and_saveexec_b32 s13, s22
	s_cbranch_execz .LBB372_23
; %bb.19:                               ;   in Loop: Header=BB372_6 Depth=1
	v_mov_b64_e32 v[18:19], s[4:5]
	v_mov_b64_e32 v[30:31], s[14:15]
	v_lshl_add_u64 v[16:17], v[4:5], 3, v[16:17]
	s_and_not1_b32 vcc_lo, exec_lo, s18
	s_mov_b32 s26, -1
	s_delay_alu instid0(VALU_DEP_3) | instskip(NEXT) | instid1(VALU_DEP_1)
	v_pk_mul_f32 v[18:19], v[28:29], v[18:19] op_sel_hi:[0,1]
	v_pk_fma_f32 v[34:35], v[26:27], v[30:31], v[18:19] op_sel_hi:[0,1,1]
	v_pk_fma_f32 v[18:19], v[26:27], v[30:31], v[18:19] neg_lo:[0,0,1] neg_hi:[0,0,1]
	s_delay_alu instid0(VALU_DEP_2)
	v_mov_b32_e32 v19, v35
	s_cbranch_vccnz .LBB372_21
; %bb.20:                               ;   in Loop: Header=BB372_6 Depth=1
	flat_load_b64 v[30:31], v[16:17]
	v_mov_b64_e32 v[34:35], s[20:21]
	v_mov_b64_e32 v[36:37], s[2:3]
	s_mov_b32 s26, 0
	s_wait_loadcnt_dscnt 0x0
	s_delay_alu instid0(VALU_DEP_2) | instskip(NEXT) | instid1(VALU_DEP_1)
	v_pk_mul_f32 v[34:35], v[30:31], v[34:35]
	v_pk_fma_f32 v[38:39], v[30:31], v[36:37], v[34:35] op_sel:[0,0,1] op_sel_hi:[1,1,0]
	v_pk_fma_f32 v[30:31], v[30:31], v[36:37], v[34:35] op_sel:[0,0,1] op_sel_hi:[1,1,0] neg_lo:[0,0,1] neg_hi:[0,0,1]
	s_delay_alu instid0(VALU_DEP_2) | instskip(NEXT) | instid1(VALU_DEP_1)
	v_mov_b32_e32 v31, v39
	v_pk_add_f32 v[30:31], v[18:19], v[30:31]
	flat_store_b64 v[16:17], v[30:31]
.LBB372_21:                             ;   in Loop: Header=BB372_6 Depth=1
	s_and_not1_b32 vcc_lo, exec_lo, s26
	s_cbranch_vccnz .LBB372_23
; %bb.22:                               ;   in Loop: Header=BB372_6 Depth=1
	flat_store_b64 v[16:17], v[18:19]
.LBB372_23:                             ;   in Loop: Header=BB372_6 Depth=1
	s_wait_xcnt 0x0
	s_or_b32 exec_lo, exec_lo, s13
	v_lshl_add_u64 v[14:15], v[6:7], 3, v[14:15]
	s_and_saveexec_b32 s13, s29
	s_cbranch_execz .LBB372_28
; %bb.24:                               ;   in Loop: Header=BB372_6 Depth=1
	v_mov_b64_e32 v[16:17], s[4:5]
	v_mov_b64_e32 v[18:19], s[14:15]
	s_and_not1_b32 vcc_lo, exec_lo, s18
	s_mov_b32 s26, -1
	s_delay_alu instid0(VALU_DEP_2) | instskip(NEXT) | instid1(VALU_DEP_1)
	v_pk_mul_f32 v[16:17], v[24:25], v[16:17] op_sel_hi:[0,1]
	v_pk_fma_f32 v[30:31], v[22:23], v[18:19], v[16:17] op_sel_hi:[0,1,1]
	v_pk_fma_f32 v[16:17], v[22:23], v[18:19], v[16:17] neg_lo:[0,0,1] neg_hi:[0,0,1]
	v_lshl_add_u64 v[18:19], v[0:1], 3, v[14:15]
	s_delay_alu instid0(VALU_DEP_3)
	v_mov_b32_e32 v17, v31
	s_cbranch_vccnz .LBB372_26
; %bb.25:                               ;   in Loop: Header=BB372_6 Depth=1
	flat_load_b64 v[30:31], v[18:19]
	v_mov_b64_e32 v[34:35], s[20:21]
	v_mov_b64_e32 v[36:37], s[2:3]
	s_mov_b32 s26, 0
	s_wait_loadcnt_dscnt 0x0
	s_delay_alu instid0(VALU_DEP_2) | instskip(NEXT) | instid1(VALU_DEP_1)
	v_pk_mul_f32 v[34:35], v[30:31], v[34:35]
	v_pk_fma_f32 v[38:39], v[30:31], v[36:37], v[34:35] op_sel:[0,0,1] op_sel_hi:[1,1,0]
	v_pk_fma_f32 v[30:31], v[30:31], v[36:37], v[34:35] op_sel:[0,0,1] op_sel_hi:[1,1,0] neg_lo:[0,0,1] neg_hi:[0,0,1]
	s_delay_alu instid0(VALU_DEP_2) | instskip(NEXT) | instid1(VALU_DEP_1)
	v_mov_b32_e32 v31, v39
	v_pk_add_f32 v[30:31], v[16:17], v[30:31]
	flat_store_b64 v[18:19], v[30:31]
.LBB372_26:                             ;   in Loop: Header=BB372_6 Depth=1
	s_and_not1_b32 vcc_lo, exec_lo, s26
	s_cbranch_vccnz .LBB372_28
; %bb.27:                               ;   in Loop: Header=BB372_6 Depth=1
	flat_store_b64 v[18:19], v[16:17]
.LBB372_28:                             ;   in Loop: Header=BB372_6 Depth=1
	s_wait_xcnt 0x0
	s_or_b32 exec_lo, exec_lo, s13
	s_and_saveexec_b32 s13, s30
	s_cbranch_execz .LBB372_5
; %bb.29:                               ;   in Loop: Header=BB372_6 Depth=1
	v_mov_b64_e32 v[16:17], s[4:5]
	v_mov_b64_e32 v[18:19], s[14:15]
	v_lshl_add_u64 v[14:15], v[4:5], 3, v[14:15]
	s_and_not1_b32 vcc_lo, exec_lo, s18
	s_mov_b32 s26, -1
	s_delay_alu instid0(VALU_DEP_3) | instskip(NEXT) | instid1(VALU_DEP_1)
	v_pk_mul_f32 v[16:17], v[20:21], v[16:17] op_sel_hi:[0,1]
	v_pk_fma_f32 v[30:31], v[8:9], v[18:19], v[16:17] op_sel_hi:[0,1,1]
	v_pk_fma_f32 v[16:17], v[8:9], v[18:19], v[16:17] neg_lo:[0,0,1] neg_hi:[0,0,1]
	s_delay_alu instid0(VALU_DEP_2)
	v_mov_b32_e32 v17, v31
	s_cbranch_vccnz .LBB372_31
; %bb.30:                               ;   in Loop: Header=BB372_6 Depth=1
	flat_load_b64 v[18:19], v[14:15]
	v_mov_b64_e32 v[30:31], s[20:21]
	v_mov_b64_e32 v[34:35], s[2:3]
	s_mov_b32 s26, 0
	s_wait_loadcnt_dscnt 0x0
	s_delay_alu instid0(VALU_DEP_2) | instskip(NEXT) | instid1(VALU_DEP_1)
	v_pk_mul_f32 v[30:31], v[18:19], v[30:31]
	v_pk_fma_f32 v[36:37], v[18:19], v[34:35], v[30:31] op_sel:[0,0,1] op_sel_hi:[1,1,0]
	v_pk_fma_f32 v[18:19], v[18:19], v[34:35], v[30:31] op_sel:[0,0,1] op_sel_hi:[1,1,0] neg_lo:[0,0,1] neg_hi:[0,0,1]
	s_delay_alu instid0(VALU_DEP_2) | instskip(NEXT) | instid1(VALU_DEP_1)
	v_mov_b32_e32 v19, v37
	v_pk_add_f32 v[18:19], v[16:17], v[18:19]
	flat_store_b64 v[14:15], v[18:19]
.LBB372_31:                             ;   in Loop: Header=BB372_6 Depth=1
	s_and_not1_b32 vcc_lo, exec_lo, s26
	s_cbranch_vccnz .LBB372_5
; %bb.32:                               ;   in Loop: Header=BB372_6 Depth=1
	flat_store_b64 v[14:15], v[16:17]
	s_branch .LBB372_5
.LBB372_33:
	s_sendmsg sendmsg(MSG_DEALLOC_VGPRS)
	s_endpgm
	.section	.rodata,"a",@progbits
	.p2align	6, 0x0
	.amdhsa_kernel _ZL29rocblas_internal_gemmt_kernelIiLi16ELi32ELi8ELc84ELc78ELc76ELb0ELb0E19rocblas_complex_numIfEPKS1_PKS3_PKPS1_EviT_T9_T10_S9_lSB_S9_lSA_T11_S9_li
		.amdhsa_group_segment_fixed_size 4096
		.amdhsa_private_segment_fixed_size 0
		.amdhsa_kernarg_size 100
		.amdhsa_user_sgpr_count 2
		.amdhsa_user_sgpr_dispatch_ptr 0
		.amdhsa_user_sgpr_queue_ptr 0
		.amdhsa_user_sgpr_kernarg_segment_ptr 1
		.amdhsa_user_sgpr_dispatch_id 0
		.amdhsa_user_sgpr_kernarg_preload_length 0
		.amdhsa_user_sgpr_kernarg_preload_offset 0
		.amdhsa_user_sgpr_private_segment_size 0
		.amdhsa_wavefront_size32 1
		.amdhsa_uses_dynamic_stack 0
		.amdhsa_enable_private_segment 0
		.amdhsa_system_sgpr_workgroup_id_x 1
		.amdhsa_system_sgpr_workgroup_id_y 1
		.amdhsa_system_sgpr_workgroup_id_z 1
		.amdhsa_system_sgpr_workgroup_info 0
		.amdhsa_system_vgpr_workitem_id 1
		.amdhsa_next_free_vgpr 72
		.amdhsa_next_free_sgpr 36
		.amdhsa_named_barrier_count 0
		.amdhsa_reserve_vcc 1
		.amdhsa_float_round_mode_32 0
		.amdhsa_float_round_mode_16_64 0
		.amdhsa_float_denorm_mode_32 3
		.amdhsa_float_denorm_mode_16_64 3
		.amdhsa_fp16_overflow 0
		.amdhsa_memory_ordered 1
		.amdhsa_forward_progress 1
		.amdhsa_inst_pref_size 26
		.amdhsa_round_robin_scheduling 0
		.amdhsa_exception_fp_ieee_invalid_op 0
		.amdhsa_exception_fp_denorm_src 0
		.amdhsa_exception_fp_ieee_div_zero 0
		.amdhsa_exception_fp_ieee_overflow 0
		.amdhsa_exception_fp_ieee_underflow 0
		.amdhsa_exception_fp_ieee_inexact 0
		.amdhsa_exception_int_div_zero 0
	.end_amdhsa_kernel
	.section	.text._ZL29rocblas_internal_gemmt_kernelIiLi16ELi32ELi8ELc84ELc78ELc76ELb0ELb0E19rocblas_complex_numIfEPKS1_PKS3_PKPS1_EviT_T9_T10_S9_lSB_S9_lSA_T11_S9_li,"axG",@progbits,_ZL29rocblas_internal_gemmt_kernelIiLi16ELi32ELi8ELc84ELc78ELc76ELb0ELb0E19rocblas_complex_numIfEPKS1_PKS3_PKPS1_EviT_T9_T10_S9_lSB_S9_lSA_T11_S9_li,comdat
.Lfunc_end372:
	.size	_ZL29rocblas_internal_gemmt_kernelIiLi16ELi32ELi8ELc84ELc78ELc76ELb0ELb0E19rocblas_complex_numIfEPKS1_PKS3_PKPS1_EviT_T9_T10_S9_lSB_S9_lSA_T11_S9_li, .Lfunc_end372-_ZL29rocblas_internal_gemmt_kernelIiLi16ELi32ELi8ELc84ELc78ELc76ELb0ELb0E19rocblas_complex_numIfEPKS1_PKS3_PKPS1_EviT_T9_T10_S9_lSB_S9_lSA_T11_S9_li
                                        ; -- End function
	.set _ZL29rocblas_internal_gemmt_kernelIiLi16ELi32ELi8ELc84ELc78ELc76ELb0ELb0E19rocblas_complex_numIfEPKS1_PKS3_PKPS1_EviT_T9_T10_S9_lSB_S9_lSA_T11_S9_li.num_vgpr, 72
	.set _ZL29rocblas_internal_gemmt_kernelIiLi16ELi32ELi8ELc84ELc78ELc76ELb0ELb0E19rocblas_complex_numIfEPKS1_PKS3_PKPS1_EviT_T9_T10_S9_lSB_S9_lSA_T11_S9_li.num_agpr, 0
	.set _ZL29rocblas_internal_gemmt_kernelIiLi16ELi32ELi8ELc84ELc78ELc76ELb0ELb0E19rocblas_complex_numIfEPKS1_PKS3_PKPS1_EviT_T9_T10_S9_lSB_S9_lSA_T11_S9_li.numbered_sgpr, 36
	.set _ZL29rocblas_internal_gemmt_kernelIiLi16ELi32ELi8ELc84ELc78ELc76ELb0ELb0E19rocblas_complex_numIfEPKS1_PKS3_PKPS1_EviT_T9_T10_S9_lSB_S9_lSA_T11_S9_li.num_named_barrier, 0
	.set _ZL29rocblas_internal_gemmt_kernelIiLi16ELi32ELi8ELc84ELc78ELc76ELb0ELb0E19rocblas_complex_numIfEPKS1_PKS3_PKPS1_EviT_T9_T10_S9_lSB_S9_lSA_T11_S9_li.private_seg_size, 0
	.set _ZL29rocblas_internal_gemmt_kernelIiLi16ELi32ELi8ELc84ELc78ELc76ELb0ELb0E19rocblas_complex_numIfEPKS1_PKS3_PKPS1_EviT_T9_T10_S9_lSB_S9_lSA_T11_S9_li.uses_vcc, 1
	.set _ZL29rocblas_internal_gemmt_kernelIiLi16ELi32ELi8ELc84ELc78ELc76ELb0ELb0E19rocblas_complex_numIfEPKS1_PKS3_PKPS1_EviT_T9_T10_S9_lSB_S9_lSA_T11_S9_li.uses_flat_scratch, 0
	.set _ZL29rocblas_internal_gemmt_kernelIiLi16ELi32ELi8ELc84ELc78ELc76ELb0ELb0E19rocblas_complex_numIfEPKS1_PKS3_PKPS1_EviT_T9_T10_S9_lSB_S9_lSA_T11_S9_li.has_dyn_sized_stack, 0
	.set _ZL29rocblas_internal_gemmt_kernelIiLi16ELi32ELi8ELc84ELc78ELc76ELb0ELb0E19rocblas_complex_numIfEPKS1_PKS3_PKPS1_EviT_T9_T10_S9_lSB_S9_lSA_T11_S9_li.has_recursion, 0
	.set _ZL29rocblas_internal_gemmt_kernelIiLi16ELi32ELi8ELc84ELc78ELc76ELb0ELb0E19rocblas_complex_numIfEPKS1_PKS3_PKPS1_EviT_T9_T10_S9_lSB_S9_lSA_T11_S9_li.has_indirect_call, 0
	.section	.AMDGPU.csdata,"",@progbits
; Kernel info:
; codeLenInByte = 3240
; TotalNumSgprs: 38
; NumVgprs: 72
; ScratchSize: 0
; MemoryBound: 0
; FloatMode: 240
; IeeeMode: 1
; LDSByteSize: 4096 bytes/workgroup (compile time only)
; SGPRBlocks: 0
; VGPRBlocks: 4
; NumSGPRsForWavesPerEU: 38
; NumVGPRsForWavesPerEU: 72
; NamedBarCnt: 0
; Occupancy: 12
; WaveLimiterHint : 1
; COMPUTE_PGM_RSRC2:SCRATCH_EN: 0
; COMPUTE_PGM_RSRC2:USER_SGPR: 2
; COMPUTE_PGM_RSRC2:TRAP_HANDLER: 0
; COMPUTE_PGM_RSRC2:TGID_X_EN: 1
; COMPUTE_PGM_RSRC2:TGID_Y_EN: 1
; COMPUTE_PGM_RSRC2:TGID_Z_EN: 1
; COMPUTE_PGM_RSRC2:TIDIG_COMP_CNT: 1
	.section	.text._ZL29rocblas_internal_gemmt_kernelIiLi16ELi32ELi8ELc84ELc84ELc76ELb0ELb0E19rocblas_complex_numIfEPKS1_PKS3_PKPS1_EviT_T9_T10_S9_lSB_S9_lSA_T11_S9_li,"axG",@progbits,_ZL29rocblas_internal_gemmt_kernelIiLi16ELi32ELi8ELc84ELc84ELc76ELb0ELb0E19rocblas_complex_numIfEPKS1_PKS3_PKPS1_EviT_T9_T10_S9_lSB_S9_lSA_T11_S9_li,comdat
	.globl	_ZL29rocblas_internal_gemmt_kernelIiLi16ELi32ELi8ELc84ELc84ELc76ELb0ELb0E19rocblas_complex_numIfEPKS1_PKS3_PKPS1_EviT_T9_T10_S9_lSB_S9_lSA_T11_S9_li ; -- Begin function _ZL29rocblas_internal_gemmt_kernelIiLi16ELi32ELi8ELc84ELc84ELc76ELb0ELb0E19rocblas_complex_numIfEPKS1_PKS3_PKPS1_EviT_T9_T10_S9_lSB_S9_lSA_T11_S9_li
	.p2align	8
	.type	_ZL29rocblas_internal_gemmt_kernelIiLi16ELi32ELi8ELc84ELc84ELc76ELb0ELb0E19rocblas_complex_numIfEPKS1_PKS3_PKPS1_EviT_T9_T10_S9_lSB_S9_lSA_T11_S9_li,@function
_ZL29rocblas_internal_gemmt_kernelIiLi16ELi32ELi8ELc84ELc84ELc76ELb0ELb0E19rocblas_complex_numIfEPKS1_PKS3_PKPS1_EviT_T9_T10_S9_lSB_S9_lSA_T11_S9_li: ; @_ZL29rocblas_internal_gemmt_kernelIiLi16ELi32ELi8ELc84ELc84ELc76ELb0ELb0E19rocblas_complex_numIfEPKS1_PKS3_PKPS1_EviT_T9_T10_S9_lSB_S9_lSA_T11_S9_li
; %bb.0:
	s_load_b128 s[12:15], s[0:1], 0x38
	s_wait_kmcnt 0x0
	s_load_b64 s[20:21], s[14:15], 0x0
	s_clause 0x1
	s_load_b128 s[4:7], s[0:1], 0x8
	s_load_b64 s[22:23], s[0:1], 0x0
	s_wait_kmcnt 0x0
	s_cmp_neq_f32 s20, 1.0
	s_load_b64 s[14:15], s[4:5], 0x0
	s_cselect_b32 s2, -1, 0
	s_and_b32 s3, s21, 0x7fffffff
	s_delay_alu instid0(SALU_CYCLE_1) | instskip(SKIP_3) | instid1(SALU_CYCLE_1)
	s_cmp_eq_u32 s3, 0
	s_cselect_b32 s30, -1, 0
	s_cmp_lg_u32 s3, 0
	s_cselect_b32 s3, -1, 0
	s_or_b32 s2, s2, s3
	s_delay_alu instid0(SALU_CYCLE_1)
	s_and_b32 vcc_lo, exec_lo, s2
	s_cbranch_vccnz .LBB373_2
; %bb.1:
	s_cmp_lg_u32 s23, 0
	s_cselect_b32 s2, -1, 0
	s_wait_kmcnt 0x0
	s_cmp_neq_f32 s14, 0
	s_cselect_b32 s3, -1, 0
	s_cmp_neq_f32 s15, 0
	s_cselect_b32 s4, -1, 0
	s_delay_alu instid0(SALU_CYCLE_1) | instskip(NEXT) | instid1(SALU_CYCLE_1)
	s_or_b32 s3, s3, s4
	s_and_b32 s2, s2, s3
.LBB373_2:
	s_delay_alu instid0(SALU_CYCLE_1)
	s_and_not1_b32 vcc_lo, exec_lo, s2
	s_cbranch_vccnz .LBB373_33
; %bb.3:
	s_load_b32 s19, s[0:1], 0x60
	s_bfe_u32 s2, ttmp6, 0x40014
	s_lshr_b32 s3, ttmp7, 16
	s_add_co_i32 s2, s2, 1
	s_wait_xcnt 0x0
	s_bfe_u32 s5, ttmp6, 0x40008
	s_mul_i32 s2, s3, s2
	s_getreg_b32 s4, hwreg(HW_REG_IB_STS2, 6, 4)
	s_add_co_i32 s5, s5, s2
	s_cmp_eq_u32 s4, 0
	s_mov_b32 s25, 0
	s_cselect_b32 s24, s3, s5
	s_wait_kmcnt 0x0
	s_cmp_ge_u32 s24, s19
	s_cbranch_scc1 .LBB373_33
; %bb.4:
	s_clause 0x3
	s_load_b32 s2, s[0:1], 0x18
	s_load_b32 s26, s[0:1], 0x30
	s_load_b96 s[16:18], s[0:1], 0x48
	s_load_b128 s[8:11], s[0:1], 0x20
	v_and_b32_e32 v2, 0x3ff, v0
	v_bfe_u32 v9, v0, 10, 10
	s_load_b64 s[28:29], s[0:1], 0x58
	s_wait_xcnt 0x0
	s_bfe_u32 s1, ttmp6, 0x4000c
	s_bfe_u32 s3, ttmp6, 0x40010
	s_and_b32 s31, ttmp7, 0xffff
	s_add_co_i32 s1, s1, 1
	s_add_co_i32 s3, s3, 1
	v_lshl_add_u32 v1, v9, 4, v2
	s_and_b32 s0, ttmp6, 15
	s_bfe_u32 s5, ttmp6, 0x40004
	s_mul_i32 s1, ttmp9, s1
	s_mul_i32 s3, s31, s3
	s_add_co_i32 s0, s0, s1
	s_add_co_i32 s1, s5, s3
	v_dual_lshrrev_b32 v23, 5, v1 :: v_dual_bitop2_b32 v3, 31, v1 bitop3:0x40
	s_wait_kmcnt 0x0
	s_ashr_i32 s3, s2, 31
	s_ashr_i32 s27, s26, 31
	;; [unrolled: 1-line block ×3, first 2 shown]
	s_cmp_eq_u32 s4, 0
	v_dual_lshrrev_b32 v1, 3, v1 :: v_dual_bitop2_b32 v0, 7, v0 bitop3:0x40
	s_cselect_b32 s0, ttmp9, s0
	s_cselect_b32 s1, s31, s1
	s_lshl_b32 s31, s0, 5
	s_lshl_b32 s1, s1, 5
	s_delay_alu instid0(SALU_CYCLE_1) | instskip(SKIP_1) | instid1(VALU_DEP_2)
	v_dual_add_nc_u32 v14, s1, v1 :: v_dual_bitop2_b32 v4, s31, v3 bitop3:0x54
	v_dual_lshlrev_b32 v6, 3, v3 :: v_dual_lshlrev_b32 v7, 3, v0
	v_dual_mov_b32 v3, 0 :: v_dual_ashrrev_i32 v5, 31, v4
	s_cmp_neq_f32 s14, 0
	s_delay_alu instid0(VALU_DEP_2) | instskip(NEXT) | instid1(VALU_DEP_3)
	v_lshl_or_b32 v25, v23, 8, v6
	v_lshl_or_b32 v6, v1, 6, v7
	s_delay_alu instid0(VALU_DEP_3) | instskip(SKIP_3) | instid1(VALU_DEP_2)
	v_dual_mov_b32 v1, v3 :: v_dual_add_nc_u32 v12, s1, v9
	v_mul_u64_e32 v[16:17], s[2:3], v[4:5]
	s_cselect_b32 s0, -1, 0
	s_cmp_neq_f32 s15, 0
	v_mul_u64_e32 v[18:19], s[26:27], v[0:1]
	v_dual_ashrrev_i32 v15, 31, v14 :: v_dual_add_nc_u32 v20, 16, v12
	s_mov_b32 s4, s18
	s_cselect_b32 s18, -1, 0
	v_dual_lshlrev_b32 v1, 3, v2 :: v_dual_ashrrev_i32 v13, 31, v12
	s_or_b32 s34, s0, s18
	v_cmp_gt_i32_e64 s0, s22, v4
	v_dual_add_nc_u32 v4, s31, v2 :: v_dual_ashrrev_i32 v21, 31, v20
	v_add_nc_u32_e32 v27, 0x800, v6
	v_mul_u64_e32 v[6:7], s[4:5], v[12:13]
	s_cmp_gt_i32 s23, 0
	s_delay_alu instid0(VALU_DEP_3) | instskip(SKIP_3) | instid1(VALU_DEP_2)
	v_dual_add_nc_u32 v8, 16, v4 :: v_dual_ashrrev_i32 v5, 31, v4
	v_mul_u64_e32 v[10:11], s[4:5], v[20:21]
	s_cselect_b32 s35, -1, 0
	s_cmp_neq_f32 s20, 0
	v_cmp_gt_i32_e64 s4, s22, v8
	v_cmp_le_i32_e64 s5, v20, v8
	v_cmp_le_i32_e32 vcc_lo, v12, v4
	s_cselect_b32 s3, -1, 0
	s_xor_b32 s18, s30, -1
	v_cmp_gt_i32_e64 s2, s22, v4
	s_or_b32 s18, s3, s18
	v_cmp_le_i32_e64 s3, v12, v8
	s_and_b32 s33, s5, s4
	v_lshl_add_u32 v29, v9, 6, 0x800
	v_dual_ashrrev_i32 v9, 31, v8 :: v_dual_lshlrev_b32 v2, 3, v23
	s_and_b32 s30, s3, s4
	s_lshl_b64 s[4:5], s[8:9], 3
	v_cmp_gt_i32_e64 s1, s22, v14
	v_lshl_add_u64 v[12:13], v[16:17], 3, s[4:5]
	s_lshl_b64 s[4:5], s[12:13], 3
	s_and_b32 s22, vcc_lo, s2
	v_lshl_add_u64 v[16:17], v[18:19], 3, s[4:5]
	v_cmp_le_i32_e32 vcc_lo, v20, v4
	v_add_nc_u64_e32 v[12:13], v[12:13], v[2:3]
	s_mov_b32 s3, s20
	s_mov_b32 s4, s15
	v_lshl_add_u64 v[14:15], v[14:15], 3, v[16:17]
	s_and_b32 s31, vcc_lo, s2
	s_mov_b32 s2, s20
	s_mov_b32 s20, s21
	s_and_b32 s34, s34, s35
	s_mov_b32 s5, s14
	s_lshl_b64 s[8:9], s[26:27], 6
	s_lshl_b64 s[12:13], s[28:29], 3
	s_branch .LBB373_6
.LBB373_5:                              ;   in Loop: Header=BB373_6 Depth=1
	s_wait_xcnt 0x0
	s_or_b32 exec_lo, exec_lo, s26
	s_add_co_i32 s24, s24, 0x10000
	s_delay_alu instid0(SALU_CYCLE_1)
	s_cmp_lt_u32 s24, s19
	s_cbranch_scc0 .LBB373_33
.LBB373_6:                              ; =>This Loop Header: Depth=1
                                        ;     Child Loop BB373_9 Depth 2
	v_dual_mov_b32 v2, s24 :: v_dual_mov_b32 v32, 0
	v_dual_mov_b32 v34, 0 :: v_dual_mov_b32 v28, 0
	;; [unrolled: 1-line block ×3, first 2 shown]
	global_load_b64 v[16:17], v2, s[16:17] scale_offset
	s_wait_xcnt 0x0
	v_dual_mov_b32 v26, 0 :: v_dual_mov_b32 v2, 0
	v_mov_b32_e32 v22, 0
	s_and_not1_b32 vcc_lo, exec_lo, s34
	s_cbranch_vccnz .LBB373_13
; %bb.7:                                ;   in Loop: Header=BB373_6 Depth=1
	s_lshl_b64 s[26:27], s[24:25], 3
	v_dual_mov_b32 v22, 0 :: v_dual_mov_b32 v2, 0
	s_add_nc_u64 s[28:29], s[6:7], s[26:27]
	s_add_nc_u64 s[26:27], s[10:11], s[26:27]
	s_clause 0x1
	global_load_b64 v[18:19], v3, s[28:29]
	global_load_b64 v[20:21], v3, s[26:27]
	v_dual_mov_b32 v26, 0 :: v_dual_mov_b32 v24, 0
	v_dual_mov_b32 v30, 0 :: v_dual_mov_b32 v28, 0
	;; [unrolled: 1-line block ×3, first 2 shown]
	s_wait_xcnt 0x0
	s_mov_b32 s26, 0
	s_wait_loadcnt 0x1
	v_add_nc_u64_e32 v[18:19], v[18:19], v[12:13]
	s_wait_loadcnt 0x0
	v_add_nc_u64_e32 v[20:21], v[20:21], v[14:15]
	s_branch .LBB373_9
.LBB373_8:                              ;   in Loop: Header=BB373_9 Depth=2
	s_wait_xcnt 0x0
	s_or_b32 exec_lo, exec_lo, s27
	s_wait_loadcnt_dscnt 0x0
	ds_store_b64 v27, v[38:39]
	s_wait_dscnt 0x0
	s_barrier_signal -1
	s_barrier_wait -1
	ds_load_b128 v[36:39], v29
	ds_load_2addr_b64 v[40:43], v1 offset1:16
	ds_load_b128 v[44:47], v29 offset:1024
	ds_load_b128 v[48:51], v29 offset:16
	ds_load_2addr_b64 v[52:55], v1 offset0:32 offset1:48
	ds_load_b128 v[56:59], v29 offset:32
	ds_load_b128 v[60:63], v29 offset:48
	;; [unrolled: 1-line block ×3, first 2 shown]
	v_add_nc_u64_e32 v[18:19], 64, v[18:19]
	v_add_nc_u64_e32 v[20:21], s[8:9], v[20:21]
	s_add_co_i32 s26, s26, 8
	s_delay_alu instid0(SALU_CYCLE_1)
	s_cmp_lt_i32 s26, s23
	s_wait_dscnt 0x6
	v_dual_mul_f32 v31, v37, v41 :: v_dual_mul_f32 v33, v36, v41
	v_dual_mul_f32 v35, v37, v43 :: v_dual_mul_f32 v68, v36, v43
	s_wait_dscnt 0x5
	v_dual_mul_f32 v69, v45, v41 :: v_dual_mul_f32 v41, v44, v41
	v_dual_mul_f32 v70, v45, v43 :: v_dual_mul_f32 v43, v44, v43
	v_dual_fma_f32 v31, v36, v40, -v31 :: v_dual_fmac_f32 v33, v37, v40
	v_dual_fma_f32 v35, v36, v42, -v35 :: v_dual_fmac_f32 v68, v37, v42
	s_delay_alu instid0(VALU_DEP_3) | instskip(NEXT) | instid1(VALU_DEP_3)
	v_dual_fma_f32 v36, v44, v40, -v69 :: v_dual_fma_f32 v37, v44, v42, -v70
	v_dual_fmac_f32 v41, v45, v40 :: v_dual_add_f32 v40, v32, v31
	s_delay_alu instid0(VALU_DEP_3) | instskip(NEXT) | instid1(VALU_DEP_4)
	v_dual_add_f32 v34, v34, v33 :: v_dual_add_f32 v28, v28, v35
	v_add_f32_e32 v35, v30, v68
	s_delay_alu instid0(VALU_DEP_3)
	v_dual_add_f32 v24, v24, v36 :: v_dual_add_f32 v26, v26, v41
	s_wait_dscnt 0x3
	v_mul_f32_e32 v36, v39, v53
	ds_load_2addr_b64 v[30:33], v1 offset0:64 offset1:80
	v_dual_fmac_f32 v43, v45, v42 :: v_dual_add_f32 v2, v2, v37
	v_dual_mul_f32 v37, v38, v53 :: v_dual_fma_f32 v36, v38, v52, -v36
	v_mul_f32_e32 v41, v39, v55
	s_delay_alu instid0(VALU_DEP_2) | instskip(NEXT) | instid1(VALU_DEP_3)
	v_dual_add_f32 v22, v22, v43 :: v_dual_fmac_f32 v37, v39, v52
	v_dual_mul_f32 v42, v38, v55 :: v_dual_add_f32 v40, v40, v36
	s_delay_alu instid0(VALU_DEP_3) | instskip(NEXT) | instid1(VALU_DEP_2)
	v_dual_fma_f32 v36, v38, v54, -v41 :: v_dual_mul_f32 v38, v47, v53
	v_dual_add_f32 v41, v34, v37 :: v_dual_fmac_f32 v42, v39, v54
	s_delay_alu instid0(VALU_DEP_2) | instskip(NEXT) | instid1(VALU_DEP_3)
	v_dual_mul_f32 v34, v46, v53 :: v_dual_add_f32 v28, v28, v36
	v_dual_mul_f32 v37, v47, v55 :: v_dual_fma_f32 v36, v46, v52, -v38
	s_delay_alu instid0(VALU_DEP_3) | instskip(NEXT) | instid1(VALU_DEP_3)
	v_add_f32_e32 v38, v35, v42
	v_dual_fmac_f32 v34, v47, v52 :: v_dual_mul_f32 v39, v46, v55
	s_delay_alu instid0(VALU_DEP_3) | instskip(SKIP_1) | instid1(VALU_DEP_2)
	v_dual_fma_f32 v35, v46, v54, -v37 :: v_dual_add_f32 v24, v24, v36
	s_wait_dscnt 0x0
	v_dual_mul_f32 v36, v49, v31 :: v_dual_add_f32 v26, v26, v34
	s_delay_alu instid0(VALU_DEP_3) | instskip(NEXT) | instid1(VALU_DEP_2)
	v_dual_fmac_f32 v39, v47, v54 :: v_dual_mul_f32 v42, v48, v31
	v_dual_add_f32 v2, v2, v35 :: v_dual_fma_f32 v43, v48, v30, -v36
	v_mul_f32_e32 v44, v49, v33
	ds_load_2addr_b64 v[34:37], v1 offset0:96 offset1:112
	v_dual_fmac_f32 v42, v49, v30 :: v_dual_add_f32 v22, v22, v39
	v_add_f32_e32 v39, v40, v43
	v_dual_fma_f32 v43, v48, v32, -v44 :: v_dual_mul_f32 v40, v48, v33
	s_delay_alu instid0(VALU_DEP_3) | instskip(SKIP_1) | instid1(VALU_DEP_3)
	v_add_f32_e32 v41, v41, v42
	v_dual_mul_f32 v42, v65, v31 :: v_dual_mul_f32 v31, v64, v31
	v_dual_add_f32 v28, v28, v43 :: v_dual_mul_f32 v43, v65, v33
	s_delay_alu instid0(VALU_DEP_2) | instskip(NEXT) | instid1(VALU_DEP_3)
	v_dual_fmac_f32 v40, v49, v32 :: v_dual_fma_f32 v42, v64, v30, -v42
	v_dual_fmac_f32 v31, v65, v30 :: v_dual_mul_f32 v44, v64, v33
	s_delay_alu instid0(VALU_DEP_3) | instskip(NEXT) | instid1(VALU_DEP_3)
	v_fma_f32 v30, v64, v32, -v43
	v_dual_add_f32 v45, v38, v40 :: v_dual_add_f32 v24, v24, v42
	s_delay_alu instid0(VALU_DEP_3) | instskip(SKIP_1) | instid1(VALU_DEP_3)
	v_dual_add_f32 v26, v26, v31 :: v_dual_fmac_f32 v44, v65, v32
	s_wait_dscnt 0x0
	v_dual_mul_f32 v38, v51, v35 :: v_dual_add_f32 v2, v2, v30
	ds_load_2addr_b64 v[30:33], v1 offset0:128 offset1:144
	v_dual_mul_f32 v40, v50, v35 :: v_dual_mul_f32 v42, v51, v37
	v_dual_fma_f32 v38, v50, v34, -v38 :: v_dual_mul_f32 v43, v50, v37
	s_delay_alu instid0(VALU_DEP_2) | instskip(NEXT) | instid1(VALU_DEP_2)
	v_dual_fmac_f32 v40, v51, v34 :: v_dual_add_f32 v22, v22, v44
	v_dual_add_f32 v44, v39, v38 :: v_dual_fma_f32 v42, v50, v36, -v42
	s_delay_alu instid0(VALU_DEP_2) | instskip(NEXT) | instid1(VALU_DEP_4)
	v_dual_mul_f32 v38, v67, v35 :: v_dual_add_f32 v46, v41, v40
	v_dual_fmac_f32 v43, v51, v36 :: v_dual_mul_f32 v35, v66, v35
	s_delay_alu instid0(VALU_DEP_3) | instskip(NEXT) | instid1(VALU_DEP_3)
	v_add_f32_e32 v28, v28, v42
	v_dual_fma_f32 v42, v66, v34, -v38 :: v_dual_mul_f32 v47, v67, v37
	s_delay_alu instid0(VALU_DEP_3)
	v_add_f32_e32 v48, v45, v43
	ds_load_b128 v[38:41], v29 offset:1056
	v_dual_fmac_f32 v35, v67, v34 :: v_dual_mul_f32 v43, v66, v37
	v_dual_fma_f32 v34, v66, v36, -v47 :: v_dual_add_f32 v24, v24, v42
	s_wait_dscnt 0x1
	v_dual_mul_f32 v37, v57, v31 :: v_dual_mul_f32 v47, v56, v31
	s_delay_alu instid0(VALU_DEP_3) | instskip(NEXT) | instid1(VALU_DEP_3)
	v_dual_fmac_f32 v43, v67, v36 :: v_dual_add_f32 v26, v26, v35
	v_add_f32_e32 v2, v2, v34
	s_delay_alu instid0(VALU_DEP_3) | instskip(SKIP_4) | instid1(VALU_DEP_3)
	v_fma_f32 v42, v56, v30, -v37
	ds_load_2addr_b64 v[34:37], v1 offset0:160 offset1:176
	v_dual_mul_f32 v45, v57, v33 :: v_dual_add_f32 v22, v22, v43
	v_dual_fmac_f32 v47, v57, v30 :: v_dual_mul_f32 v50, v56, v33
	v_add_f32_e32 v49, v44, v42
	v_fma_f32 v51, v56, v32, -v45
	ds_load_b128 v[42:45], v29 offset:1072
	v_add_f32_e32 v46, v46, v47
	s_wait_dscnt 0x2
	v_dual_mul_f32 v52, v39, v31 :: v_dual_fmac_f32 v50, v57, v32
	v_mul_f32_e32 v31, v38, v31
	v_dual_add_f32 v28, v28, v51 :: v_dual_mul_f32 v51, v39, v33
	s_delay_alu instid0(VALU_DEP_3) | instskip(NEXT) | instid1(VALU_DEP_4)
	v_fma_f32 v47, v38, v30, -v52
	v_add_f32_e32 v48, v48, v50
	s_delay_alu instid0(VALU_DEP_4) | instskip(NEXT) | instid1(VALU_DEP_3)
	v_dual_fmac_f32 v31, v39, v30 :: v_dual_mul_f32 v50, v38, v33
	v_dual_fma_f32 v30, v38, v32, -v51 :: v_dual_add_f32 v24, v24, v47
	s_wait_dscnt 0x1
	v_dual_mul_f32 v33, v59, v35 :: v_dual_mul_f32 v38, v58, v35
	s_delay_alu instid0(VALU_DEP_3) | instskip(NEXT) | instid1(VALU_DEP_3)
	v_dual_add_f32 v26, v26, v31 :: v_dual_fmac_f32 v50, v39, v32
	v_dual_add_f32 v2, v2, v30 :: v_dual_mul_f32 v47, v59, v37
	s_delay_alu instid0(VALU_DEP_3)
	v_dual_fma_f32 v39, v58, v34, -v33 :: v_dual_fmac_f32 v38, v59, v34
	ds_load_2addr_b64 v[30:33], v1 offset0:192 offset1:208
	v_add_f32_e32 v22, v22, v50
	v_dual_fma_f32 v47, v58, v36, -v47 :: v_dual_add_f32 v49, v49, v39
	v_mul_f32_e32 v39, v58, v37
	v_dual_add_f32 v46, v46, v38 :: v_dual_mul_f32 v38, v41, v35
	v_mul_f32_e32 v35, v40, v35
	s_delay_alu instid0(VALU_DEP_4) | instskip(NEXT) | instid1(VALU_DEP_3)
	v_dual_add_f32 v28, v28, v47 :: v_dual_mul_f32 v47, v41, v37
	v_dual_fmac_f32 v39, v59, v36 :: v_dual_fma_f32 v38, v40, v34, -v38
	s_delay_alu instid0(VALU_DEP_1) | instskip(NEXT) | instid1(VALU_DEP_3)
	v_dual_fmac_f32 v35, v41, v34 :: v_dual_add_f32 v34, v48, v39
	v_dual_mul_f32 v48, v40, v37 :: v_dual_fma_f32 v37, v40, v36, -v47
	s_delay_alu instid0(VALU_DEP_2) | instskip(SKIP_2) | instid1(VALU_DEP_3)
	v_dual_add_f32 v24, v24, v38 :: v_dual_add_f32 v26, v26, v35
	s_wait_dscnt 0x0
	v_mul_f32_e32 v35, v61, v31
	v_dual_fmac_f32 v48, v41, v36 :: v_dual_add_f32 v2, v2, v37
	ds_load_2addr_b64 v[36:39], v1 offset0:224 offset1:240
	v_dual_mul_f32 v40, v60, v31 :: v_dual_fma_f32 v35, v60, v30, -v35
	v_dual_add_f32 v22, v22, v48 :: v_dual_mul_f32 v41, v61, v33
	s_delay_alu instid0(VALU_DEP_2) | instskip(NEXT) | instid1(VALU_DEP_3)
	v_dual_mul_f32 v47, v60, v33 :: v_dual_fmac_f32 v40, v61, v30
	v_add_f32_e32 v35, v49, v35
	s_delay_alu instid0(VALU_DEP_3) | instskip(NEXT) | instid1(VALU_DEP_3)
	v_dual_mul_f32 v48, v43, v31 :: v_dual_fma_f32 v41, v60, v32, -v41
	v_dual_fmac_f32 v47, v61, v32 :: v_dual_mul_f32 v31, v42, v31
	s_delay_alu instid0(VALU_DEP_4) | instskip(NEXT) | instid1(VALU_DEP_3)
	v_add_f32_e32 v40, v46, v40
	v_dual_fma_f32 v46, v42, v30, -v48 :: v_dual_add_f32 v28, v28, v41
	s_delay_alu instid0(VALU_DEP_3) | instskip(NEXT) | instid1(VALU_DEP_4)
	v_dual_mul_f32 v41, v43, v33 :: v_dual_add_f32 v47, v34, v47
	v_dual_fmac_f32 v31, v43, v30 :: v_dual_mul_f32 v30, v42, v33
	s_delay_alu instid0(VALU_DEP_2) | instskip(SKIP_2) | instid1(VALU_DEP_3)
	v_dual_add_f32 v24, v24, v46 :: v_dual_fma_f32 v33, v42, v32, -v41
	s_wait_dscnt 0x0
	v_dual_mul_f32 v34, v63, v37 :: v_dual_mul_f32 v41, v62, v37
	v_dual_add_f32 v26, v26, v31 :: v_dual_fmac_f32 v30, v43, v32
	s_delay_alu instid0(VALU_DEP_3) | instskip(NEXT) | instid1(VALU_DEP_3)
	v_add_f32_e32 v2, v2, v33
	v_dual_fma_f32 v31, v62, v36, -v34 :: v_dual_mul_f32 v33, v63, v39
	s_delay_alu instid0(VALU_DEP_4) | instskip(NEXT) | instid1(VALU_DEP_2)
	v_dual_fmac_f32 v41, v63, v36 :: v_dual_mul_f32 v42, v62, v39
	v_dual_add_f32 v22, v22, v30 :: v_dual_add_f32 v32, v35, v31
	v_mul_f32_e32 v31, v45, v37
	s_delay_alu instid0(VALU_DEP_3) | instskip(NEXT) | instid1(VALU_DEP_4)
	v_dual_add_f32 v34, v40, v41 :: v_dual_fma_f32 v30, v62, v38, -v33
	v_dual_fmac_f32 v42, v63, v38 :: v_dual_mul_f32 v33, v44, v37
	v_dual_mul_f32 v35, v45, v39 :: v_dual_mul_f32 v37, v44, v39
	s_delay_alu instid0(VALU_DEP_3) | instskip(NEXT) | instid1(VALU_DEP_3)
	v_add_f32_e32 v28, v28, v30
	v_dual_fma_f32 v31, v44, v36, -v31 :: v_dual_fmac_f32 v33, v45, v36
	s_delay_alu instid0(VALU_DEP_3) | instskip(NEXT) | instid1(VALU_DEP_2)
	v_dual_fma_f32 v35, v44, v38, -v35 :: v_dual_fmac_f32 v37, v45, v38
	v_dual_add_f32 v30, v47, v42 :: v_dual_add_f32 v24, v24, v31
	s_delay_alu instid0(VALU_DEP_3) | instskip(NEXT) | instid1(VALU_DEP_3)
	v_add_f32_e32 v26, v26, v33
	v_add_f32_e32 v2, v2, v35
	s_delay_alu instid0(VALU_DEP_4)
	v_add_f32_e32 v22, v22, v37
	s_barrier_signal -1
	s_barrier_wait -1
	s_cbranch_scc0 .LBB373_13
.LBB373_9:                              ;   Parent Loop BB373_6 Depth=1
                                        ; =>  This Inner Loop Header: Depth=2
	v_dual_mov_b32 v36, 0 :: v_dual_add_nc_u32 v31, s26, v23
	v_mov_b32_e32 v37, 0
	s_delay_alu instid0(VALU_DEP_2) | instskip(SKIP_1) | instid1(SALU_CYCLE_1)
	v_cmp_gt_i32_e32 vcc_lo, s23, v31
	s_and_b32 s28, s0, vcc_lo
	s_and_saveexec_b32 s27, s28
	s_cbranch_execz .LBB373_11
; %bb.10:                               ;   in Loop: Header=BB373_9 Depth=2
	flat_load_b64 v[36:37], v[18:19]
.LBB373_11:                             ;   in Loop: Header=BB373_9 Depth=2
	s_wait_xcnt 0x0
	s_or_b32 exec_lo, exec_lo, s27
	v_dual_mov_b32 v38, 0 :: v_dual_add_nc_u32 v31, s26, v0
	v_mov_b32_e32 v39, 0
	s_wait_loadcnt_dscnt 0x0
	ds_store_b64 v25, v[36:37]
	v_cmp_gt_i32_e32 vcc_lo, s23, v31
	s_and_b32 s28, vcc_lo, s1
	s_delay_alu instid0(SALU_CYCLE_1)
	s_and_saveexec_b32 s27, s28
	s_cbranch_execz .LBB373_8
; %bb.12:                               ;   in Loop: Header=BB373_9 Depth=2
	flat_load_b64 v[38:39], v[20:21]
	s_branch .LBB373_8
.LBB373_13:                             ;   in Loop: Header=BB373_6 Depth=1
	s_wait_loadcnt 0x0
	v_add_nc_u64_e32 v[16:17], s[12:13], v[16:17]
	s_delay_alu instid0(VALU_DEP_1)
	v_lshl_add_u64 v[18:19], v[6:7], 3, v[16:17]
	s_and_saveexec_b32 s26, s22
	s_cbranch_execz .LBB373_18
; %bb.14:                               ;   in Loop: Header=BB373_6 Depth=1
	v_mov_b64_e32 v[20:21], s[4:5]
	v_mov_b64_e32 v[36:37], s[14:15]
	s_and_b32 vcc_lo, exec_lo, s18
	s_mov_b32 s27, -1
	s_delay_alu instid0(VALU_DEP_2) | instskip(NEXT) | instid1(VALU_DEP_1)
	v_pk_mul_f32 v[20:21], v[34:35], v[20:21] op_sel_hi:[0,1]
	v_pk_fma_f32 v[34:35], v[32:33], v[36:37], v[20:21] op_sel_hi:[0,1,1]
	v_pk_fma_f32 v[20:21], v[32:33], v[36:37], v[20:21] neg_lo:[0,0,1] neg_hi:[0,0,1]
	v_lshl_add_u64 v[32:33], v[4:5], 3, v[18:19]
	s_delay_alu instid0(VALU_DEP_3)
	v_mov_b32_e32 v21, v35
	s_cbranch_vccz .LBB373_16
; %bb.15:                               ;   in Loop: Header=BB373_6 Depth=1
	flat_load_b64 v[34:35], v[32:33]
	v_mov_b64_e32 v[36:37], s[20:21]
	v_mov_b64_e32 v[38:39], s[2:3]
	s_mov_b32 s27, 0
	s_wait_loadcnt_dscnt 0x0
	s_delay_alu instid0(VALU_DEP_2) | instskip(NEXT) | instid1(VALU_DEP_1)
	v_pk_mul_f32 v[36:37], v[34:35], v[36:37]
	v_pk_fma_f32 v[40:41], v[34:35], v[38:39], v[36:37] op_sel:[0,0,1] op_sel_hi:[1,1,0]
	v_pk_fma_f32 v[34:35], v[34:35], v[38:39], v[36:37] op_sel:[0,0,1] op_sel_hi:[1,1,0] neg_lo:[0,0,1] neg_hi:[0,0,1]
	s_delay_alu instid0(VALU_DEP_2) | instskip(NEXT) | instid1(VALU_DEP_1)
	v_mov_b32_e32 v35, v41
	v_pk_add_f32 v[34:35], v[20:21], v[34:35]
	flat_store_b64 v[32:33], v[34:35]
.LBB373_16:                             ;   in Loop: Header=BB373_6 Depth=1
	s_and_not1_b32 vcc_lo, exec_lo, s27
	s_cbranch_vccnz .LBB373_18
; %bb.17:                               ;   in Loop: Header=BB373_6 Depth=1
	flat_store_b64 v[32:33], v[20:21]
.LBB373_18:                             ;   in Loop: Header=BB373_6 Depth=1
	s_wait_xcnt 0x0
	s_or_b32 exec_lo, exec_lo, s26
	s_and_saveexec_b32 s26, s30
	s_cbranch_execz .LBB373_23
; %bb.19:                               ;   in Loop: Header=BB373_6 Depth=1
	v_mov_b64_e32 v[20:21], s[4:5]
	v_mov_b64_e32 v[32:33], s[14:15]
	v_lshl_add_u64 v[18:19], v[8:9], 3, v[18:19]
	s_and_not1_b32 vcc_lo, exec_lo, s18
	s_mov_b32 s27, -1
	s_delay_alu instid0(VALU_DEP_3) | instskip(NEXT) | instid1(VALU_DEP_1)
	v_pk_mul_f32 v[20:21], v[30:31], v[20:21] op_sel_hi:[0,1]
	v_pk_fma_f32 v[30:31], v[28:29], v[32:33], v[20:21] op_sel_hi:[0,1,1]
	v_pk_fma_f32 v[20:21], v[28:29], v[32:33], v[20:21] neg_lo:[0,0,1] neg_hi:[0,0,1]
	s_delay_alu instid0(VALU_DEP_2)
	v_mov_b32_e32 v21, v31
	s_cbranch_vccnz .LBB373_21
; %bb.20:                               ;   in Loop: Header=BB373_6 Depth=1
	flat_load_b64 v[30:31], v[18:19]
	v_mov_b64_e32 v[32:33], s[20:21]
	v_mov_b64_e32 v[34:35], s[2:3]
	s_mov_b32 s27, 0
	s_wait_loadcnt_dscnt 0x0
	s_delay_alu instid0(VALU_DEP_2) | instskip(NEXT) | instid1(VALU_DEP_1)
	v_pk_mul_f32 v[32:33], v[30:31], v[32:33]
	v_pk_fma_f32 v[36:37], v[30:31], v[34:35], v[32:33] op_sel:[0,0,1] op_sel_hi:[1,1,0]
	v_pk_fma_f32 v[30:31], v[30:31], v[34:35], v[32:33] op_sel:[0,0,1] op_sel_hi:[1,1,0] neg_lo:[0,0,1] neg_hi:[0,0,1]
	s_delay_alu instid0(VALU_DEP_2) | instskip(NEXT) | instid1(VALU_DEP_1)
	v_mov_b32_e32 v31, v37
	v_pk_add_f32 v[30:31], v[20:21], v[30:31]
	flat_store_b64 v[18:19], v[30:31]
.LBB373_21:                             ;   in Loop: Header=BB373_6 Depth=1
	s_and_not1_b32 vcc_lo, exec_lo, s27
	s_cbranch_vccnz .LBB373_23
; %bb.22:                               ;   in Loop: Header=BB373_6 Depth=1
	flat_store_b64 v[18:19], v[20:21]
.LBB373_23:                             ;   in Loop: Header=BB373_6 Depth=1
	s_wait_xcnt 0x0
	s_or_b32 exec_lo, exec_lo, s26
	v_lshl_add_u64 v[16:17], v[10:11], 3, v[16:17]
	s_and_saveexec_b32 s26, s31
	s_cbranch_execz .LBB373_28
; %bb.24:                               ;   in Loop: Header=BB373_6 Depth=1
	v_mov_b64_e32 v[18:19], s[4:5]
	v_mov_b64_e32 v[20:21], s[14:15]
	s_and_not1_b32 vcc_lo, exec_lo, s18
	s_mov_b32 s27, -1
	s_delay_alu instid0(VALU_DEP_2) | instskip(NEXT) | instid1(VALU_DEP_1)
	v_pk_mul_f32 v[18:19], v[26:27], v[18:19] op_sel_hi:[0,1]
	v_pk_fma_f32 v[30:31], v[24:25], v[20:21], v[18:19] op_sel_hi:[0,1,1]
	v_pk_fma_f32 v[18:19], v[24:25], v[20:21], v[18:19] neg_lo:[0,0,1] neg_hi:[0,0,1]
	v_lshl_add_u64 v[20:21], v[4:5], 3, v[16:17]
	s_delay_alu instid0(VALU_DEP_3)
	v_mov_b32_e32 v19, v31
	s_cbranch_vccnz .LBB373_26
; %bb.25:                               ;   in Loop: Header=BB373_6 Depth=1
	flat_load_b64 v[30:31], v[20:21]
	v_mov_b64_e32 v[32:33], s[20:21]
	v_mov_b64_e32 v[34:35], s[2:3]
	s_mov_b32 s27, 0
	s_wait_loadcnt_dscnt 0x0
	s_delay_alu instid0(VALU_DEP_2) | instskip(NEXT) | instid1(VALU_DEP_1)
	v_pk_mul_f32 v[32:33], v[30:31], v[32:33]
	v_pk_fma_f32 v[36:37], v[30:31], v[34:35], v[32:33] op_sel:[0,0,1] op_sel_hi:[1,1,0]
	v_pk_fma_f32 v[30:31], v[30:31], v[34:35], v[32:33] op_sel:[0,0,1] op_sel_hi:[1,1,0] neg_lo:[0,0,1] neg_hi:[0,0,1]
	s_delay_alu instid0(VALU_DEP_2) | instskip(NEXT) | instid1(VALU_DEP_1)
	v_mov_b32_e32 v31, v37
	v_pk_add_f32 v[30:31], v[18:19], v[30:31]
	flat_store_b64 v[20:21], v[30:31]
.LBB373_26:                             ;   in Loop: Header=BB373_6 Depth=1
	s_and_not1_b32 vcc_lo, exec_lo, s27
	s_cbranch_vccnz .LBB373_28
; %bb.27:                               ;   in Loop: Header=BB373_6 Depth=1
	flat_store_b64 v[20:21], v[18:19]
.LBB373_28:                             ;   in Loop: Header=BB373_6 Depth=1
	s_wait_xcnt 0x0
	s_or_b32 exec_lo, exec_lo, s26
	s_and_saveexec_b32 s26, s33
	s_cbranch_execz .LBB373_5
; %bb.29:                               ;   in Loop: Header=BB373_6 Depth=1
	v_mov_b64_e32 v[18:19], s[4:5]
	v_mov_b64_e32 v[20:21], s[14:15]
	v_lshl_add_u64 v[16:17], v[8:9], 3, v[16:17]
	s_and_not1_b32 vcc_lo, exec_lo, s18
	s_mov_b32 s27, -1
	s_delay_alu instid0(VALU_DEP_3) | instskip(NEXT) | instid1(VALU_DEP_1)
	v_pk_mul_f32 v[18:19], v[22:23], v[18:19] op_sel_hi:[0,1]
	v_pk_fma_f32 v[30:31], v[2:3], v[20:21], v[18:19] op_sel_hi:[0,1,1]
	v_pk_fma_f32 v[18:19], v[2:3], v[20:21], v[18:19] neg_lo:[0,0,1] neg_hi:[0,0,1]
	s_delay_alu instid0(VALU_DEP_2)
	v_mov_b32_e32 v19, v31
	s_cbranch_vccnz .LBB373_31
; %bb.30:                               ;   in Loop: Header=BB373_6 Depth=1
	flat_load_b64 v[20:21], v[16:17]
	v_mov_b64_e32 v[30:31], s[20:21]
	v_mov_b64_e32 v[32:33], s[2:3]
	s_mov_b32 s27, 0
	s_wait_loadcnt_dscnt 0x0
	s_delay_alu instid0(VALU_DEP_2) | instskip(NEXT) | instid1(VALU_DEP_1)
	v_pk_mul_f32 v[30:31], v[20:21], v[30:31]
	v_pk_fma_f32 v[34:35], v[20:21], v[32:33], v[30:31] op_sel:[0,0,1] op_sel_hi:[1,1,0]
	v_pk_fma_f32 v[20:21], v[20:21], v[32:33], v[30:31] op_sel:[0,0,1] op_sel_hi:[1,1,0] neg_lo:[0,0,1] neg_hi:[0,0,1]
	s_delay_alu instid0(VALU_DEP_2) | instskip(NEXT) | instid1(VALU_DEP_1)
	v_mov_b32_e32 v21, v35
	v_pk_add_f32 v[20:21], v[18:19], v[20:21]
	flat_store_b64 v[16:17], v[20:21]
.LBB373_31:                             ;   in Loop: Header=BB373_6 Depth=1
	s_and_not1_b32 vcc_lo, exec_lo, s27
	s_cbranch_vccnz .LBB373_5
; %bb.32:                               ;   in Loop: Header=BB373_6 Depth=1
	flat_store_b64 v[16:17], v[18:19]
	s_branch .LBB373_5
.LBB373_33:
	s_sendmsg sendmsg(MSG_DEALLOC_VGPRS)
	s_endpgm
	.section	.rodata,"a",@progbits
	.p2align	6, 0x0
	.amdhsa_kernel _ZL29rocblas_internal_gemmt_kernelIiLi16ELi32ELi8ELc84ELc84ELc76ELb0ELb0E19rocblas_complex_numIfEPKS1_PKS3_PKPS1_EviT_T9_T10_S9_lSB_S9_lSA_T11_S9_li
		.amdhsa_group_segment_fixed_size 4096
		.amdhsa_private_segment_fixed_size 0
		.amdhsa_kernarg_size 100
		.amdhsa_user_sgpr_count 2
		.amdhsa_user_sgpr_dispatch_ptr 0
		.amdhsa_user_sgpr_queue_ptr 0
		.amdhsa_user_sgpr_kernarg_segment_ptr 1
		.amdhsa_user_sgpr_dispatch_id 0
		.amdhsa_user_sgpr_kernarg_preload_length 0
		.amdhsa_user_sgpr_kernarg_preload_offset 0
		.amdhsa_user_sgpr_private_segment_size 0
		.amdhsa_wavefront_size32 1
		.amdhsa_uses_dynamic_stack 0
		.amdhsa_enable_private_segment 0
		.amdhsa_system_sgpr_workgroup_id_x 1
		.amdhsa_system_sgpr_workgroup_id_y 1
		.amdhsa_system_sgpr_workgroup_id_z 1
		.amdhsa_system_sgpr_workgroup_info 0
		.amdhsa_system_vgpr_workitem_id 1
		.amdhsa_next_free_vgpr 71
		.amdhsa_next_free_sgpr 36
		.amdhsa_named_barrier_count 0
		.amdhsa_reserve_vcc 1
		.amdhsa_float_round_mode_32 0
		.amdhsa_float_round_mode_16_64 0
		.amdhsa_float_denorm_mode_32 3
		.amdhsa_float_denorm_mode_16_64 3
		.amdhsa_fp16_overflow 0
		.amdhsa_memory_ordered 1
		.amdhsa_forward_progress 1
		.amdhsa_inst_pref_size 26
		.amdhsa_round_robin_scheduling 0
		.amdhsa_exception_fp_ieee_invalid_op 0
		.amdhsa_exception_fp_denorm_src 0
		.amdhsa_exception_fp_ieee_div_zero 0
		.amdhsa_exception_fp_ieee_overflow 0
		.amdhsa_exception_fp_ieee_underflow 0
		.amdhsa_exception_fp_ieee_inexact 0
		.amdhsa_exception_int_div_zero 0
	.end_amdhsa_kernel
	.section	.text._ZL29rocblas_internal_gemmt_kernelIiLi16ELi32ELi8ELc84ELc84ELc76ELb0ELb0E19rocblas_complex_numIfEPKS1_PKS3_PKPS1_EviT_T9_T10_S9_lSB_S9_lSA_T11_S9_li,"axG",@progbits,_ZL29rocblas_internal_gemmt_kernelIiLi16ELi32ELi8ELc84ELc84ELc76ELb0ELb0E19rocblas_complex_numIfEPKS1_PKS3_PKPS1_EviT_T9_T10_S9_lSB_S9_lSA_T11_S9_li,comdat
.Lfunc_end373:
	.size	_ZL29rocblas_internal_gemmt_kernelIiLi16ELi32ELi8ELc84ELc84ELc76ELb0ELb0E19rocblas_complex_numIfEPKS1_PKS3_PKPS1_EviT_T9_T10_S9_lSB_S9_lSA_T11_S9_li, .Lfunc_end373-_ZL29rocblas_internal_gemmt_kernelIiLi16ELi32ELi8ELc84ELc84ELc76ELb0ELb0E19rocblas_complex_numIfEPKS1_PKS3_PKPS1_EviT_T9_T10_S9_lSB_S9_lSA_T11_S9_li
                                        ; -- End function
	.set _ZL29rocblas_internal_gemmt_kernelIiLi16ELi32ELi8ELc84ELc84ELc76ELb0ELb0E19rocblas_complex_numIfEPKS1_PKS3_PKPS1_EviT_T9_T10_S9_lSB_S9_lSA_T11_S9_li.num_vgpr, 71
	.set _ZL29rocblas_internal_gemmt_kernelIiLi16ELi32ELi8ELc84ELc84ELc76ELb0ELb0E19rocblas_complex_numIfEPKS1_PKS3_PKPS1_EviT_T9_T10_S9_lSB_S9_lSA_T11_S9_li.num_agpr, 0
	.set _ZL29rocblas_internal_gemmt_kernelIiLi16ELi32ELi8ELc84ELc84ELc76ELb0ELb0E19rocblas_complex_numIfEPKS1_PKS3_PKPS1_EviT_T9_T10_S9_lSB_S9_lSA_T11_S9_li.numbered_sgpr, 36
	.set _ZL29rocblas_internal_gemmt_kernelIiLi16ELi32ELi8ELc84ELc84ELc76ELb0ELb0E19rocblas_complex_numIfEPKS1_PKS3_PKPS1_EviT_T9_T10_S9_lSB_S9_lSA_T11_S9_li.num_named_barrier, 0
	.set _ZL29rocblas_internal_gemmt_kernelIiLi16ELi32ELi8ELc84ELc84ELc76ELb0ELb0E19rocblas_complex_numIfEPKS1_PKS3_PKPS1_EviT_T9_T10_S9_lSB_S9_lSA_T11_S9_li.private_seg_size, 0
	.set _ZL29rocblas_internal_gemmt_kernelIiLi16ELi32ELi8ELc84ELc84ELc76ELb0ELb0E19rocblas_complex_numIfEPKS1_PKS3_PKPS1_EviT_T9_T10_S9_lSB_S9_lSA_T11_S9_li.uses_vcc, 1
	.set _ZL29rocblas_internal_gemmt_kernelIiLi16ELi32ELi8ELc84ELc84ELc76ELb0ELb0E19rocblas_complex_numIfEPKS1_PKS3_PKPS1_EviT_T9_T10_S9_lSB_S9_lSA_T11_S9_li.uses_flat_scratch, 0
	.set _ZL29rocblas_internal_gemmt_kernelIiLi16ELi32ELi8ELc84ELc84ELc76ELb0ELb0E19rocblas_complex_numIfEPKS1_PKS3_PKPS1_EviT_T9_T10_S9_lSB_S9_lSA_T11_S9_li.has_dyn_sized_stack, 0
	.set _ZL29rocblas_internal_gemmt_kernelIiLi16ELi32ELi8ELc84ELc84ELc76ELb0ELb0E19rocblas_complex_numIfEPKS1_PKS3_PKPS1_EviT_T9_T10_S9_lSB_S9_lSA_T11_S9_li.has_recursion, 0
	.set _ZL29rocblas_internal_gemmt_kernelIiLi16ELi32ELi8ELc84ELc84ELc76ELb0ELb0E19rocblas_complex_numIfEPKS1_PKS3_PKPS1_EviT_T9_T10_S9_lSB_S9_lSA_T11_S9_li.has_indirect_call, 0
	.section	.AMDGPU.csdata,"",@progbits
; Kernel info:
; codeLenInByte = 3268
; TotalNumSgprs: 38
; NumVgprs: 71
; ScratchSize: 0
; MemoryBound: 0
; FloatMode: 240
; IeeeMode: 1
; LDSByteSize: 4096 bytes/workgroup (compile time only)
; SGPRBlocks: 0
; VGPRBlocks: 4
; NumSGPRsForWavesPerEU: 38
; NumVGPRsForWavesPerEU: 71
; NamedBarCnt: 0
; Occupancy: 12
; WaveLimiterHint : 1
; COMPUTE_PGM_RSRC2:SCRATCH_EN: 0
; COMPUTE_PGM_RSRC2:USER_SGPR: 2
; COMPUTE_PGM_RSRC2:TRAP_HANDLER: 0
; COMPUTE_PGM_RSRC2:TGID_X_EN: 1
; COMPUTE_PGM_RSRC2:TGID_Y_EN: 1
; COMPUTE_PGM_RSRC2:TGID_Z_EN: 1
; COMPUTE_PGM_RSRC2:TIDIG_COMP_CNT: 1
	.section	.text._ZL29rocblas_internal_gemmt_kernelIiLi16ELi32ELi8ELc84ELc67ELc76ELb0ELb1E19rocblas_complex_numIfEPKS1_PKS3_PKPS1_EviT_T9_T10_S9_lSB_S9_lSA_T11_S9_li,"axG",@progbits,_ZL29rocblas_internal_gemmt_kernelIiLi16ELi32ELi8ELc84ELc67ELc76ELb0ELb1E19rocblas_complex_numIfEPKS1_PKS3_PKPS1_EviT_T9_T10_S9_lSB_S9_lSA_T11_S9_li,comdat
	.globl	_ZL29rocblas_internal_gemmt_kernelIiLi16ELi32ELi8ELc84ELc67ELc76ELb0ELb1E19rocblas_complex_numIfEPKS1_PKS3_PKPS1_EviT_T9_T10_S9_lSB_S9_lSA_T11_S9_li ; -- Begin function _ZL29rocblas_internal_gemmt_kernelIiLi16ELi32ELi8ELc84ELc67ELc76ELb0ELb1E19rocblas_complex_numIfEPKS1_PKS3_PKPS1_EviT_T9_T10_S9_lSB_S9_lSA_T11_S9_li
	.p2align	8
	.type	_ZL29rocblas_internal_gemmt_kernelIiLi16ELi32ELi8ELc84ELc67ELc76ELb0ELb1E19rocblas_complex_numIfEPKS1_PKS3_PKPS1_EviT_T9_T10_S9_lSB_S9_lSA_T11_S9_li,@function
_ZL29rocblas_internal_gemmt_kernelIiLi16ELi32ELi8ELc84ELc67ELc76ELb0ELb1E19rocblas_complex_numIfEPKS1_PKS3_PKPS1_EviT_T9_T10_S9_lSB_S9_lSA_T11_S9_li: ; @_ZL29rocblas_internal_gemmt_kernelIiLi16ELi32ELi8ELc84ELc67ELc76ELb0ELb1E19rocblas_complex_numIfEPKS1_PKS3_PKPS1_EviT_T9_T10_S9_lSB_S9_lSA_T11_S9_li
; %bb.0:
	s_load_b128 s[12:15], s[0:1], 0x38
	s_wait_kmcnt 0x0
	s_load_b64 s[20:21], s[14:15], 0x0
	s_clause 0x1
	s_load_b128 s[4:7], s[0:1], 0x8
	s_load_b64 s[22:23], s[0:1], 0x0
	s_wait_kmcnt 0x0
	s_cmp_neq_f32 s20, 1.0
	s_load_b64 s[14:15], s[4:5], 0x0
	s_cselect_b32 s2, -1, 0
	s_and_b32 s3, s21, 0x7fffffff
	s_delay_alu instid0(SALU_CYCLE_1) | instskip(SKIP_3) | instid1(SALU_CYCLE_1)
	s_cmp_eq_u32 s3, 0
	s_cselect_b32 s30, -1, 0
	s_cmp_lg_u32 s3, 0
	s_cselect_b32 s3, -1, 0
	s_or_b32 s2, s2, s3
	s_delay_alu instid0(SALU_CYCLE_1)
	s_and_b32 vcc_lo, exec_lo, s2
	s_cbranch_vccnz .LBB374_2
; %bb.1:
	s_cmp_lg_u32 s23, 0
	s_cselect_b32 s2, -1, 0
	s_wait_kmcnt 0x0
	s_cmp_neq_f32 s14, 0
	s_cselect_b32 s3, -1, 0
	s_cmp_neq_f32 s15, 0
	s_cselect_b32 s4, -1, 0
	s_delay_alu instid0(SALU_CYCLE_1) | instskip(NEXT) | instid1(SALU_CYCLE_1)
	s_or_b32 s3, s3, s4
	s_and_b32 s2, s2, s3
.LBB374_2:
	s_delay_alu instid0(SALU_CYCLE_1)
	s_and_not1_b32 vcc_lo, exec_lo, s2
	s_cbranch_vccnz .LBB374_35
; %bb.3:
	s_load_b32 s19, s[0:1], 0x60
	s_bfe_u32 s2, ttmp6, 0x40014
	s_lshr_b32 s3, ttmp7, 16
	s_add_co_i32 s2, s2, 1
	s_wait_xcnt 0x0
	s_bfe_u32 s5, ttmp6, 0x40008
	s_mul_i32 s2, s3, s2
	s_getreg_b32 s4, hwreg(HW_REG_IB_STS2, 6, 4)
	s_add_co_i32 s5, s5, s2
	s_cmp_eq_u32 s4, 0
	s_mov_b32 s25, 0
	s_cselect_b32 s24, s3, s5
	s_wait_kmcnt 0x0
	s_cmp_ge_u32 s24, s19
	s_cbranch_scc1 .LBB374_35
; %bb.4:
	s_clause 0x4
	s_load_b32 s2, s[0:1], 0x18
	s_load_b32 s26, s[0:1], 0x30
	s_load_b96 s[16:18], s[0:1], 0x48
	s_load_b128 s[8:11], s[0:1], 0x20
	s_load_b64 s[28:29], s[0:1], 0x58
	s_wait_xcnt 0x0
	s_bfe_u32 s1, ttmp6, 0x4000c
	s_bfe_u32 s3, ttmp6, 0x40010
	v_and_b32_e32 v2, 0x3ff, v0
	v_bfe_u32 v9, v0, 10, 10
	s_and_b32 s31, ttmp7, 0xffff
	s_add_co_i32 s1, s1, 1
	s_add_co_i32 s3, s3, 1
	s_and_b32 s0, ttmp6, 15
	s_bfe_u32 s5, ttmp6, 0x40004
	s_mul_i32 s1, ttmp9, s1
	s_mul_i32 s3, s31, s3
	s_add_co_i32 s0, s0, s1
	s_add_co_i32 s1, s5, s3
	v_lshl_add_u32 v1, v9, 4, v2
	v_mov_b32_e32 v3, 0
	s_wait_kmcnt 0x0
	s_ashr_i32 s3, s2, 31
	s_ashr_i32 s27, s26, 31
	;; [unrolled: 1-line block ×3, first 2 shown]
	s_cmp_eq_u32 s4, 0
	v_dual_lshrrev_b32 v23, 5, v1 :: v_dual_lshrrev_b32 v5, 3, v1
	s_cselect_b32 s1, s31, s1
	s_cselect_b32 s0, ttmp9, s0
	s_lshl_b32 s1, s1, 5
	v_and_b32_e32 v1, 31, v1
	v_dual_add_nc_u32 v12, s1, v5 :: v_dual_bitop2_b32 v0, 7, v0 bitop3:0x40
	s_lshl_b32 s31, s0, 5
	s_cmp_neq_f32 s14, 0
	s_delay_alu instid0(VALU_DEP_1) | instskip(SKIP_3) | instid1(VALU_DEP_3)
	v_dual_lshlrev_b32 v6, 3, v0 :: v_dual_bitop2_b32 v4, s31, v1 bitop3:0x54
	v_dual_lshlrev_b32 v7, 3, v1 :: v_dual_mov_b32 v1, v3
	v_add_nc_u32_e32 v16, s1, v9
	s_cselect_b32 s0, -1, 0
	v_lshl_or_b32 v6, v5, 6, v6
	v_ashrrev_i32_e32 v5, 31, v4
	v_mul_u64_e32 v[14:15], s[26:27], v[0:1]
	s_cmp_neq_f32 s15, 0
	v_dual_add_nc_u32 v20, 16, v16 :: v_dual_ashrrev_i32 v17, 31, v16
	s_delay_alu instid0(VALU_DEP_3) | instskip(SKIP_2) | instid1(VALU_DEP_2)
	v_mul_u64_e32 v[18:19], s[2:3], v[4:5]
	s_mov_b32 s4, s18
	s_cselect_b32 s18, -1, 0
	v_ashrrev_i32_e32 v21, 31, v20
	s_or_b32 s33, s0, s18
	v_cmp_gt_i32_e64 s0, s22, v4
	v_add_nc_u32_e32 v4, s31, v2
	v_lshl_or_b32 v25, v23, 8, v7
	v_add_nc_u32_e32 v1, 0x800, v6
	v_mul_u64_e32 v[6:7], s[4:5], v[16:17]
	v_mul_u64_e32 v[10:11], s[4:5], v[20:21]
	s_cmp_gt_i32 s23, 0
	v_dual_add_nc_u32 v8, 16, v4 :: v_dual_ashrrev_i32 v5, 31, v4
	s_cselect_b32 s34, -1, 0
	s_cmp_neq_f32 s20, 0
	v_dual_ashrrev_i32 v13, 31, v12 :: v_dual_lshlrev_b32 v27, 3, v2
	s_delay_alu instid0(VALU_DEP_2)
	v_cmp_gt_i32_e64 s4, s22, v8
	s_cselect_b32 s3, -1, 0
	s_xor_b32 s18, s30, -1
	v_cmp_le_i32_e64 s5, v20, v8
	s_or_b32 s18, s3, s18
	v_cmp_le_i32_e64 s3, v16, v8
	v_cmp_le_i32_e64 s1, v16, v4
	v_cmp_gt_i32_e64 s2, s22, v4
	s_and_b32 s31, s5, s4
	v_lshl_add_u32 v29, v9, 6, 0x800
	s_and_b32 s30, s3, s4
	s_lshl_b64 s[4:5], s[12:13], 3
	v_dual_ashrrev_i32 v9, 31, v8 :: v_dual_lshlrev_b32 v2, 3, v23
	v_lshl_add_u64 v[14:15], v[14:15], 3, s[4:5]
	s_lshl_b64 s[4:5], s[8:9], 3
	v_cmp_gt_i32_e32 vcc_lo, s22, v12
	v_lshl_add_u64 v[16:17], v[18:19], 3, s[4:5]
	s_and_b32 s22, s1, s2
	v_lshl_add_u64 v[12:13], v[12:13], 3, v[14:15]
	v_cmp_le_i32_e64 s1, v20, v4
	s_mov_b32 s3, s20
	v_add_nc_u64_e32 v[14:15], v[16:17], v[2:3]
	s_mov_b32 s4, s15
	v_or_b32_e32 v12, 4, v12
	s_and_b32 s1, s1, s2
	s_mov_b32 s2, s20
	s_mov_b32 s20, s21
	;; [unrolled: 1-line block ×3, first 2 shown]
	s_and_b32 s33, s33, s34
	s_lshl_b64 s[8:9], s[26:27], 6
	s_xor_b32 s26, vcc_lo, -1
	s_lshl_b64 s[12:13], s[28:29], 3
	s_branch .LBB374_6
.LBB374_5:                              ;   in Loop: Header=BB374_6 Depth=1
	s_wait_xcnt 0x0
	s_or_b32 exec_lo, exec_lo, s27
	s_add_co_i32 s24, s24, 0x10000
	s_delay_alu instid0(SALU_CYCLE_1)
	s_cmp_lt_u32 s24, s19
	s_cbranch_scc0 .LBB374_35
.LBB374_6:                              ; =>This Loop Header: Depth=1
                                        ;     Child Loop BB374_9 Depth 2
	v_dual_mov_b32 v2, s24 :: v_dual_mov_b32 v32, 0
	v_dual_mov_b32 v34, 0 :: v_dual_mov_b32 v28, 0
	;; [unrolled: 1-line block ×3, first 2 shown]
	global_load_b64 v[16:17], v2, s[16:17] scale_offset
	s_wait_xcnt 0x0
	v_dual_mov_b32 v26, 0 :: v_dual_mov_b32 v2, 0
	v_mov_b32_e32 v22, 0
	s_and_not1_b32 vcc_lo, exec_lo, s33
	s_cbranch_vccnz .LBB374_15
; %bb.7:                                ;   in Loop: Header=BB374_6 Depth=1
	s_lshl_b64 s[28:29], s[24:25], 3
	v_dual_mov_b32 v22, 0 :: v_dual_mov_b32 v2, 0
	s_add_nc_u64 s[34:35], s[6:7], s[28:29]
	s_add_nc_u64 s[28:29], s[10:11], s[28:29]
	s_clause 0x1
	global_load_b64 v[18:19], v3, s[34:35]
	global_load_b64 v[20:21], v3, s[28:29]
	v_dual_mov_b32 v26, 0 :: v_dual_mov_b32 v24, 0
	v_dual_mov_b32 v30, 0 :: v_dual_mov_b32 v28, 0
	;; [unrolled: 1-line block ×3, first 2 shown]
	s_mov_b32 s27, 0
	s_wait_loadcnt 0x1
	v_add_nc_u64_e32 v[18:19], v[18:19], v[14:15]
	s_wait_loadcnt 0x0
	v_add_nc_u64_e32 v[20:21], v[20:21], v[12:13]
	s_branch .LBB374_9
.LBB374_8:                              ;   in Loop: Header=BB374_9 Depth=2
	s_wait_xcnt 0x0
	s_or_b32 exec_lo, exec_lo, s28
	ds_store_b32 v1, v31 offset:4
	s_wait_dscnt 0x0
	s_barrier_signal -1
	s_barrier_wait -1
	ds_load_b128 v[36:39], v29
	ds_load_2addr_b64 v[40:43], v27 offset1:16
	ds_load_b128 v[44:47], v29 offset:1024
	ds_load_b128 v[48:51], v29 offset:16
	ds_load_2addr_b64 v[52:55], v27 offset0:32 offset1:48
	ds_load_b128 v[56:59], v29 offset:32
	ds_load_b128 v[60:63], v29 offset:48
	;; [unrolled: 1-line block ×3, first 2 shown]
	v_add_nc_u64_e32 v[18:19], 64, v[18:19]
	v_add_nc_u64_e32 v[20:21], s[8:9], v[20:21]
	s_add_co_i32 s27, s27, 8
	s_delay_alu instid0(SALU_CYCLE_1)
	s_cmp_lt_i32 s27, s23
	s_wait_dscnt 0x6
	v_dual_mul_f32 v31, v37, v41 :: v_dual_mul_f32 v33, v36, v41
	v_dual_mul_f32 v35, v37, v43 :: v_dual_mul_f32 v68, v36, v43
	s_wait_dscnt 0x5
	v_dual_mul_f32 v69, v45, v41 :: v_dual_mul_f32 v41, v44, v41
	v_dual_mul_f32 v70, v45, v43 :: v_dual_mul_f32 v43, v44, v43
	v_dual_fma_f32 v31, v36, v40, -v31 :: v_dual_fmac_f32 v33, v37, v40
	v_dual_fma_f32 v35, v36, v42, -v35 :: v_dual_fmac_f32 v68, v37, v42
	s_delay_alu instid0(VALU_DEP_3) | instskip(NEXT) | instid1(VALU_DEP_3)
	v_dual_fma_f32 v36, v44, v40, -v69 :: v_dual_fma_f32 v37, v44, v42, -v70
	v_dual_fmac_f32 v41, v45, v40 :: v_dual_add_f32 v40, v32, v31
	s_delay_alu instid0(VALU_DEP_3) | instskip(NEXT) | instid1(VALU_DEP_4)
	v_dual_add_f32 v34, v34, v33 :: v_dual_add_f32 v28, v28, v35
	v_add_f32_e32 v35, v30, v68
	s_delay_alu instid0(VALU_DEP_3)
	v_dual_add_f32 v24, v24, v36 :: v_dual_add_f32 v26, v26, v41
	s_wait_dscnt 0x3
	v_mul_f32_e32 v36, v39, v53
	ds_load_2addr_b64 v[30:33], v27 offset0:64 offset1:80
	v_dual_fmac_f32 v43, v45, v42 :: v_dual_add_f32 v2, v2, v37
	v_dual_mul_f32 v37, v38, v53 :: v_dual_fma_f32 v36, v38, v52, -v36
	v_mul_f32_e32 v41, v39, v55
	s_delay_alu instid0(VALU_DEP_2) | instskip(NEXT) | instid1(VALU_DEP_3)
	v_dual_add_f32 v22, v22, v43 :: v_dual_fmac_f32 v37, v39, v52
	v_dual_mul_f32 v42, v38, v55 :: v_dual_add_f32 v40, v40, v36
	s_delay_alu instid0(VALU_DEP_3) | instskip(NEXT) | instid1(VALU_DEP_2)
	v_dual_fma_f32 v36, v38, v54, -v41 :: v_dual_mul_f32 v38, v47, v53
	v_dual_add_f32 v41, v34, v37 :: v_dual_fmac_f32 v42, v39, v54
	s_delay_alu instid0(VALU_DEP_2) | instskip(NEXT) | instid1(VALU_DEP_3)
	v_dual_mul_f32 v34, v46, v53 :: v_dual_add_f32 v28, v28, v36
	v_dual_mul_f32 v37, v47, v55 :: v_dual_fma_f32 v36, v46, v52, -v38
	s_delay_alu instid0(VALU_DEP_3) | instskip(NEXT) | instid1(VALU_DEP_3)
	v_add_f32_e32 v38, v35, v42
	v_dual_fmac_f32 v34, v47, v52 :: v_dual_mul_f32 v39, v46, v55
	s_delay_alu instid0(VALU_DEP_3) | instskip(SKIP_1) | instid1(VALU_DEP_2)
	v_dual_fma_f32 v35, v46, v54, -v37 :: v_dual_add_f32 v24, v24, v36
	s_wait_dscnt 0x0
	v_dual_mul_f32 v36, v49, v31 :: v_dual_add_f32 v26, v26, v34
	s_delay_alu instid0(VALU_DEP_3) | instskip(NEXT) | instid1(VALU_DEP_2)
	v_dual_fmac_f32 v39, v47, v54 :: v_dual_mul_f32 v42, v48, v31
	v_dual_add_f32 v2, v2, v35 :: v_dual_fma_f32 v43, v48, v30, -v36
	v_mul_f32_e32 v44, v49, v33
	ds_load_2addr_b64 v[34:37], v27 offset0:96 offset1:112
	v_dual_fmac_f32 v42, v49, v30 :: v_dual_add_f32 v22, v22, v39
	v_add_f32_e32 v39, v40, v43
	v_dual_fma_f32 v43, v48, v32, -v44 :: v_dual_mul_f32 v40, v48, v33
	s_delay_alu instid0(VALU_DEP_3) | instskip(SKIP_1) | instid1(VALU_DEP_3)
	v_add_f32_e32 v41, v41, v42
	v_dual_mul_f32 v42, v65, v31 :: v_dual_mul_f32 v31, v64, v31
	v_dual_add_f32 v28, v28, v43 :: v_dual_mul_f32 v43, v65, v33
	s_delay_alu instid0(VALU_DEP_2) | instskip(NEXT) | instid1(VALU_DEP_3)
	v_dual_fmac_f32 v40, v49, v32 :: v_dual_fma_f32 v42, v64, v30, -v42
	v_dual_fmac_f32 v31, v65, v30 :: v_dual_mul_f32 v44, v64, v33
	s_delay_alu instid0(VALU_DEP_3) | instskip(NEXT) | instid1(VALU_DEP_3)
	v_fma_f32 v30, v64, v32, -v43
	v_dual_add_f32 v45, v38, v40 :: v_dual_add_f32 v24, v24, v42
	s_delay_alu instid0(VALU_DEP_3) | instskip(SKIP_1) | instid1(VALU_DEP_3)
	v_dual_add_f32 v26, v26, v31 :: v_dual_fmac_f32 v44, v65, v32
	s_wait_dscnt 0x0
	v_dual_mul_f32 v38, v51, v35 :: v_dual_add_f32 v2, v2, v30
	ds_load_2addr_b64 v[30:33], v27 offset0:128 offset1:144
	v_dual_mul_f32 v40, v50, v35 :: v_dual_mul_f32 v42, v51, v37
	v_dual_fma_f32 v38, v50, v34, -v38 :: v_dual_mul_f32 v43, v50, v37
	s_delay_alu instid0(VALU_DEP_2) | instskip(NEXT) | instid1(VALU_DEP_2)
	v_dual_fmac_f32 v40, v51, v34 :: v_dual_add_f32 v22, v22, v44
	v_dual_add_f32 v44, v39, v38 :: v_dual_fma_f32 v42, v50, v36, -v42
	s_delay_alu instid0(VALU_DEP_2) | instskip(NEXT) | instid1(VALU_DEP_4)
	v_dual_mul_f32 v38, v67, v35 :: v_dual_add_f32 v46, v41, v40
	v_dual_fmac_f32 v43, v51, v36 :: v_dual_mul_f32 v35, v66, v35
	s_delay_alu instid0(VALU_DEP_3) | instskip(NEXT) | instid1(VALU_DEP_3)
	v_add_f32_e32 v28, v28, v42
	v_dual_fma_f32 v42, v66, v34, -v38 :: v_dual_mul_f32 v47, v67, v37
	s_delay_alu instid0(VALU_DEP_3)
	v_add_f32_e32 v48, v45, v43
	ds_load_b128 v[38:41], v29 offset:1056
	v_dual_fmac_f32 v35, v67, v34 :: v_dual_mul_f32 v43, v66, v37
	v_dual_fma_f32 v34, v66, v36, -v47 :: v_dual_add_f32 v24, v24, v42
	s_wait_dscnt 0x1
	v_dual_mul_f32 v37, v57, v31 :: v_dual_mul_f32 v47, v56, v31
	s_delay_alu instid0(VALU_DEP_3) | instskip(NEXT) | instid1(VALU_DEP_3)
	v_dual_fmac_f32 v43, v67, v36 :: v_dual_add_f32 v26, v26, v35
	v_add_f32_e32 v2, v2, v34
	s_delay_alu instid0(VALU_DEP_3) | instskip(SKIP_4) | instid1(VALU_DEP_3)
	v_fma_f32 v42, v56, v30, -v37
	ds_load_2addr_b64 v[34:37], v27 offset0:160 offset1:176
	v_dual_mul_f32 v45, v57, v33 :: v_dual_add_f32 v22, v22, v43
	v_dual_fmac_f32 v47, v57, v30 :: v_dual_mul_f32 v50, v56, v33
	v_add_f32_e32 v49, v44, v42
	v_fma_f32 v51, v56, v32, -v45
	ds_load_b128 v[42:45], v29 offset:1072
	v_add_f32_e32 v46, v46, v47
	s_wait_dscnt 0x2
	v_dual_mul_f32 v52, v39, v31 :: v_dual_fmac_f32 v50, v57, v32
	v_mul_f32_e32 v31, v38, v31
	v_dual_add_f32 v28, v28, v51 :: v_dual_mul_f32 v51, v39, v33
	s_delay_alu instid0(VALU_DEP_3) | instskip(NEXT) | instid1(VALU_DEP_4)
	v_fma_f32 v47, v38, v30, -v52
	v_add_f32_e32 v48, v48, v50
	s_delay_alu instid0(VALU_DEP_4) | instskip(NEXT) | instid1(VALU_DEP_3)
	v_dual_fmac_f32 v31, v39, v30 :: v_dual_mul_f32 v50, v38, v33
	v_dual_fma_f32 v30, v38, v32, -v51 :: v_dual_add_f32 v24, v24, v47
	s_wait_dscnt 0x1
	v_dual_mul_f32 v33, v59, v35 :: v_dual_mul_f32 v38, v58, v35
	s_delay_alu instid0(VALU_DEP_3) | instskip(NEXT) | instid1(VALU_DEP_3)
	v_dual_add_f32 v26, v26, v31 :: v_dual_fmac_f32 v50, v39, v32
	v_dual_add_f32 v2, v2, v30 :: v_dual_mul_f32 v47, v59, v37
	s_delay_alu instid0(VALU_DEP_3)
	v_dual_fma_f32 v39, v58, v34, -v33 :: v_dual_fmac_f32 v38, v59, v34
	ds_load_2addr_b64 v[30:33], v27 offset0:192 offset1:208
	v_add_f32_e32 v22, v22, v50
	v_dual_fma_f32 v47, v58, v36, -v47 :: v_dual_add_f32 v49, v49, v39
	v_mul_f32_e32 v39, v58, v37
	v_dual_add_f32 v46, v46, v38 :: v_dual_mul_f32 v38, v41, v35
	v_mul_f32_e32 v35, v40, v35
	s_delay_alu instid0(VALU_DEP_4) | instskip(NEXT) | instid1(VALU_DEP_3)
	v_dual_add_f32 v28, v28, v47 :: v_dual_mul_f32 v47, v41, v37
	v_dual_fmac_f32 v39, v59, v36 :: v_dual_fma_f32 v38, v40, v34, -v38
	s_delay_alu instid0(VALU_DEP_1) | instskip(NEXT) | instid1(VALU_DEP_3)
	v_dual_fmac_f32 v35, v41, v34 :: v_dual_add_f32 v34, v48, v39
	v_dual_mul_f32 v48, v40, v37 :: v_dual_fma_f32 v37, v40, v36, -v47
	s_delay_alu instid0(VALU_DEP_2) | instskip(SKIP_2) | instid1(VALU_DEP_3)
	v_dual_add_f32 v24, v24, v38 :: v_dual_add_f32 v26, v26, v35
	s_wait_dscnt 0x0
	v_mul_f32_e32 v35, v61, v31
	v_dual_fmac_f32 v48, v41, v36 :: v_dual_add_f32 v2, v2, v37
	ds_load_2addr_b64 v[36:39], v27 offset0:224 offset1:240
	v_dual_mul_f32 v40, v60, v31 :: v_dual_fma_f32 v35, v60, v30, -v35
	v_dual_add_f32 v22, v22, v48 :: v_dual_mul_f32 v41, v61, v33
	s_delay_alu instid0(VALU_DEP_2) | instskip(NEXT) | instid1(VALU_DEP_3)
	v_dual_mul_f32 v47, v60, v33 :: v_dual_fmac_f32 v40, v61, v30
	v_add_f32_e32 v35, v49, v35
	s_delay_alu instid0(VALU_DEP_3) | instskip(NEXT) | instid1(VALU_DEP_3)
	v_dual_mul_f32 v48, v43, v31 :: v_dual_fma_f32 v41, v60, v32, -v41
	v_dual_fmac_f32 v47, v61, v32 :: v_dual_mul_f32 v31, v42, v31
	s_delay_alu instid0(VALU_DEP_4) | instskip(NEXT) | instid1(VALU_DEP_3)
	v_add_f32_e32 v40, v46, v40
	v_dual_fma_f32 v46, v42, v30, -v48 :: v_dual_add_f32 v28, v28, v41
	s_delay_alu instid0(VALU_DEP_3) | instskip(NEXT) | instid1(VALU_DEP_4)
	v_dual_mul_f32 v41, v43, v33 :: v_dual_add_f32 v47, v34, v47
	v_dual_fmac_f32 v31, v43, v30 :: v_dual_mul_f32 v30, v42, v33
	s_delay_alu instid0(VALU_DEP_2) | instskip(SKIP_2) | instid1(VALU_DEP_3)
	v_dual_add_f32 v24, v24, v46 :: v_dual_fma_f32 v33, v42, v32, -v41
	s_wait_dscnt 0x0
	v_dual_mul_f32 v34, v63, v37 :: v_dual_mul_f32 v41, v62, v37
	v_dual_add_f32 v26, v26, v31 :: v_dual_fmac_f32 v30, v43, v32
	s_delay_alu instid0(VALU_DEP_3) | instskip(NEXT) | instid1(VALU_DEP_3)
	v_add_f32_e32 v2, v2, v33
	v_dual_fma_f32 v31, v62, v36, -v34 :: v_dual_mul_f32 v33, v63, v39
	s_delay_alu instid0(VALU_DEP_4) | instskip(NEXT) | instid1(VALU_DEP_2)
	v_dual_fmac_f32 v41, v63, v36 :: v_dual_mul_f32 v42, v62, v39
	v_dual_add_f32 v22, v22, v30 :: v_dual_add_f32 v32, v35, v31
	v_mul_f32_e32 v31, v45, v37
	s_delay_alu instid0(VALU_DEP_3) | instskip(NEXT) | instid1(VALU_DEP_4)
	v_dual_add_f32 v34, v40, v41 :: v_dual_fma_f32 v30, v62, v38, -v33
	v_dual_fmac_f32 v42, v63, v38 :: v_dual_mul_f32 v33, v44, v37
	v_dual_mul_f32 v35, v45, v39 :: v_dual_mul_f32 v37, v44, v39
	s_delay_alu instid0(VALU_DEP_3) | instskip(NEXT) | instid1(VALU_DEP_3)
	v_add_f32_e32 v28, v28, v30
	v_dual_fma_f32 v31, v44, v36, -v31 :: v_dual_fmac_f32 v33, v45, v36
	s_delay_alu instid0(VALU_DEP_3) | instskip(NEXT) | instid1(VALU_DEP_2)
	v_dual_fma_f32 v35, v44, v38, -v35 :: v_dual_fmac_f32 v37, v45, v38
	v_dual_add_f32 v30, v47, v42 :: v_dual_add_f32 v24, v24, v31
	s_delay_alu instid0(VALU_DEP_3) | instskip(NEXT) | instid1(VALU_DEP_3)
	v_add_f32_e32 v26, v26, v33
	v_add_f32_e32 v2, v2, v35
	s_delay_alu instid0(VALU_DEP_4)
	v_add_f32_e32 v22, v22, v37
	s_barrier_signal -1
	s_barrier_wait -1
	s_cbranch_scc0 .LBB374_15
.LBB374_9:                              ;   Parent Loop BB374_6 Depth=1
                                        ; =>  This Inner Loop Header: Depth=2
	v_dual_mov_b32 v36, 0 :: v_dual_add_nc_u32 v31, s27, v23
	v_mov_b32_e32 v37, 0
	s_delay_alu instid0(VALU_DEP_2) | instskip(SKIP_2) | instid1(SALU_CYCLE_1)
	v_cmp_gt_i32_e32 vcc_lo, s23, v31
	s_wait_xcnt 0x0
	s_and_b32 s29, s0, vcc_lo
	s_and_saveexec_b32 s28, s29
	s_cbranch_execz .LBB374_11
; %bb.10:                               ;   in Loop: Header=BB374_9 Depth=2
	flat_load_b64 v[36:37], v[18:19]
.LBB374_11:                             ;   in Loop: Header=BB374_9 Depth=2
	s_wait_xcnt 0x0
	s_or_b32 exec_lo, exec_lo, s28
	v_add_nc_u32_e32 v31, s27, v0
	s_wait_loadcnt_dscnt 0x0
	ds_store_b64 v25, v[36:37]
	v_cmp_le_i32_e32 vcc_lo, s23, v31
	s_or_b32 s28, vcc_lo, s26
	s_delay_alu instid0(SALU_CYCLE_1) | instskip(NEXT) | instid1(SALU_CYCLE_1)
	s_and_saveexec_b32 s29, s28
	s_xor_b32 s28, exec_lo, s29
; %bb.12:                               ;   in Loop: Header=BB374_9 Depth=2
	ds_store_b32 v1, v3
; %bb.13:                               ;   in Loop: Header=BB374_9 Depth=2
	s_or_saveexec_b32 s28, s28
	v_mov_b32_e32 v31, 0
	s_xor_b32 exec_lo, exec_lo, s28
	s_cbranch_execz .LBB374_8
; %bb.14:                               ;   in Loop: Header=BB374_9 Depth=2
	flat_load_b64 v[36:37], v[20:21] offset:-4
	s_wait_loadcnt_dscnt 0x0
	v_xor_b32_e32 v31, 0x80000000, v37
	ds_store_b32 v1, v36
	s_branch .LBB374_8
.LBB374_15:                             ;   in Loop: Header=BB374_6 Depth=1
	s_wait_loadcnt 0x0
	v_add_nc_u64_e32 v[16:17], s[12:13], v[16:17]
	s_delay_alu instid0(VALU_DEP_1)
	v_lshl_add_u64 v[18:19], v[6:7], 3, v[16:17]
	s_and_saveexec_b32 s27, s22
	s_cbranch_execz .LBB374_20
; %bb.16:                               ;   in Loop: Header=BB374_6 Depth=1
	v_mov_b64_e32 v[20:21], s[4:5]
	v_mov_b64_e32 v[36:37], s[14:15]
	s_and_b32 vcc_lo, exec_lo, s18
	s_mov_b32 s28, -1
	s_delay_alu instid0(VALU_DEP_2) | instskip(NEXT) | instid1(VALU_DEP_1)
	v_pk_mul_f32 v[20:21], v[34:35], v[20:21] op_sel_hi:[0,1]
	v_pk_fma_f32 v[34:35], v[32:33], v[36:37], v[20:21] op_sel_hi:[0,1,1]
	v_pk_fma_f32 v[20:21], v[32:33], v[36:37], v[20:21] neg_lo:[0,0,1] neg_hi:[0,0,1]
	v_lshl_add_u64 v[32:33], v[4:5], 3, v[18:19]
	s_delay_alu instid0(VALU_DEP_3)
	v_mov_b32_e32 v21, v35
	s_cbranch_vccz .LBB374_18
; %bb.17:                               ;   in Loop: Header=BB374_6 Depth=1
	flat_load_b64 v[34:35], v[32:33]
	v_mov_b64_e32 v[36:37], s[20:21]
	v_mov_b64_e32 v[38:39], s[2:3]
	s_mov_b32 s28, 0
	s_wait_loadcnt_dscnt 0x0
	s_delay_alu instid0(VALU_DEP_2) | instskip(NEXT) | instid1(VALU_DEP_1)
	v_pk_mul_f32 v[36:37], v[34:35], v[36:37]
	v_pk_fma_f32 v[40:41], v[34:35], v[38:39], v[36:37] op_sel:[0,0,1] op_sel_hi:[1,1,0]
	v_pk_fma_f32 v[34:35], v[34:35], v[38:39], v[36:37] op_sel:[0,0,1] op_sel_hi:[1,1,0] neg_lo:[0,0,1] neg_hi:[0,0,1]
	s_delay_alu instid0(VALU_DEP_2) | instskip(NEXT) | instid1(VALU_DEP_1)
	v_mov_b32_e32 v35, v41
	v_pk_add_f32 v[34:35], v[20:21], v[34:35]
	flat_store_b64 v[32:33], v[34:35]
.LBB374_18:                             ;   in Loop: Header=BB374_6 Depth=1
	s_and_not1_b32 vcc_lo, exec_lo, s28
	s_cbranch_vccnz .LBB374_20
; %bb.19:                               ;   in Loop: Header=BB374_6 Depth=1
	flat_store_b64 v[32:33], v[20:21]
.LBB374_20:                             ;   in Loop: Header=BB374_6 Depth=1
	s_wait_xcnt 0x0
	s_or_b32 exec_lo, exec_lo, s27
	s_and_saveexec_b32 s27, s30
	s_cbranch_execz .LBB374_25
; %bb.21:                               ;   in Loop: Header=BB374_6 Depth=1
	v_mov_b64_e32 v[20:21], s[4:5]
	v_mov_b64_e32 v[32:33], s[14:15]
	v_lshl_add_u64 v[18:19], v[8:9], 3, v[18:19]
	s_and_not1_b32 vcc_lo, exec_lo, s18
	s_mov_b32 s28, -1
	s_delay_alu instid0(VALU_DEP_3) | instskip(NEXT) | instid1(VALU_DEP_1)
	v_pk_mul_f32 v[20:21], v[30:31], v[20:21] op_sel_hi:[0,1]
	v_pk_fma_f32 v[30:31], v[28:29], v[32:33], v[20:21] op_sel_hi:[0,1,1]
	v_pk_fma_f32 v[20:21], v[28:29], v[32:33], v[20:21] neg_lo:[0,0,1] neg_hi:[0,0,1]
	s_delay_alu instid0(VALU_DEP_2)
	v_mov_b32_e32 v21, v31
	s_cbranch_vccnz .LBB374_23
; %bb.22:                               ;   in Loop: Header=BB374_6 Depth=1
	flat_load_b64 v[30:31], v[18:19]
	v_mov_b64_e32 v[32:33], s[20:21]
	v_mov_b64_e32 v[34:35], s[2:3]
	s_mov_b32 s28, 0
	s_wait_loadcnt_dscnt 0x0
	s_delay_alu instid0(VALU_DEP_2) | instskip(NEXT) | instid1(VALU_DEP_1)
	v_pk_mul_f32 v[32:33], v[30:31], v[32:33]
	v_pk_fma_f32 v[36:37], v[30:31], v[34:35], v[32:33] op_sel:[0,0,1] op_sel_hi:[1,1,0]
	v_pk_fma_f32 v[30:31], v[30:31], v[34:35], v[32:33] op_sel:[0,0,1] op_sel_hi:[1,1,0] neg_lo:[0,0,1] neg_hi:[0,0,1]
	s_delay_alu instid0(VALU_DEP_2) | instskip(NEXT) | instid1(VALU_DEP_1)
	v_mov_b32_e32 v31, v37
	v_pk_add_f32 v[30:31], v[20:21], v[30:31]
	flat_store_b64 v[18:19], v[30:31]
.LBB374_23:                             ;   in Loop: Header=BB374_6 Depth=1
	s_and_not1_b32 vcc_lo, exec_lo, s28
	s_cbranch_vccnz .LBB374_25
; %bb.24:                               ;   in Loop: Header=BB374_6 Depth=1
	flat_store_b64 v[18:19], v[20:21]
.LBB374_25:                             ;   in Loop: Header=BB374_6 Depth=1
	s_wait_xcnt 0x0
	s_or_b32 exec_lo, exec_lo, s27
	v_lshl_add_u64 v[16:17], v[10:11], 3, v[16:17]
	s_and_saveexec_b32 s27, s1
	s_cbranch_execz .LBB374_30
; %bb.26:                               ;   in Loop: Header=BB374_6 Depth=1
	v_mov_b64_e32 v[18:19], s[4:5]
	v_mov_b64_e32 v[20:21], s[14:15]
	s_and_not1_b32 vcc_lo, exec_lo, s18
	s_mov_b32 s28, -1
	s_delay_alu instid0(VALU_DEP_2) | instskip(NEXT) | instid1(VALU_DEP_1)
	v_pk_mul_f32 v[18:19], v[26:27], v[18:19] op_sel_hi:[0,1]
	v_pk_fma_f32 v[30:31], v[24:25], v[20:21], v[18:19] op_sel_hi:[0,1,1]
	v_pk_fma_f32 v[18:19], v[24:25], v[20:21], v[18:19] neg_lo:[0,0,1] neg_hi:[0,0,1]
	v_lshl_add_u64 v[20:21], v[4:5], 3, v[16:17]
	s_delay_alu instid0(VALU_DEP_3)
	v_mov_b32_e32 v19, v31
	s_cbranch_vccnz .LBB374_28
; %bb.27:                               ;   in Loop: Header=BB374_6 Depth=1
	flat_load_b64 v[30:31], v[20:21]
	v_mov_b64_e32 v[32:33], s[20:21]
	v_mov_b64_e32 v[34:35], s[2:3]
	s_mov_b32 s28, 0
	s_wait_loadcnt_dscnt 0x0
	s_delay_alu instid0(VALU_DEP_2) | instskip(NEXT) | instid1(VALU_DEP_1)
	v_pk_mul_f32 v[32:33], v[30:31], v[32:33]
	v_pk_fma_f32 v[36:37], v[30:31], v[34:35], v[32:33] op_sel:[0,0,1] op_sel_hi:[1,1,0]
	v_pk_fma_f32 v[30:31], v[30:31], v[34:35], v[32:33] op_sel:[0,0,1] op_sel_hi:[1,1,0] neg_lo:[0,0,1] neg_hi:[0,0,1]
	s_delay_alu instid0(VALU_DEP_2) | instskip(NEXT) | instid1(VALU_DEP_1)
	v_mov_b32_e32 v31, v37
	v_pk_add_f32 v[30:31], v[18:19], v[30:31]
	flat_store_b64 v[20:21], v[30:31]
.LBB374_28:                             ;   in Loop: Header=BB374_6 Depth=1
	s_and_not1_b32 vcc_lo, exec_lo, s28
	s_cbranch_vccnz .LBB374_30
; %bb.29:                               ;   in Loop: Header=BB374_6 Depth=1
	flat_store_b64 v[20:21], v[18:19]
.LBB374_30:                             ;   in Loop: Header=BB374_6 Depth=1
	s_wait_xcnt 0x0
	s_or_b32 exec_lo, exec_lo, s27
	s_and_saveexec_b32 s27, s31
	s_cbranch_execz .LBB374_5
; %bb.31:                               ;   in Loop: Header=BB374_6 Depth=1
	v_mov_b64_e32 v[18:19], s[4:5]
	v_mov_b64_e32 v[20:21], s[14:15]
	v_lshl_add_u64 v[16:17], v[8:9], 3, v[16:17]
	s_and_not1_b32 vcc_lo, exec_lo, s18
	s_mov_b32 s28, -1
	s_delay_alu instid0(VALU_DEP_3) | instskip(NEXT) | instid1(VALU_DEP_1)
	v_pk_mul_f32 v[18:19], v[22:23], v[18:19] op_sel_hi:[0,1]
	v_pk_fma_f32 v[30:31], v[2:3], v[20:21], v[18:19] op_sel_hi:[0,1,1]
	v_pk_fma_f32 v[18:19], v[2:3], v[20:21], v[18:19] neg_lo:[0,0,1] neg_hi:[0,0,1]
	s_delay_alu instid0(VALU_DEP_2)
	v_mov_b32_e32 v19, v31
	s_cbranch_vccnz .LBB374_33
; %bb.32:                               ;   in Loop: Header=BB374_6 Depth=1
	flat_load_b64 v[20:21], v[16:17]
	v_mov_b64_e32 v[30:31], s[20:21]
	v_mov_b64_e32 v[32:33], s[2:3]
	s_mov_b32 s28, 0
	s_wait_loadcnt_dscnt 0x0
	s_delay_alu instid0(VALU_DEP_2) | instskip(NEXT) | instid1(VALU_DEP_1)
	v_pk_mul_f32 v[30:31], v[20:21], v[30:31]
	v_pk_fma_f32 v[34:35], v[20:21], v[32:33], v[30:31] op_sel:[0,0,1] op_sel_hi:[1,1,0]
	v_pk_fma_f32 v[20:21], v[20:21], v[32:33], v[30:31] op_sel:[0,0,1] op_sel_hi:[1,1,0] neg_lo:[0,0,1] neg_hi:[0,0,1]
	s_delay_alu instid0(VALU_DEP_2) | instskip(NEXT) | instid1(VALU_DEP_1)
	v_mov_b32_e32 v21, v35
	v_pk_add_f32 v[20:21], v[18:19], v[20:21]
	flat_store_b64 v[16:17], v[20:21]
.LBB374_33:                             ;   in Loop: Header=BB374_6 Depth=1
	s_and_not1_b32 vcc_lo, exec_lo, s28
	s_cbranch_vccnz .LBB374_5
; %bb.34:                               ;   in Loop: Header=BB374_6 Depth=1
	flat_store_b64 v[16:17], v[18:19]
	s_branch .LBB374_5
.LBB374_35:
	s_sendmsg sendmsg(MSG_DEALLOC_VGPRS)
	s_endpgm
	.section	.rodata,"a",@progbits
	.p2align	6, 0x0
	.amdhsa_kernel _ZL29rocblas_internal_gemmt_kernelIiLi16ELi32ELi8ELc84ELc67ELc76ELb0ELb1E19rocblas_complex_numIfEPKS1_PKS3_PKPS1_EviT_T9_T10_S9_lSB_S9_lSA_T11_S9_li
		.amdhsa_group_segment_fixed_size 4096
		.amdhsa_private_segment_fixed_size 0
		.amdhsa_kernarg_size 100
		.amdhsa_user_sgpr_count 2
		.amdhsa_user_sgpr_dispatch_ptr 0
		.amdhsa_user_sgpr_queue_ptr 0
		.amdhsa_user_sgpr_kernarg_segment_ptr 1
		.amdhsa_user_sgpr_dispatch_id 0
		.amdhsa_user_sgpr_kernarg_preload_length 0
		.amdhsa_user_sgpr_kernarg_preload_offset 0
		.amdhsa_user_sgpr_private_segment_size 0
		.amdhsa_wavefront_size32 1
		.amdhsa_uses_dynamic_stack 0
		.amdhsa_enable_private_segment 0
		.amdhsa_system_sgpr_workgroup_id_x 1
		.amdhsa_system_sgpr_workgroup_id_y 1
		.amdhsa_system_sgpr_workgroup_id_z 1
		.amdhsa_system_sgpr_workgroup_info 0
		.amdhsa_system_vgpr_workitem_id 1
		.amdhsa_next_free_vgpr 71
		.amdhsa_next_free_sgpr 36
		.amdhsa_named_barrier_count 0
		.amdhsa_reserve_vcc 1
		.amdhsa_float_round_mode_32 0
		.amdhsa_float_round_mode_16_64 0
		.amdhsa_float_denorm_mode_32 3
		.amdhsa_float_denorm_mode_16_64 3
		.amdhsa_fp16_overflow 0
		.amdhsa_memory_ordered 1
		.amdhsa_forward_progress 1
		.amdhsa_inst_pref_size 26
		.amdhsa_round_robin_scheduling 0
		.amdhsa_exception_fp_ieee_invalid_op 0
		.amdhsa_exception_fp_denorm_src 0
		.amdhsa_exception_fp_ieee_div_zero 0
		.amdhsa_exception_fp_ieee_overflow 0
		.amdhsa_exception_fp_ieee_underflow 0
		.amdhsa_exception_fp_ieee_inexact 0
		.amdhsa_exception_int_div_zero 0
	.end_amdhsa_kernel
	.section	.text._ZL29rocblas_internal_gemmt_kernelIiLi16ELi32ELi8ELc84ELc67ELc76ELb0ELb1E19rocblas_complex_numIfEPKS1_PKS3_PKPS1_EviT_T9_T10_S9_lSB_S9_lSA_T11_S9_li,"axG",@progbits,_ZL29rocblas_internal_gemmt_kernelIiLi16ELi32ELi8ELc84ELc67ELc76ELb0ELb1E19rocblas_complex_numIfEPKS1_PKS3_PKPS1_EviT_T9_T10_S9_lSB_S9_lSA_T11_S9_li,comdat
.Lfunc_end374:
	.size	_ZL29rocblas_internal_gemmt_kernelIiLi16ELi32ELi8ELc84ELc67ELc76ELb0ELb1E19rocblas_complex_numIfEPKS1_PKS3_PKPS1_EviT_T9_T10_S9_lSB_S9_lSA_T11_S9_li, .Lfunc_end374-_ZL29rocblas_internal_gemmt_kernelIiLi16ELi32ELi8ELc84ELc67ELc76ELb0ELb1E19rocblas_complex_numIfEPKS1_PKS3_PKPS1_EviT_T9_T10_S9_lSB_S9_lSA_T11_S9_li
                                        ; -- End function
	.set _ZL29rocblas_internal_gemmt_kernelIiLi16ELi32ELi8ELc84ELc67ELc76ELb0ELb1E19rocblas_complex_numIfEPKS1_PKS3_PKPS1_EviT_T9_T10_S9_lSB_S9_lSA_T11_S9_li.num_vgpr, 71
	.set _ZL29rocblas_internal_gemmt_kernelIiLi16ELi32ELi8ELc84ELc67ELc76ELb0ELb1E19rocblas_complex_numIfEPKS1_PKS3_PKPS1_EviT_T9_T10_S9_lSB_S9_lSA_T11_S9_li.num_agpr, 0
	.set _ZL29rocblas_internal_gemmt_kernelIiLi16ELi32ELi8ELc84ELc67ELc76ELb0ELb1E19rocblas_complex_numIfEPKS1_PKS3_PKPS1_EviT_T9_T10_S9_lSB_S9_lSA_T11_S9_li.numbered_sgpr, 36
	.set _ZL29rocblas_internal_gemmt_kernelIiLi16ELi32ELi8ELc84ELc67ELc76ELb0ELb1E19rocblas_complex_numIfEPKS1_PKS3_PKPS1_EviT_T9_T10_S9_lSB_S9_lSA_T11_S9_li.num_named_barrier, 0
	.set _ZL29rocblas_internal_gemmt_kernelIiLi16ELi32ELi8ELc84ELc67ELc76ELb0ELb1E19rocblas_complex_numIfEPKS1_PKS3_PKPS1_EviT_T9_T10_S9_lSB_S9_lSA_T11_S9_li.private_seg_size, 0
	.set _ZL29rocblas_internal_gemmt_kernelIiLi16ELi32ELi8ELc84ELc67ELc76ELb0ELb1E19rocblas_complex_numIfEPKS1_PKS3_PKPS1_EviT_T9_T10_S9_lSB_S9_lSA_T11_S9_li.uses_vcc, 1
	.set _ZL29rocblas_internal_gemmt_kernelIiLi16ELi32ELi8ELc84ELc67ELc76ELb0ELb1E19rocblas_complex_numIfEPKS1_PKS3_PKPS1_EviT_T9_T10_S9_lSB_S9_lSA_T11_S9_li.uses_flat_scratch, 0
	.set _ZL29rocblas_internal_gemmt_kernelIiLi16ELi32ELi8ELc84ELc67ELc76ELb0ELb1E19rocblas_complex_numIfEPKS1_PKS3_PKPS1_EviT_T9_T10_S9_lSB_S9_lSA_T11_S9_li.has_dyn_sized_stack, 0
	.set _ZL29rocblas_internal_gemmt_kernelIiLi16ELi32ELi8ELc84ELc67ELc76ELb0ELb1E19rocblas_complex_numIfEPKS1_PKS3_PKPS1_EviT_T9_T10_S9_lSB_S9_lSA_T11_S9_li.has_recursion, 0
	.set _ZL29rocblas_internal_gemmt_kernelIiLi16ELi32ELi8ELc84ELc67ELc76ELb0ELb1E19rocblas_complex_numIfEPKS1_PKS3_PKPS1_EviT_T9_T10_S9_lSB_S9_lSA_T11_S9_li.has_indirect_call, 0
	.section	.AMDGPU.csdata,"",@progbits
; Kernel info:
; codeLenInByte = 3300
; TotalNumSgprs: 38
; NumVgprs: 71
; ScratchSize: 0
; MemoryBound: 0
; FloatMode: 240
; IeeeMode: 1
; LDSByteSize: 4096 bytes/workgroup (compile time only)
; SGPRBlocks: 0
; VGPRBlocks: 4
; NumSGPRsForWavesPerEU: 38
; NumVGPRsForWavesPerEU: 71
; NamedBarCnt: 0
; Occupancy: 12
; WaveLimiterHint : 1
; COMPUTE_PGM_RSRC2:SCRATCH_EN: 0
; COMPUTE_PGM_RSRC2:USER_SGPR: 2
; COMPUTE_PGM_RSRC2:TRAP_HANDLER: 0
; COMPUTE_PGM_RSRC2:TGID_X_EN: 1
; COMPUTE_PGM_RSRC2:TGID_Y_EN: 1
; COMPUTE_PGM_RSRC2:TGID_Z_EN: 1
; COMPUTE_PGM_RSRC2:TIDIG_COMP_CNT: 1
	.section	.text._ZL29rocblas_internal_gemmt_kernelIiLi16ELi32ELi8ELc67ELc78ELc76ELb1ELb0E19rocblas_complex_numIfEPKS1_PKS3_PKPS1_EviT_T9_T10_S9_lSB_S9_lSA_T11_S9_li,"axG",@progbits,_ZL29rocblas_internal_gemmt_kernelIiLi16ELi32ELi8ELc67ELc78ELc76ELb1ELb0E19rocblas_complex_numIfEPKS1_PKS3_PKPS1_EviT_T9_T10_S9_lSB_S9_lSA_T11_S9_li,comdat
	.globl	_ZL29rocblas_internal_gemmt_kernelIiLi16ELi32ELi8ELc67ELc78ELc76ELb1ELb0E19rocblas_complex_numIfEPKS1_PKS3_PKPS1_EviT_T9_T10_S9_lSB_S9_lSA_T11_S9_li ; -- Begin function _ZL29rocblas_internal_gemmt_kernelIiLi16ELi32ELi8ELc67ELc78ELc76ELb1ELb0E19rocblas_complex_numIfEPKS1_PKS3_PKPS1_EviT_T9_T10_S9_lSB_S9_lSA_T11_S9_li
	.p2align	8
	.type	_ZL29rocblas_internal_gemmt_kernelIiLi16ELi32ELi8ELc67ELc78ELc76ELb1ELb0E19rocblas_complex_numIfEPKS1_PKS3_PKPS1_EviT_T9_T10_S9_lSB_S9_lSA_T11_S9_li,@function
_ZL29rocblas_internal_gemmt_kernelIiLi16ELi32ELi8ELc67ELc78ELc76ELb1ELb0E19rocblas_complex_numIfEPKS1_PKS3_PKPS1_EviT_T9_T10_S9_lSB_S9_lSA_T11_S9_li: ; @_ZL29rocblas_internal_gemmt_kernelIiLi16ELi32ELi8ELc67ELc78ELc76ELb1ELb0E19rocblas_complex_numIfEPKS1_PKS3_PKPS1_EviT_T9_T10_S9_lSB_S9_lSA_T11_S9_li
; %bb.0:
	s_load_b128 s[12:15], s[0:1], 0x38
	s_wait_kmcnt 0x0
	s_load_b64 s[20:21], s[14:15], 0x0
	s_clause 0x1
	s_load_b128 s[4:7], s[0:1], 0x8
	s_load_b64 s[22:23], s[0:1], 0x0
	s_wait_kmcnt 0x0
	s_cmp_neq_f32 s20, 1.0
	s_load_b64 s[14:15], s[4:5], 0x0
	s_cselect_b32 s2, -1, 0
	s_and_b32 s3, s21, 0x7fffffff
	s_delay_alu instid0(SALU_CYCLE_1) | instskip(SKIP_3) | instid1(SALU_CYCLE_1)
	s_cmp_eq_u32 s3, 0
	s_cselect_b32 s29, -1, 0
	s_cmp_lg_u32 s3, 0
	s_cselect_b32 s3, -1, 0
	s_or_b32 s2, s2, s3
	s_delay_alu instid0(SALU_CYCLE_1)
	s_and_b32 vcc_lo, exec_lo, s2
	s_cbranch_vccnz .LBB375_2
; %bb.1:
	s_cmp_lg_u32 s23, 0
	s_cselect_b32 s2, -1, 0
	s_wait_kmcnt 0x0
	s_cmp_neq_f32 s14, 0
	s_cselect_b32 s3, -1, 0
	s_cmp_neq_f32 s15, 0
	s_cselect_b32 s4, -1, 0
	s_delay_alu instid0(SALU_CYCLE_1) | instskip(NEXT) | instid1(SALU_CYCLE_1)
	s_or_b32 s3, s3, s4
	s_and_b32 s2, s2, s3
.LBB375_2:
	s_delay_alu instid0(SALU_CYCLE_1)
	s_and_not1_b32 vcc_lo, exec_lo, s2
	s_cbranch_vccnz .LBB375_35
; %bb.3:
	s_load_b32 s28, s[0:1], 0x60
	s_bfe_u32 s2, ttmp6, 0x40014
	s_lshr_b32 s3, ttmp7, 16
	s_add_co_i32 s2, s2, 1
	s_wait_xcnt 0x0
	s_bfe_u32 s4, ttmp6, 0x40008
	s_mul_i32 s2, s3, s2
	s_getreg_b32 s30, hwreg(HW_REG_IB_STS2, 6, 4)
	s_add_co_i32 s4, s4, s2
	s_cmp_eq_u32 s30, 0
	s_mov_b32 s25, 0
	s_cselect_b32 s24, s3, s4
	s_wait_kmcnt 0x0
	s_cmp_ge_u32 s24, s28
	s_cbranch_scc1 .LBB375_35
; %bb.4:
	s_clause 0x3
	s_load_b32 s4, s[0:1], 0x18
	s_load_b32 s2, s[0:1], 0x30
	s_load_b96 s[16:18], s[0:1], 0x48
	s_load_b128 s[8:11], s[0:1], 0x20
	v_and_b32_e32 v4, 0x3ff, v0
	v_bfe_u32 v5, v0, 10, 10
	s_load_b64 s[26:27], s[0:1], 0x58
	s_wait_xcnt 0x0
	s_bfe_u32 s1, ttmp6, 0x4000c
	s_bfe_u32 s3, ttmp6, 0x40010
	s_and_b32 s31, ttmp7, 0xffff
	s_add_co_i32 s1, s1, 1
	s_add_co_i32 s3, s3, 1
	v_lshl_add_u32 v1, v5, 4, v4
	s_and_b32 s0, ttmp6, 15
	s_bfe_u32 s33, ttmp6, 0x40004
	s_mul_i32 s1, ttmp9, s1
	s_mul_i32 s34, s31, s3
	s_add_co_i32 s0, s0, s1
	s_add_co_i32 s33, s33, s34
	v_dual_lshrrev_b32 v21, 5, v1 :: v_dual_bitop2_b32 v6, 31, v1 bitop3:0x40
	s_wait_kmcnt 0x0
	s_ashr_i32 s5, s4, 31
	s_ashr_i32 s3, s2, 31
	;; [unrolled: 1-line block ×3, first 2 shown]
	s_cmp_eq_u32 s30, 0
	v_lshl_add_u32 v33, v5, 6, 0x800
	s_cselect_b32 s0, ttmp9, s0
	s_cselect_b32 s1, s31, s33
	s_lshl_b32 s30, s0, 5
	s_lshl_b32 s1, s1, 5
	v_dual_lshrrev_b32 v1, 3, v1 :: v_dual_bitop2_b32 v2, s30, v6 bitop3:0x54
	v_and_b32_e32 v23, 7, v0
	s_cmp_neq_f32 s14, 0
	v_dual_add_nc_u32 v10, s1, v5 :: v_dual_lshlrev_b32 v29, 3, v4
	s_delay_alu instid0(VALU_DEP_3) | instskip(NEXT) | instid1(VALU_DEP_3)
	v_dual_add_nc_u32 v0, s1, v1 :: v_dual_ashrrev_i32 v3, 31, v2
	v_dual_lshlrev_b32 v12, 3, v23 :: v_dual_lshlrev_b32 v6, 3, v6
	s_cselect_b32 s0, -1, 0
	s_cmp_neq_f32 s15, 0
	s_delay_alu instid0(VALU_DEP_2) | instskip(NEXT) | instid1(VALU_DEP_2)
	v_mul_u64_e32 v[8:9], s[4:5], v[2:3]
	v_lshl_or_b32 v3, v1, 6, v12
	v_dual_ashrrev_i32 v1, 31, v0 :: v_dual_add_nc_u32 v16, 16, v10
	s_cselect_b32 s31, -1, 0
	v_cmp_gt_i32_e32 vcc_lo, s22, v2
	s_or_b32 s31, s0, s31
	s_delay_alu instid0(VALU_DEP_2)
	v_mul_u64_e32 v[14:15], s[2:3], v[0:1]
	v_cmp_gt_i32_e64 s0, s22, v0
	v_dual_add_nc_u32 v0, s30, v4 :: v_dual_ashrrev_i32 v11, 31, v10
	v_ashrrev_i32_e32 v17, 31, v16
	v_lshl_or_b32 v25, v21, 8, v6
	v_add_nc_u32_e32 v27, 0x800, v3
	s_cmp_gt_i32 s23, 0
	v_mul_u64_e32 v[2:3], s[18:19], v[10:11]
	v_mul_u64_e32 v[6:7], s[18:19], v[16:17]
	s_cselect_b32 s33, -1, 0
	s_cmp_neq_f32 s20, 0
	v_dual_add_nc_u32 v4, 16, v0 :: v_dual_ashrrev_i32 v1, 31, v0
	v_cmp_le_i32_e64 s1, v10, v0
	v_cmp_gt_i32_e64 s2, s22, v0
	s_cselect_b32 s3, -1, 0
	s_xor_b32 s4, s29, -1
	s_lshl_b64 s[8:9], s[8:9], 3
	s_or_b32 s18, s3, s4
	v_cmp_gt_i32_e64 s3, s22, v4
	v_cmp_le_i32_e64 s4, v16, v0
	v_cmp_le_i32_e64 s5, v16, v4
	s_and_b32 s19, s1, s2
	v_cmp_le_i32_e64 s1, v10, v4
	v_lshl_add_u64 v[10:11], v[8:9], 3, s[8:9]
	v_dual_mov_b32 v9, 0 :: v_dual_lshlrev_b32 v8, 3, v21
	s_and_b32 s22, s4, s2
	s_and_b32 s29, s5, s3
	s_lshl_b64 s[4:5], s[12:13], 3
	s_delay_alu instid0(VALU_DEP_1)
	v_dual_ashrrev_i32 v5, 31, v4 :: v_dual_mov_b32 v13, v9
	v_add_nc_u64_e32 v[10:11], v[10:11], v[8:9]
	v_lshl_add_u64 v[14:15], v[14:15], 3, s[4:5]
	s_and_b32 s1, s1, s3
	s_mov_b32 s2, s20
	s_mov_b32 s3, s20
	;; [unrolled: 1-line block ×3, first 2 shown]
	v_add_nc_u64_e32 v[12:13], v[14:15], v[12:13]
	v_or_b32_e32 v10, 4, v10
	s_mov_b32 s4, s15
	s_and_b32 s12, s31, s33
	s_mov_b32 s5, s14
	s_xor_b32 s13, vcc_lo, -1
	s_lshl_b64 s[8:9], s[26:27], 3
	s_branch .LBB375_6
.LBB375_5:                              ;   in Loop: Header=BB375_6 Depth=1
	s_wait_xcnt 0x0
	s_or_b32 exec_lo, exec_lo, s26
	s_add_co_i32 s24, s24, 0x10000
	s_delay_alu instid0(SALU_CYCLE_1)
	s_cmp_lt_u32 s24, s28
	s_cbranch_scc0 .LBB375_35
.LBB375_6:                              ; =>This Loop Header: Depth=1
                                        ;     Child Loop BB375_9 Depth 2
	v_dual_mov_b32 v8, s24 :: v_dual_mov_b32 v30, 0
	v_dual_mov_b32 v32, 0 :: v_dual_mov_b32 v26, 0
	;; [unrolled: 1-line block ×3, first 2 shown]
	global_load_b64 v[14:15], v8, s[16:17] scale_offset
	s_wait_xcnt 0x0
	v_dual_mov_b32 v24, 0 :: v_dual_mov_b32 v8, 0
	v_mov_b32_e32 v20, 0
	s_and_not1_b32 vcc_lo, exec_lo, s12
	s_cbranch_vccnz .LBB375_15
; %bb.7:                                ;   in Loop: Header=BB375_6 Depth=1
	s_lshl_b64 s[26:27], s[24:25], 3
	v_dual_mov_b32 v20, 0 :: v_dual_mov_b32 v8, 0
	s_add_nc_u64 s[30:31], s[6:7], s[26:27]
	s_add_nc_u64 s[26:27], s[10:11], s[26:27]
	s_clause 0x1
	global_load_b64 v[16:17], v9, s[30:31]
	global_load_b64 v[18:19], v9, s[26:27]
	v_dual_mov_b32 v24, 0 :: v_dual_mov_b32 v22, 0
	v_dual_mov_b32 v28, 0 :: v_dual_mov_b32 v26, 0
	;; [unrolled: 1-line block ×3, first 2 shown]
	s_wait_xcnt 0x0
	s_mov_b32 s26, 0
	s_wait_loadcnt 0x1
	v_add_nc_u64_e32 v[16:17], v[16:17], v[10:11]
	s_wait_loadcnt 0x0
	v_add_nc_u64_e32 v[18:19], v[18:19], v[12:13]
	s_branch .LBB375_9
.LBB375_8:                              ;   in Loop: Header=BB375_9 Depth=2
	s_wait_xcnt 0x0
	s_or_b32 exec_lo, exec_lo, s27
	s_wait_loadcnt_dscnt 0x0
	ds_store_b64 v27, v[34:35]
	s_wait_dscnt 0x0
	s_barrier_signal -1
	s_barrier_wait -1
	ds_load_b128 v[34:37], v33
	ds_load_2addr_b64 v[38:41], v29 offset1:16
	ds_load_b128 v[42:45], v33 offset:1024
	ds_load_b128 v[46:49], v33 offset:16
	ds_load_2addr_b64 v[50:53], v29 offset0:32 offset1:48
	ds_load_b128 v[54:57], v33 offset:32
	ds_load_b128 v[58:61], v33 offset:48
	;; [unrolled: 1-line block ×3, first 2 shown]
	v_add_nc_u64_e32 v[16:17], 64, v[16:17]
	v_add_nc_u64_e32 v[18:19], 64, v[18:19]
	s_add_co_i32 s26, s26, 8
	s_delay_alu instid0(SALU_CYCLE_1)
	s_cmp_lt_i32 s26, s23
	s_wait_dscnt 0x6
	v_dual_mul_f32 v31, v35, v39 :: v_dual_mul_f32 v66, v34, v39
	v_dual_mul_f32 v67, v35, v41 :: v_dual_mul_f32 v68, v34, v41
	s_wait_dscnt 0x5
	v_dual_mul_f32 v69, v43, v39 :: v_dual_mul_f32 v39, v42, v39
	v_dual_mul_f32 v70, v43, v41 :: v_dual_mul_f32 v71, v42, v41
	v_dual_fma_f32 v31, v34, v38, -v31 :: v_dual_fmac_f32 v66, v35, v38
	v_dual_fma_f32 v34, v34, v40, -v67 :: v_dual_fmac_f32 v68, v35, v40
	s_delay_alu instid0(VALU_DEP_4) | instskip(NEXT) | instid1(VALU_DEP_4)
	v_dual_fma_f32 v35, v42, v38, -v69 :: v_dual_fmac_f32 v39, v43, v38
	v_fma_f32 v38, v42, v40, -v70
	s_delay_alu instid0(VALU_DEP_3) | instskip(SKIP_1) | instid1(VALU_DEP_4)
	v_dual_add_f32 v30, v30, v31 :: v_dual_add_f32 v28, v28, v68
	v_add_f32_e32 v31, v32, v66
	v_dual_add_f32 v26, v26, v34 :: v_dual_add_f32 v24, v24, v39
	v_dual_add_f32 v22, v22, v35 :: v_dual_fmac_f32 v71, v43, v40
	s_wait_dscnt 0x3
	v_dual_mul_f32 v32, v37, v51 :: v_dual_add_f32 v8, v8, v38
	ds_load_2addr_b64 v[38:41], v29 offset0:64 offset1:80
	v_dual_mul_f32 v34, v36, v51 :: v_dual_mul_f32 v35, v37, v53
	v_add_f32_e32 v20, v20, v71
	v_dual_fma_f32 v32, v36, v50, -v32 :: v_dual_mul_f32 v42, v36, v53
	s_delay_alu instid0(VALU_DEP_1) | instskip(NEXT) | instid1(VALU_DEP_1)
	v_dual_fmac_f32 v34, v37, v50 :: v_dual_add_f32 v30, v30, v32
	v_dual_fma_f32 v32, v36, v52, -v35 :: v_dual_add_f32 v31, v31, v34
	v_mul_f32_e32 v35, v45, v51
	s_delay_alu instid0(VALU_DEP_4) | instskip(NEXT) | instid1(VALU_DEP_2)
	v_dual_fmac_f32 v42, v37, v52 :: v_dual_mul_f32 v34, v44, v51
	v_dual_add_f32 v26, v26, v32 :: v_dual_fma_f32 v32, v44, v50, -v35
	s_delay_alu instid0(VALU_DEP_2) | instskip(NEXT) | instid1(VALU_DEP_3)
	v_dual_mul_f32 v35, v45, v53 :: v_dual_add_f32 v28, v28, v42
	v_dual_fmac_f32 v34, v45, v50 :: v_dual_mul_f32 v42, v44, v53
	s_delay_alu instid0(VALU_DEP_3) | instskip(SKIP_1) | instid1(VALU_DEP_3)
	v_add_f32_e32 v22, v22, v32
	s_wait_dscnt 0x0
	v_dual_fma_f32 v32, v44, v52, -v35 :: v_dual_mul_f32 v35, v47, v39
	s_delay_alu instid0(VALU_DEP_3) | instskip(SKIP_1) | instid1(VALU_DEP_3)
	v_dual_add_f32 v24, v24, v34 :: v_dual_mul_f32 v43, v46, v39
	v_fmac_f32_e32 v42, v45, v52
	v_dual_add_f32 v8, v8, v32 :: v_dual_fma_f32 v32, v46, v38, -v35
	ds_load_2addr_b64 v[34:37], v29 offset0:96 offset1:112
	v_dual_mul_f32 v44, v47, v41 :: v_dual_fmac_f32 v43, v47, v38
	v_dual_add_f32 v20, v20, v42 :: v_dual_add_f32 v30, v30, v32
	s_delay_alu instid0(VALU_DEP_2) | instskip(NEXT) | instid1(VALU_DEP_3)
	v_dual_mul_f32 v32, v46, v41 :: v_dual_fma_f32 v42, v46, v40, -v44
	v_add_f32_e32 v31, v31, v43
	v_dual_mul_f32 v43, v63, v39 :: v_dual_mul_f32 v39, v62, v39
	s_delay_alu instid0(VALU_DEP_3) | instskip(NEXT) | instid1(VALU_DEP_2)
	v_dual_fmac_f32 v32, v47, v40 :: v_dual_add_f32 v26, v26, v42
	v_dual_mul_f32 v42, v63, v41 :: v_dual_fma_f32 v43, v62, v38, -v43
	s_delay_alu instid0(VALU_DEP_3) | instskip(NEXT) | instid1(VALU_DEP_3)
	v_dual_fmac_f32 v39, v63, v38 :: v_dual_mul_f32 v44, v62, v41
	v_add_f32_e32 v28, v28, v32
	s_delay_alu instid0(VALU_DEP_3) | instskip(NEXT) | instid1(VALU_DEP_4)
	v_fma_f32 v32, v62, v40, -v42
	v_add_f32_e32 v22, v22, v43
	s_delay_alu instid0(VALU_DEP_4) | instskip(SKIP_1) | instid1(VALU_DEP_3)
	v_dual_add_f32 v24, v24, v39 :: v_dual_fmac_f32 v44, v63, v40
	s_wait_dscnt 0x0
	v_dual_mul_f32 v42, v49, v35 :: v_dual_add_f32 v8, v8, v32
	ds_load_2addr_b64 v[38:41], v29 offset0:128 offset1:144
	v_dual_mul_f32 v32, v48, v35 :: v_dual_mul_f32 v43, v49, v37
	v_dual_fma_f32 v42, v48, v34, -v42 :: v_dual_mul_f32 v46, v48, v37
	s_delay_alu instid0(VALU_DEP_2) | instskip(NEXT) | instid1(VALU_DEP_2)
	v_dual_fmac_f32 v32, v49, v34 :: v_dual_add_f32 v20, v20, v44
	v_dual_add_f32 v30, v30, v42 :: v_dual_fma_f32 v43, v48, v36, -v43
	s_delay_alu instid0(VALU_DEP_2) | instskip(NEXT) | instid1(VALU_DEP_4)
	v_dual_mul_f32 v42, v65, v35 :: v_dual_add_f32 v31, v31, v32
	v_dual_fmac_f32 v46, v49, v36 :: v_dual_mul_f32 v32, v64, v35
	s_delay_alu instid0(VALU_DEP_2) | instskip(NEXT) | instid1(VALU_DEP_2)
	v_dual_add_f32 v26, v26, v43 :: v_dual_fma_f32 v35, v64, v34, -v42
	v_dual_mul_f32 v47, v65, v37 :: v_dual_add_f32 v28, v28, v46
	ds_load_b128 v[42:45], v33 offset:1056
	v_dual_fmac_f32 v32, v65, v34 :: v_dual_mul_f32 v46, v64, v37
	v_dual_fma_f32 v34, v64, v36, -v47 :: v_dual_add_f32 v22, v22, v35
	s_wait_dscnt 0x1
	s_delay_alu instid0(VALU_DEP_2) | instskip(NEXT) | instid1(VALU_DEP_2)
	v_dual_mul_f32 v35, v55, v39 :: v_dual_add_f32 v24, v24, v32
	v_dual_fmac_f32 v46, v65, v36 :: v_dual_add_f32 v8, v8, v34
	s_delay_alu instid0(VALU_DEP_2) | instskip(SKIP_3) | instid1(VALU_DEP_2)
	v_dual_mul_f32 v32, v54, v39 :: v_dual_fma_f32 v47, v54, v38, -v35
	ds_load_2addr_b64 v[34:37], v29 offset0:160 offset1:176
	v_dual_mul_f32 v48, v55, v41 :: v_dual_add_f32 v20, v20, v46
	v_dual_fmac_f32 v32, v55, v38 :: v_dual_add_f32 v30, v30, v47
	v_dual_mul_f32 v50, v54, v41 :: v_dual_fma_f32 v51, v54, v40, -v48
	ds_load_b128 v[46:49], v33 offset:1072
	v_add_f32_e32 v31, v31, v32
	s_wait_dscnt 0x2
	v_dual_mul_f32 v52, v43, v39 :: v_dual_mul_f32 v32, v42, v39
	v_dual_fmac_f32 v50, v55, v40 :: v_dual_add_f32 v26, v26, v51
	s_delay_alu instid0(VALU_DEP_2) | instskip(NEXT) | instid1(VALU_DEP_2)
	v_dual_fma_f32 v39, v42, v38, -v52 :: v_dual_mul_f32 v51, v43, v41
	v_add_f32_e32 v28, v28, v50
	s_delay_alu instid0(VALU_DEP_4) | instskip(NEXT) | instid1(VALU_DEP_3)
	v_dual_fmac_f32 v32, v43, v38 :: v_dual_mul_f32 v50, v42, v41
	v_add_f32_e32 v22, v22, v39
	s_wait_dscnt 0x1
	v_dual_fma_f32 v38, v42, v40, -v51 :: v_dual_mul_f32 v39, v57, v35
	s_delay_alu instid0(VALU_DEP_3) | instskip(SKIP_1) | instid1(VALU_DEP_3)
	v_add_f32_e32 v24, v24, v32
	v_dual_fmac_f32 v50, v43, v40 :: v_dual_mul_f32 v32, v56, v35
	v_dual_add_f32 v8, v8, v38 :: v_dual_mul_f32 v43, v57, v37
	s_delay_alu instid0(VALU_DEP_4) | instskip(SKIP_4) | instid1(VALU_DEP_3)
	v_fma_f32 v42, v56, v34, -v39
	ds_load_2addr_b64 v[38:41], v29 offset0:192 offset1:208
	v_fmac_f32_e32 v32, v57, v34
	v_add_f32_e32 v20, v20, v50
	v_dual_fma_f32 v43, v56, v36, -v43 :: v_dual_add_f32 v30, v30, v42
	v_dual_mul_f32 v42, v56, v37 :: v_dual_add_f32 v31, v31, v32
	v_dual_mul_f32 v32, v45, v35 :: v_dual_mul_f32 v35, v44, v35
	s_delay_alu instid0(VALU_DEP_3) | instskip(NEXT) | instid1(VALU_DEP_2)
	v_dual_add_f32 v26, v26, v43 :: v_dual_mul_f32 v43, v45, v37
	v_dual_fmac_f32 v42, v57, v36 :: v_dual_fma_f32 v32, v44, v34, -v32
	s_delay_alu instid0(VALU_DEP_3) | instskip(NEXT) | instid1(VALU_DEP_3)
	v_fmac_f32_e32 v35, v45, v34
	v_fma_f32 v34, v44, v36, -v43
	s_delay_alu instid0(VALU_DEP_3) | instskip(SKIP_1) | instid1(VALU_DEP_4)
	v_dual_add_f32 v28, v28, v42 :: v_dual_add_f32 v22, v22, v32
	v_mul_f32_e32 v42, v44, v37
	v_add_f32_e32 v24, v24, v35
	s_wait_dscnt 0x0
	v_dual_mul_f32 v32, v59, v39 :: v_dual_add_f32 v8, v8, v34
	s_delay_alu instid0(VALU_DEP_3) | instskip(SKIP_4) | instid1(VALU_DEP_3)
	v_dual_mul_f32 v43, v58, v39 :: v_dual_fmac_f32 v42, v45, v36
	ds_load_2addr_b64 v[34:37], v29 offset0:224 offset1:240
	v_dual_fma_f32 v32, v58, v38, -v32 :: v_dual_mul_f32 v44, v58, v41
	v_fmac_f32_e32 v43, v59, v38
	v_dual_add_f32 v20, v20, v42 :: v_dual_mul_f32 v42, v59, v41
	v_dual_add_f32 v30, v30, v32 :: v_dual_mul_f32 v32, v47, v39
	s_delay_alu instid0(VALU_DEP_3) | instskip(SKIP_1) | instid1(VALU_DEP_4)
	v_add_f32_e32 v31, v31, v43
	v_dual_fmac_f32 v44, v59, v40 :: v_dual_mul_f32 v39, v46, v39
	v_fma_f32 v42, v58, v40, -v42
	s_delay_alu instid0(VALU_DEP_4) | instskip(SKIP_1) | instid1(VALU_DEP_3)
	v_fma_f32 v32, v46, v38, -v32
	s_wait_dscnt 0x0
	v_add_f32_e32 v28, v28, v44
	s_barrier_signal -1
	v_dual_add_f32 v26, v26, v42 :: v_dual_mul_f32 v42, v47, v41
	v_dual_fmac_f32 v39, v47, v38 :: v_dual_add_f32 v22, v22, v32
	v_dual_mul_f32 v32, v46, v41 :: v_dual_mul_f32 v41, v61, v35
	s_delay_alu instid0(VALU_DEP_3) | instskip(NEXT) | instid1(VALU_DEP_2)
	v_dual_fma_f32 v38, v46, v40, -v42 :: v_dual_mul_f32 v42, v60, v35
	v_dual_add_f32 v24, v24, v39 :: v_dual_fmac_f32 v32, v47, v40
	s_delay_alu instid0(VALU_DEP_2) | instskip(NEXT) | instid1(VALU_DEP_3)
	v_dual_mul_f32 v39, v61, v37 :: v_dual_add_f32 v8, v8, v38
	v_dual_fma_f32 v38, v60, v34, -v41 :: v_dual_fmac_f32 v42, v61, v34
	v_mul_f32_e32 v40, v60, v37
	s_delay_alu instid0(VALU_DEP_4) | instskip(SKIP_1) | instid1(VALU_DEP_3)
	v_add_f32_e32 v20, v20, v32
	s_barrier_wait -1
	v_add_f32_e32 v30, v30, v38
	v_dual_add_f32 v32, v31, v42 :: v_dual_fma_f32 v31, v60, v36, -v39
	v_fmac_f32_e32 v40, v61, v36
	v_dual_mul_f32 v38, v49, v35 :: v_dual_mul_f32 v35, v48, v35
	v_dual_mul_f32 v39, v49, v37 :: v_dual_mul_f32 v37, v48, v37
	s_delay_alu instid0(VALU_DEP_2) | instskip(NEXT) | instid1(VALU_DEP_3)
	v_dual_add_f32 v26, v26, v31 :: v_dual_fma_f32 v31, v48, v34, -v38
	v_fmac_f32_e32 v35, v49, v34
	s_delay_alu instid0(VALU_DEP_3) | instskip(NEXT) | instid1(VALU_DEP_3)
	v_dual_fma_f32 v34, v48, v36, -v39 :: v_dual_fmac_f32 v37, v49, v36
	v_dual_add_f32 v28, v28, v40 :: v_dual_add_f32 v22, v22, v31
	s_delay_alu instid0(VALU_DEP_3) | instskip(NEXT) | instid1(VALU_DEP_3)
	v_add_f32_e32 v24, v24, v35
	v_add_f32_e32 v8, v8, v34
	s_delay_alu instid0(VALU_DEP_4)
	v_add_f32_e32 v20, v20, v37
	s_cbranch_scc0 .LBB375_15
.LBB375_9:                              ;   Parent Loop BB375_6 Depth=1
                                        ; =>  This Inner Loop Header: Depth=2
	v_add_nc_u32_e32 v31, s26, v21
	s_delay_alu instid0(VALU_DEP_1) | instskip(SKIP_1) | instid1(SALU_CYCLE_1)
	v_cmp_le_i32_e32 vcc_lo, s23, v31
	s_or_b32 s27, s13, vcc_lo
	s_and_saveexec_b32 s30, s27
	s_delay_alu instid0(SALU_CYCLE_1)
	s_xor_b32 s27, exec_lo, s30
; %bb.10:                               ;   in Loop: Header=BB375_9 Depth=2
	ds_store_b32 v25, v9
; %bb.11:                               ;   in Loop: Header=BB375_9 Depth=2
	s_or_saveexec_b32 s27, s27
	v_dual_mov_b32 v34, 0 :: v_dual_mov_b32 v31, 0
	s_xor_b32 exec_lo, exec_lo, s27
	s_cbranch_execz .LBB375_13
; %bb.12:                               ;   in Loop: Header=BB375_9 Depth=2
	flat_load_b64 v[36:37], v[16:17] offset:-4
	s_wait_loadcnt_dscnt 0x0
	v_xor_b32_e32 v31, 0x80000000, v37
	ds_store_b32 v25, v36
.LBB375_13:                             ;   in Loop: Header=BB375_9 Depth=2
	s_wait_xcnt 0x0
	s_or_b32 exec_lo, exec_lo, s27
	v_add_nc_u32_e32 v35, s26, v23
	ds_store_b32 v25, v31 offset:4
	v_cmp_gt_i32_e32 vcc_lo, s23, v35
	v_mov_b32_e32 v35, 0
	s_and_b32 s30, vcc_lo, s0
	s_delay_alu instid0(SALU_CYCLE_1)
	s_and_saveexec_b32 s27, s30
	s_cbranch_execz .LBB375_8
; %bb.14:                               ;   in Loop: Header=BB375_9 Depth=2
	flat_load_b64 v[34:35], v[18:19]
	s_branch .LBB375_8
.LBB375_15:                             ;   in Loop: Header=BB375_6 Depth=1
	s_wait_loadcnt 0x0
	v_add_nc_u64_e32 v[14:15], s[8:9], v[14:15]
	s_delay_alu instid0(VALU_DEP_1)
	v_lshl_add_u64 v[16:17], v[2:3], 3, v[14:15]
	s_and_saveexec_b32 s26, s19
	s_cbranch_execz .LBB375_20
; %bb.16:                               ;   in Loop: Header=BB375_6 Depth=1
	v_mov_b64_e32 v[18:19], s[4:5]
	v_mov_b64_e32 v[34:35], s[14:15]
	s_and_b32 vcc_lo, exec_lo, s18
	s_mov_b32 s27, -1
	s_delay_alu instid0(VALU_DEP_2) | instskip(NEXT) | instid1(VALU_DEP_1)
	v_pk_mul_f32 v[18:19], v[32:33], v[18:19] op_sel_hi:[0,1]
	v_pk_fma_f32 v[36:37], v[30:31], v[34:35], v[18:19] op_sel_hi:[0,1,1]
	v_pk_fma_f32 v[18:19], v[30:31], v[34:35], v[18:19] neg_lo:[0,0,1] neg_hi:[0,0,1]
	v_lshl_add_u64 v[30:31], v[0:1], 3, v[16:17]
	s_delay_alu instid0(VALU_DEP_3)
	v_mov_b32_e32 v19, v37
	s_cbranch_vccz .LBB375_18
; %bb.17:                               ;   in Loop: Header=BB375_6 Depth=1
	flat_load_b64 v[34:35], v[30:31]
	v_mov_b64_e32 v[36:37], s[20:21]
	v_mov_b64_e32 v[38:39], s[2:3]
	s_mov_b32 s27, 0
	s_wait_loadcnt_dscnt 0x0
	s_delay_alu instid0(VALU_DEP_2) | instskip(NEXT) | instid1(VALU_DEP_1)
	v_pk_mul_f32 v[36:37], v[34:35], v[36:37]
	v_pk_fma_f32 v[40:41], v[34:35], v[38:39], v[36:37] op_sel:[0,0,1] op_sel_hi:[1,1,0]
	v_pk_fma_f32 v[34:35], v[34:35], v[38:39], v[36:37] op_sel:[0,0,1] op_sel_hi:[1,1,0] neg_lo:[0,0,1] neg_hi:[0,0,1]
	s_delay_alu instid0(VALU_DEP_2) | instskip(NEXT) | instid1(VALU_DEP_1)
	v_mov_b32_e32 v35, v41
	v_pk_add_f32 v[34:35], v[18:19], v[34:35]
	flat_store_b64 v[30:31], v[34:35]
.LBB375_18:                             ;   in Loop: Header=BB375_6 Depth=1
	s_and_not1_b32 vcc_lo, exec_lo, s27
	s_cbranch_vccnz .LBB375_20
; %bb.19:                               ;   in Loop: Header=BB375_6 Depth=1
	flat_store_b64 v[30:31], v[18:19]
.LBB375_20:                             ;   in Loop: Header=BB375_6 Depth=1
	s_wait_xcnt 0x0
	s_or_b32 exec_lo, exec_lo, s26
	s_and_saveexec_b32 s26, s1
	s_cbranch_execz .LBB375_25
; %bb.21:                               ;   in Loop: Header=BB375_6 Depth=1
	v_mov_b64_e32 v[18:19], s[4:5]
	v_mov_b64_e32 v[30:31], s[14:15]
	v_lshl_add_u64 v[16:17], v[4:5], 3, v[16:17]
	s_and_not1_b32 vcc_lo, exec_lo, s18
	s_mov_b32 s27, -1
	s_delay_alu instid0(VALU_DEP_3) | instskip(NEXT) | instid1(VALU_DEP_1)
	v_pk_mul_f32 v[18:19], v[28:29], v[18:19] op_sel_hi:[0,1]
	v_pk_fma_f32 v[34:35], v[26:27], v[30:31], v[18:19] op_sel_hi:[0,1,1]
	v_pk_fma_f32 v[18:19], v[26:27], v[30:31], v[18:19] neg_lo:[0,0,1] neg_hi:[0,0,1]
	s_delay_alu instid0(VALU_DEP_2)
	v_mov_b32_e32 v19, v35
	s_cbranch_vccnz .LBB375_23
; %bb.22:                               ;   in Loop: Header=BB375_6 Depth=1
	flat_load_b64 v[30:31], v[16:17]
	v_mov_b64_e32 v[34:35], s[20:21]
	v_mov_b64_e32 v[36:37], s[2:3]
	s_mov_b32 s27, 0
	s_wait_loadcnt_dscnt 0x0
	s_delay_alu instid0(VALU_DEP_2) | instskip(NEXT) | instid1(VALU_DEP_1)
	v_pk_mul_f32 v[34:35], v[30:31], v[34:35]
	v_pk_fma_f32 v[38:39], v[30:31], v[36:37], v[34:35] op_sel:[0,0,1] op_sel_hi:[1,1,0]
	v_pk_fma_f32 v[30:31], v[30:31], v[36:37], v[34:35] op_sel:[0,0,1] op_sel_hi:[1,1,0] neg_lo:[0,0,1] neg_hi:[0,0,1]
	s_delay_alu instid0(VALU_DEP_2) | instskip(NEXT) | instid1(VALU_DEP_1)
	v_mov_b32_e32 v31, v39
	v_pk_add_f32 v[30:31], v[18:19], v[30:31]
	flat_store_b64 v[16:17], v[30:31]
.LBB375_23:                             ;   in Loop: Header=BB375_6 Depth=1
	s_and_not1_b32 vcc_lo, exec_lo, s27
	s_cbranch_vccnz .LBB375_25
; %bb.24:                               ;   in Loop: Header=BB375_6 Depth=1
	flat_store_b64 v[16:17], v[18:19]
.LBB375_25:                             ;   in Loop: Header=BB375_6 Depth=1
	s_wait_xcnt 0x0
	s_or_b32 exec_lo, exec_lo, s26
	v_lshl_add_u64 v[14:15], v[6:7], 3, v[14:15]
	s_and_saveexec_b32 s26, s22
	s_cbranch_execz .LBB375_30
; %bb.26:                               ;   in Loop: Header=BB375_6 Depth=1
	v_mov_b64_e32 v[16:17], s[4:5]
	v_mov_b64_e32 v[18:19], s[14:15]
	s_and_not1_b32 vcc_lo, exec_lo, s18
	s_mov_b32 s27, -1
	s_delay_alu instid0(VALU_DEP_2) | instskip(NEXT) | instid1(VALU_DEP_1)
	v_pk_mul_f32 v[16:17], v[24:25], v[16:17] op_sel_hi:[0,1]
	v_pk_fma_f32 v[30:31], v[22:23], v[18:19], v[16:17] op_sel_hi:[0,1,1]
	v_pk_fma_f32 v[16:17], v[22:23], v[18:19], v[16:17] neg_lo:[0,0,1] neg_hi:[0,0,1]
	v_lshl_add_u64 v[18:19], v[0:1], 3, v[14:15]
	s_delay_alu instid0(VALU_DEP_3)
	v_mov_b32_e32 v17, v31
	s_cbranch_vccnz .LBB375_28
; %bb.27:                               ;   in Loop: Header=BB375_6 Depth=1
	flat_load_b64 v[30:31], v[18:19]
	v_mov_b64_e32 v[34:35], s[20:21]
	v_mov_b64_e32 v[36:37], s[2:3]
	s_mov_b32 s27, 0
	s_wait_loadcnt_dscnt 0x0
	s_delay_alu instid0(VALU_DEP_2) | instskip(NEXT) | instid1(VALU_DEP_1)
	v_pk_mul_f32 v[34:35], v[30:31], v[34:35]
	v_pk_fma_f32 v[38:39], v[30:31], v[36:37], v[34:35] op_sel:[0,0,1] op_sel_hi:[1,1,0]
	v_pk_fma_f32 v[30:31], v[30:31], v[36:37], v[34:35] op_sel:[0,0,1] op_sel_hi:[1,1,0] neg_lo:[0,0,1] neg_hi:[0,0,1]
	s_delay_alu instid0(VALU_DEP_2) | instskip(NEXT) | instid1(VALU_DEP_1)
	v_mov_b32_e32 v31, v39
	v_pk_add_f32 v[30:31], v[16:17], v[30:31]
	flat_store_b64 v[18:19], v[30:31]
.LBB375_28:                             ;   in Loop: Header=BB375_6 Depth=1
	s_and_not1_b32 vcc_lo, exec_lo, s27
	s_cbranch_vccnz .LBB375_30
; %bb.29:                               ;   in Loop: Header=BB375_6 Depth=1
	flat_store_b64 v[18:19], v[16:17]
.LBB375_30:                             ;   in Loop: Header=BB375_6 Depth=1
	s_wait_xcnt 0x0
	s_or_b32 exec_lo, exec_lo, s26
	s_and_saveexec_b32 s26, s29
	s_cbranch_execz .LBB375_5
; %bb.31:                               ;   in Loop: Header=BB375_6 Depth=1
	v_mov_b64_e32 v[16:17], s[4:5]
	v_mov_b64_e32 v[18:19], s[14:15]
	v_lshl_add_u64 v[14:15], v[4:5], 3, v[14:15]
	s_and_not1_b32 vcc_lo, exec_lo, s18
	s_mov_b32 s27, -1
	s_delay_alu instid0(VALU_DEP_3) | instskip(NEXT) | instid1(VALU_DEP_1)
	v_pk_mul_f32 v[16:17], v[20:21], v[16:17] op_sel_hi:[0,1]
	v_pk_fma_f32 v[30:31], v[8:9], v[18:19], v[16:17] op_sel_hi:[0,1,1]
	v_pk_fma_f32 v[16:17], v[8:9], v[18:19], v[16:17] neg_lo:[0,0,1] neg_hi:[0,0,1]
	s_delay_alu instid0(VALU_DEP_2)
	v_mov_b32_e32 v17, v31
	s_cbranch_vccnz .LBB375_33
; %bb.32:                               ;   in Loop: Header=BB375_6 Depth=1
	flat_load_b64 v[18:19], v[14:15]
	v_mov_b64_e32 v[30:31], s[20:21]
	v_mov_b64_e32 v[34:35], s[2:3]
	s_mov_b32 s27, 0
	s_wait_loadcnt_dscnt 0x0
	s_delay_alu instid0(VALU_DEP_2) | instskip(NEXT) | instid1(VALU_DEP_1)
	v_pk_mul_f32 v[30:31], v[18:19], v[30:31]
	v_pk_fma_f32 v[36:37], v[18:19], v[34:35], v[30:31] op_sel:[0,0,1] op_sel_hi:[1,1,0]
	v_pk_fma_f32 v[18:19], v[18:19], v[34:35], v[30:31] op_sel:[0,0,1] op_sel_hi:[1,1,0] neg_lo:[0,0,1] neg_hi:[0,0,1]
	s_delay_alu instid0(VALU_DEP_2) | instskip(NEXT) | instid1(VALU_DEP_1)
	v_mov_b32_e32 v19, v37
	v_pk_add_f32 v[18:19], v[16:17], v[18:19]
	flat_store_b64 v[14:15], v[18:19]
.LBB375_33:                             ;   in Loop: Header=BB375_6 Depth=1
	s_and_not1_b32 vcc_lo, exec_lo, s27
	s_cbranch_vccnz .LBB375_5
; %bb.34:                               ;   in Loop: Header=BB375_6 Depth=1
	flat_store_b64 v[14:15], v[16:17]
	s_branch .LBB375_5
.LBB375_35:
	s_sendmsg sendmsg(MSG_DEALLOC_VGPRS)
	s_endpgm
	.section	.rodata,"a",@progbits
	.p2align	6, 0x0
	.amdhsa_kernel _ZL29rocblas_internal_gemmt_kernelIiLi16ELi32ELi8ELc67ELc78ELc76ELb1ELb0E19rocblas_complex_numIfEPKS1_PKS3_PKPS1_EviT_T9_T10_S9_lSB_S9_lSA_T11_S9_li
		.amdhsa_group_segment_fixed_size 4096
		.amdhsa_private_segment_fixed_size 0
		.amdhsa_kernarg_size 100
		.amdhsa_user_sgpr_count 2
		.amdhsa_user_sgpr_dispatch_ptr 0
		.amdhsa_user_sgpr_queue_ptr 0
		.amdhsa_user_sgpr_kernarg_segment_ptr 1
		.amdhsa_user_sgpr_dispatch_id 0
		.amdhsa_user_sgpr_kernarg_preload_length 0
		.amdhsa_user_sgpr_kernarg_preload_offset 0
		.amdhsa_user_sgpr_private_segment_size 0
		.amdhsa_wavefront_size32 1
		.amdhsa_uses_dynamic_stack 0
		.amdhsa_enable_private_segment 0
		.amdhsa_system_sgpr_workgroup_id_x 1
		.amdhsa_system_sgpr_workgroup_id_y 1
		.amdhsa_system_sgpr_workgroup_id_z 1
		.amdhsa_system_sgpr_workgroup_info 0
		.amdhsa_system_vgpr_workitem_id 1
		.amdhsa_next_free_vgpr 72
		.amdhsa_next_free_sgpr 35
		.amdhsa_named_barrier_count 0
		.amdhsa_reserve_vcc 1
		.amdhsa_float_round_mode_32 0
		.amdhsa_float_round_mode_16_64 0
		.amdhsa_float_denorm_mode_32 3
		.amdhsa_float_denorm_mode_16_64 3
		.amdhsa_fp16_overflow 0
		.amdhsa_memory_ordered 1
		.amdhsa_forward_progress 1
		.amdhsa_inst_pref_size 26
		.amdhsa_round_robin_scheduling 0
		.amdhsa_exception_fp_ieee_invalid_op 0
		.amdhsa_exception_fp_denorm_src 0
		.amdhsa_exception_fp_ieee_div_zero 0
		.amdhsa_exception_fp_ieee_overflow 0
		.amdhsa_exception_fp_ieee_underflow 0
		.amdhsa_exception_fp_ieee_inexact 0
		.amdhsa_exception_int_div_zero 0
	.end_amdhsa_kernel
	.section	.text._ZL29rocblas_internal_gemmt_kernelIiLi16ELi32ELi8ELc67ELc78ELc76ELb1ELb0E19rocblas_complex_numIfEPKS1_PKS3_PKPS1_EviT_T9_T10_S9_lSB_S9_lSA_T11_S9_li,"axG",@progbits,_ZL29rocblas_internal_gemmt_kernelIiLi16ELi32ELi8ELc67ELc78ELc76ELb1ELb0E19rocblas_complex_numIfEPKS1_PKS3_PKPS1_EviT_T9_T10_S9_lSB_S9_lSA_T11_S9_li,comdat
.Lfunc_end375:
	.size	_ZL29rocblas_internal_gemmt_kernelIiLi16ELi32ELi8ELc67ELc78ELc76ELb1ELb0E19rocblas_complex_numIfEPKS1_PKS3_PKPS1_EviT_T9_T10_S9_lSB_S9_lSA_T11_S9_li, .Lfunc_end375-_ZL29rocblas_internal_gemmt_kernelIiLi16ELi32ELi8ELc67ELc78ELc76ELb1ELb0E19rocblas_complex_numIfEPKS1_PKS3_PKPS1_EviT_T9_T10_S9_lSB_S9_lSA_T11_S9_li
                                        ; -- End function
	.set _ZL29rocblas_internal_gemmt_kernelIiLi16ELi32ELi8ELc67ELc78ELc76ELb1ELb0E19rocblas_complex_numIfEPKS1_PKS3_PKPS1_EviT_T9_T10_S9_lSB_S9_lSA_T11_S9_li.num_vgpr, 72
	.set _ZL29rocblas_internal_gemmt_kernelIiLi16ELi32ELi8ELc67ELc78ELc76ELb1ELb0E19rocblas_complex_numIfEPKS1_PKS3_PKPS1_EviT_T9_T10_S9_lSB_S9_lSA_T11_S9_li.num_agpr, 0
	.set _ZL29rocblas_internal_gemmt_kernelIiLi16ELi32ELi8ELc67ELc78ELc76ELb1ELb0E19rocblas_complex_numIfEPKS1_PKS3_PKPS1_EviT_T9_T10_S9_lSB_S9_lSA_T11_S9_li.numbered_sgpr, 35
	.set _ZL29rocblas_internal_gemmt_kernelIiLi16ELi32ELi8ELc67ELc78ELc76ELb1ELb0E19rocblas_complex_numIfEPKS1_PKS3_PKPS1_EviT_T9_T10_S9_lSB_S9_lSA_T11_S9_li.num_named_barrier, 0
	.set _ZL29rocblas_internal_gemmt_kernelIiLi16ELi32ELi8ELc67ELc78ELc76ELb1ELb0E19rocblas_complex_numIfEPKS1_PKS3_PKPS1_EviT_T9_T10_S9_lSB_S9_lSA_T11_S9_li.private_seg_size, 0
	.set _ZL29rocblas_internal_gemmt_kernelIiLi16ELi32ELi8ELc67ELc78ELc76ELb1ELb0E19rocblas_complex_numIfEPKS1_PKS3_PKPS1_EviT_T9_T10_S9_lSB_S9_lSA_T11_S9_li.uses_vcc, 1
	.set _ZL29rocblas_internal_gemmt_kernelIiLi16ELi32ELi8ELc67ELc78ELc76ELb1ELb0E19rocblas_complex_numIfEPKS1_PKS3_PKPS1_EviT_T9_T10_S9_lSB_S9_lSA_T11_S9_li.uses_flat_scratch, 0
	.set _ZL29rocblas_internal_gemmt_kernelIiLi16ELi32ELi8ELc67ELc78ELc76ELb1ELb0E19rocblas_complex_numIfEPKS1_PKS3_PKPS1_EviT_T9_T10_S9_lSB_S9_lSA_T11_S9_li.has_dyn_sized_stack, 0
	.set _ZL29rocblas_internal_gemmt_kernelIiLi16ELi32ELi8ELc67ELc78ELc76ELb1ELb0E19rocblas_complex_numIfEPKS1_PKS3_PKPS1_EviT_T9_T10_S9_lSB_S9_lSA_T11_S9_li.has_recursion, 0
	.set _ZL29rocblas_internal_gemmt_kernelIiLi16ELi32ELi8ELc67ELc78ELc76ELb1ELb0E19rocblas_complex_numIfEPKS1_PKS3_PKPS1_EviT_T9_T10_S9_lSB_S9_lSA_T11_S9_li.has_indirect_call, 0
	.section	.AMDGPU.csdata,"",@progbits
; Kernel info:
; codeLenInByte = 3300
; TotalNumSgprs: 37
; NumVgprs: 72
; ScratchSize: 0
; MemoryBound: 0
; FloatMode: 240
; IeeeMode: 1
; LDSByteSize: 4096 bytes/workgroup (compile time only)
; SGPRBlocks: 0
; VGPRBlocks: 4
; NumSGPRsForWavesPerEU: 37
; NumVGPRsForWavesPerEU: 72
; NamedBarCnt: 0
; Occupancy: 12
; WaveLimiterHint : 1
; COMPUTE_PGM_RSRC2:SCRATCH_EN: 0
; COMPUTE_PGM_RSRC2:USER_SGPR: 2
; COMPUTE_PGM_RSRC2:TRAP_HANDLER: 0
; COMPUTE_PGM_RSRC2:TGID_X_EN: 1
; COMPUTE_PGM_RSRC2:TGID_Y_EN: 1
; COMPUTE_PGM_RSRC2:TGID_Z_EN: 1
; COMPUTE_PGM_RSRC2:TIDIG_COMP_CNT: 1
	.section	.text._ZL29rocblas_internal_gemmt_kernelIiLi16ELi32ELi8ELc67ELc84ELc76ELb1ELb0E19rocblas_complex_numIfEPKS1_PKS3_PKPS1_EviT_T9_T10_S9_lSB_S9_lSA_T11_S9_li,"axG",@progbits,_ZL29rocblas_internal_gemmt_kernelIiLi16ELi32ELi8ELc67ELc84ELc76ELb1ELb0E19rocblas_complex_numIfEPKS1_PKS3_PKPS1_EviT_T9_T10_S9_lSB_S9_lSA_T11_S9_li,comdat
	.globl	_ZL29rocblas_internal_gemmt_kernelIiLi16ELi32ELi8ELc67ELc84ELc76ELb1ELb0E19rocblas_complex_numIfEPKS1_PKS3_PKPS1_EviT_T9_T10_S9_lSB_S9_lSA_T11_S9_li ; -- Begin function _ZL29rocblas_internal_gemmt_kernelIiLi16ELi32ELi8ELc67ELc84ELc76ELb1ELb0E19rocblas_complex_numIfEPKS1_PKS3_PKPS1_EviT_T9_T10_S9_lSB_S9_lSA_T11_S9_li
	.p2align	8
	.type	_ZL29rocblas_internal_gemmt_kernelIiLi16ELi32ELi8ELc67ELc84ELc76ELb1ELb0E19rocblas_complex_numIfEPKS1_PKS3_PKPS1_EviT_T9_T10_S9_lSB_S9_lSA_T11_S9_li,@function
_ZL29rocblas_internal_gemmt_kernelIiLi16ELi32ELi8ELc67ELc84ELc76ELb1ELb0E19rocblas_complex_numIfEPKS1_PKS3_PKPS1_EviT_T9_T10_S9_lSB_S9_lSA_T11_S9_li: ; @_ZL29rocblas_internal_gemmt_kernelIiLi16ELi32ELi8ELc67ELc84ELc76ELb1ELb0E19rocblas_complex_numIfEPKS1_PKS3_PKPS1_EviT_T9_T10_S9_lSB_S9_lSA_T11_S9_li
; %bb.0:
	s_load_b128 s[12:15], s[0:1], 0x38
	s_wait_kmcnt 0x0
	s_load_b64 s[20:21], s[14:15], 0x0
	s_clause 0x1
	s_load_b128 s[4:7], s[0:1], 0x8
	s_load_b64 s[22:23], s[0:1], 0x0
	s_wait_kmcnt 0x0
	s_cmp_neq_f32 s20, 1.0
	s_load_b64 s[14:15], s[4:5], 0x0
	s_cselect_b32 s2, -1, 0
	s_and_b32 s3, s21, 0x7fffffff
	s_delay_alu instid0(SALU_CYCLE_1) | instskip(SKIP_3) | instid1(SALU_CYCLE_1)
	s_cmp_eq_u32 s3, 0
	s_cselect_b32 s30, -1, 0
	s_cmp_lg_u32 s3, 0
	s_cselect_b32 s3, -1, 0
	s_or_b32 s2, s2, s3
	s_delay_alu instid0(SALU_CYCLE_1)
	s_and_b32 vcc_lo, exec_lo, s2
	s_cbranch_vccnz .LBB376_2
; %bb.1:
	s_cmp_lg_u32 s23, 0
	s_cselect_b32 s2, -1, 0
	s_wait_kmcnt 0x0
	s_cmp_neq_f32 s14, 0
	s_cselect_b32 s3, -1, 0
	s_cmp_neq_f32 s15, 0
	s_cselect_b32 s4, -1, 0
	s_delay_alu instid0(SALU_CYCLE_1) | instskip(NEXT) | instid1(SALU_CYCLE_1)
	s_or_b32 s3, s3, s4
	s_and_b32 s2, s2, s3
.LBB376_2:
	s_delay_alu instid0(SALU_CYCLE_1)
	s_and_not1_b32 vcc_lo, exec_lo, s2
	s_cbranch_vccnz .LBB376_35
; %bb.3:
	s_load_b32 s19, s[0:1], 0x60
	s_bfe_u32 s2, ttmp6, 0x40014
	s_lshr_b32 s3, ttmp7, 16
	s_add_co_i32 s2, s2, 1
	s_wait_xcnt 0x0
	s_bfe_u32 s5, ttmp6, 0x40008
	s_mul_i32 s2, s3, s2
	s_getreg_b32 s4, hwreg(HW_REG_IB_STS2, 6, 4)
	s_add_co_i32 s5, s5, s2
	s_cmp_eq_u32 s4, 0
	s_mov_b32 s25, 0
	s_cselect_b32 s24, s3, s5
	s_wait_kmcnt 0x0
	s_cmp_ge_u32 s24, s19
	s_cbranch_scc1 .LBB376_35
; %bb.4:
	s_clause 0x3
	s_load_b32 s2, s[0:1], 0x18
	s_load_b32 s26, s[0:1], 0x30
	s_load_b96 s[16:18], s[0:1], 0x48
	s_load_b128 s[8:11], s[0:1], 0x20
	v_and_b32_e32 v2, 0x3ff, v0
	v_bfe_u32 v7, v0, 10, 10
	s_load_b64 s[28:29], s[0:1], 0x58
	s_wait_xcnt 0x0
	s_bfe_u32 s1, ttmp6, 0x4000c
	s_bfe_u32 s3, ttmp6, 0x40010
	s_and_b32 s31, ttmp7, 0xffff
	s_add_co_i32 s1, s1, 1
	s_add_co_i32 s3, s3, 1
	v_lshl_add_u32 v1, v7, 4, v2
	s_and_b32 s0, ttmp6, 15
	s_bfe_u32 s5, ttmp6, 0x40004
	s_mul_i32 s1, ttmp9, s1
	s_mul_i32 s3, s31, s3
	s_add_co_i32 s0, s0, s1
	s_add_co_i32 s1, s5, s3
	v_dual_lshrrev_b32 v23, 5, v1 :: v_dual_lshrrev_b32 v3, 3, v1
	s_wait_kmcnt 0x0
	s_ashr_i32 s3, s2, 31
	s_ashr_i32 s27, s26, 31
	;; [unrolled: 1-line block ×3, first 2 shown]
	s_cmp_eq_u32 s4, 0
	s_mov_b32 s4, s18
	s_cselect_b32 s1, s31, s1
	s_cselect_b32 s0, ttmp9, s0
	s_lshl_b32 s1, s1, 5
	s_delay_alu instid0(SALU_CYCLE_1)
	v_dual_add_nc_u32 v14, s1, v3 :: v_dual_bitop2_b32 v1, 31, v1 bitop3:0x40
	v_and_b32_e32 v0, 7, v0
	s_lshl_b32 s31, s0, 5
	s_delay_alu instid0(VALU_DEP_2) | instid1(SALU_CYCLE_1)
	v_dual_lshlrev_b32 v29, 3, v2 :: v_dual_bitop2_b32 v4, s31, v1 bitop3:0x54
	s_delay_alu instid0(VALU_DEP_2) | instskip(SKIP_1) | instid1(VALU_DEP_2)
	v_dual_lshlrev_b32 v1, 3, v1 :: v_dual_lshlrev_b32 v6, 3, v0
	s_cmp_neq_f32 s14, 0
	v_dual_add_nc_u32 v16, s1, v7 :: v_dual_ashrrev_i32 v5, 31, v4
	s_delay_alu instid0(VALU_DEP_2) | instskip(NEXT) | instid1(VALU_DEP_3)
	v_lshl_or_b32 v25, v23, 8, v1
	v_lshl_or_b32 v6, v3, 6, v6
	v_mov_b32_e32 v3, 0
	v_cmp_gt_i32_e32 vcc_lo, s22, v4
	v_mul_u64_e32 v[12:13], s[2:3], v[4:5]
	v_dual_ashrrev_i32 v15, 31, v14 :: v_dual_add_nc_u32 v20, 16, v16
	s_delay_alu instid0(VALU_DEP_4) | instskip(SKIP_2) | instid1(VALU_DEP_3)
	v_dual_mov_b32 v1, v3 :: v_dual_add_nc_u32 v4, s31, v2
	v_add_nc_u32_e32 v27, 0x800, v6
	v_dual_ashrrev_i32 v17, 31, v16 :: v_dual_lshlrev_b32 v2, 3, v23
	v_mul_u64_e32 v[18:19], s[26:27], v[0:1]
	s_delay_alu instid0(VALU_DEP_4)
	v_dual_add_nc_u32 v6, 16, v4 :: v_dual_ashrrev_i32 v5, 31, v4
	v_ashrrev_i32_e32 v21, 31, v20
	s_cselect_b32 s0, -1, 0
	s_cmp_neq_f32 s15, 0
	v_mul_u64_e32 v[8:9], s[4:5], v[16:17]
	v_lshl_add_u32 v1, v7, 6, 0x800
	v_ashrrev_i32_e32 v7, 31, v6
	v_mul_u64_e32 v[10:11], s[4:5], v[20:21]
	s_cselect_b32 s18, -1, 0
	v_cmp_le_i32_e64 s3, v16, v6
	s_or_b32 s33, s0, s18
	s_cmp_gt_i32 s23, 0
	v_cmp_gt_i32_e64 s4, s22, v6
	s_cselect_b32 s34, -1, 0
	s_cmp_neq_f32 s20, 0
	v_cmp_le_i32_e64 s1, v16, v4
	v_cmp_gt_i32_e64 s2, s22, v4
	v_cmp_gt_i32_e64 s0, s22, v14
	s_cselect_b32 s18, -1, 0
	s_xor_b32 s30, s30, -1
	s_lshl_b64 s[8:9], s[8:9], 3
	s_or_b32 s18, s18, s30
	s_and_b32 s30, s3, s4
	v_cmp_le_i32_e64 s3, v20, v6
	v_lshl_add_u64 v[12:13], v[12:13], 3, s[8:9]
	s_and_b32 s22, s1, s2
	v_cmp_le_i32_e64 s1, v20, v4
	s_and_b32 s33, s33, s34
	s_and_b32 s31, s3, s4
	v_add_nc_u64_e32 v[12:13], v[12:13], v[2:3]
	s_lshl_b64 s[4:5], s[12:13], 3
	s_and_b32 s1, s1, s2
	v_lshl_add_u64 v[16:17], v[18:19], 3, s[4:5]
	s_mov_b32 s2, s20
	s_mov_b32 s3, s20
	;; [unrolled: 1-line block ×3, first 2 shown]
	v_or_b32_e32 v12, 4, v12
	v_lshl_add_u64 v[14:15], v[14:15], 3, v[16:17]
	s_mov_b32 s4, s15
	s_mov_b32 s5, s14
	s_lshl_b64 s[8:9], s[26:27], 6
	s_xor_b32 s26, vcc_lo, -1
	s_lshl_b64 s[12:13], s[28:29], 3
	s_branch .LBB376_6
.LBB376_5:                              ;   in Loop: Header=BB376_6 Depth=1
	s_wait_xcnt 0x0
	s_or_b32 exec_lo, exec_lo, s27
	s_add_co_i32 s24, s24, 0x10000
	s_delay_alu instid0(SALU_CYCLE_1)
	s_cmp_lt_u32 s24, s19
	s_cbranch_scc0 .LBB376_35
.LBB376_6:                              ; =>This Loop Header: Depth=1
                                        ;     Child Loop BB376_9 Depth 2
	v_dual_mov_b32 v2, s24 :: v_dual_mov_b32 v32, 0
	v_dual_mov_b32 v34, 0 :: v_dual_mov_b32 v28, 0
	;; [unrolled: 1-line block ×3, first 2 shown]
	global_load_b64 v[16:17], v2, s[16:17] scale_offset
	s_wait_xcnt 0x0
	v_dual_mov_b32 v26, 0 :: v_dual_mov_b32 v2, 0
	v_mov_b32_e32 v22, 0
	s_and_not1_b32 vcc_lo, exec_lo, s33
	s_cbranch_vccnz .LBB376_15
; %bb.7:                                ;   in Loop: Header=BB376_6 Depth=1
	s_lshl_b64 s[28:29], s[24:25], 3
	v_dual_mov_b32 v22, 0 :: v_dual_mov_b32 v2, 0
	s_add_nc_u64 s[34:35], s[6:7], s[28:29]
	s_add_nc_u64 s[28:29], s[10:11], s[28:29]
	s_clause 0x1
	global_load_b64 v[18:19], v3, s[34:35]
	global_load_b64 v[20:21], v3, s[28:29]
	v_dual_mov_b32 v26, 0 :: v_dual_mov_b32 v24, 0
	v_dual_mov_b32 v30, 0 :: v_dual_mov_b32 v28, 0
	;; [unrolled: 1-line block ×3, first 2 shown]
	s_mov_b32 s27, 0
	s_wait_loadcnt 0x1
	v_add_nc_u64_e32 v[18:19], v[18:19], v[12:13]
	s_wait_loadcnt 0x0
	v_add_nc_u64_e32 v[20:21], v[20:21], v[14:15]
	s_branch .LBB376_9
.LBB376_8:                              ;   in Loop: Header=BB376_9 Depth=2
	s_wait_xcnt 0x0
	s_or_b32 exec_lo, exec_lo, s28
	s_wait_loadcnt_dscnt 0x0
	ds_store_b64 v27, v[36:37]
	s_wait_dscnt 0x0
	s_barrier_signal -1
	s_barrier_wait -1
	ds_load_b128 v[36:39], v1
	ds_load_2addr_b64 v[40:43], v29 offset1:16
	ds_load_b128 v[44:47], v1 offset:1024
	ds_load_b128 v[48:51], v1 offset:16
	ds_load_2addr_b64 v[52:55], v29 offset0:32 offset1:48
	ds_load_b128 v[56:59], v1 offset:32
	ds_load_b128 v[60:63], v1 offset:48
	;; [unrolled: 1-line block ×3, first 2 shown]
	v_add_nc_u64_e32 v[18:19], 64, v[18:19]
	v_add_nc_u64_e32 v[20:21], s[8:9], v[20:21]
	s_add_co_i32 s27, s27, 8
	s_delay_alu instid0(SALU_CYCLE_1)
	s_cmp_lt_i32 s27, s23
	s_wait_dscnt 0x6
	v_dual_mul_f32 v31, v37, v41 :: v_dual_mul_f32 v33, v36, v41
	v_dual_mul_f32 v35, v37, v43 :: v_dual_mul_f32 v68, v36, v43
	s_wait_dscnt 0x5
	v_dual_mul_f32 v69, v45, v41 :: v_dual_mul_f32 v41, v44, v41
	v_dual_mul_f32 v70, v45, v43 :: v_dual_mul_f32 v43, v44, v43
	v_dual_fma_f32 v31, v36, v40, -v31 :: v_dual_fmac_f32 v33, v37, v40
	v_dual_fma_f32 v35, v36, v42, -v35 :: v_dual_fmac_f32 v68, v37, v42
	s_delay_alu instid0(VALU_DEP_3) | instskip(NEXT) | instid1(VALU_DEP_3)
	v_dual_fma_f32 v36, v44, v40, -v69 :: v_dual_fma_f32 v37, v44, v42, -v70
	v_dual_fmac_f32 v41, v45, v40 :: v_dual_add_f32 v40, v32, v31
	s_delay_alu instid0(VALU_DEP_3) | instskip(NEXT) | instid1(VALU_DEP_4)
	v_dual_add_f32 v34, v34, v33 :: v_dual_add_f32 v28, v28, v35
	v_add_f32_e32 v35, v30, v68
	s_delay_alu instid0(VALU_DEP_3)
	v_dual_add_f32 v24, v24, v36 :: v_dual_add_f32 v26, v26, v41
	s_wait_dscnt 0x3
	v_mul_f32_e32 v36, v39, v53
	ds_load_2addr_b64 v[30:33], v29 offset0:64 offset1:80
	v_dual_fmac_f32 v43, v45, v42 :: v_dual_add_f32 v2, v2, v37
	v_dual_mul_f32 v37, v38, v53 :: v_dual_fma_f32 v36, v38, v52, -v36
	v_mul_f32_e32 v41, v39, v55
	s_delay_alu instid0(VALU_DEP_2) | instskip(NEXT) | instid1(VALU_DEP_3)
	v_dual_add_f32 v22, v22, v43 :: v_dual_fmac_f32 v37, v39, v52
	v_dual_mul_f32 v42, v38, v55 :: v_dual_add_f32 v40, v40, v36
	s_delay_alu instid0(VALU_DEP_3) | instskip(NEXT) | instid1(VALU_DEP_2)
	v_dual_fma_f32 v36, v38, v54, -v41 :: v_dual_mul_f32 v38, v47, v53
	v_dual_add_f32 v41, v34, v37 :: v_dual_fmac_f32 v42, v39, v54
	s_delay_alu instid0(VALU_DEP_2) | instskip(NEXT) | instid1(VALU_DEP_3)
	v_dual_mul_f32 v34, v46, v53 :: v_dual_add_f32 v28, v28, v36
	v_dual_mul_f32 v37, v47, v55 :: v_dual_fma_f32 v36, v46, v52, -v38
	s_delay_alu instid0(VALU_DEP_3) | instskip(NEXT) | instid1(VALU_DEP_3)
	v_add_f32_e32 v38, v35, v42
	v_dual_fmac_f32 v34, v47, v52 :: v_dual_mul_f32 v39, v46, v55
	s_delay_alu instid0(VALU_DEP_3) | instskip(SKIP_1) | instid1(VALU_DEP_2)
	v_dual_fma_f32 v35, v46, v54, -v37 :: v_dual_add_f32 v24, v24, v36
	s_wait_dscnt 0x0
	v_dual_mul_f32 v36, v49, v31 :: v_dual_add_f32 v26, v26, v34
	s_delay_alu instid0(VALU_DEP_3) | instskip(NEXT) | instid1(VALU_DEP_2)
	v_dual_fmac_f32 v39, v47, v54 :: v_dual_mul_f32 v42, v48, v31
	v_dual_add_f32 v2, v2, v35 :: v_dual_fma_f32 v43, v48, v30, -v36
	v_mul_f32_e32 v44, v49, v33
	ds_load_2addr_b64 v[34:37], v29 offset0:96 offset1:112
	v_dual_fmac_f32 v42, v49, v30 :: v_dual_add_f32 v22, v22, v39
	v_add_f32_e32 v39, v40, v43
	v_dual_fma_f32 v43, v48, v32, -v44 :: v_dual_mul_f32 v40, v48, v33
	s_delay_alu instid0(VALU_DEP_3) | instskip(SKIP_1) | instid1(VALU_DEP_3)
	v_add_f32_e32 v41, v41, v42
	v_dual_mul_f32 v42, v65, v31 :: v_dual_mul_f32 v31, v64, v31
	v_dual_add_f32 v28, v28, v43 :: v_dual_mul_f32 v43, v65, v33
	s_delay_alu instid0(VALU_DEP_2) | instskip(NEXT) | instid1(VALU_DEP_3)
	v_dual_fmac_f32 v40, v49, v32 :: v_dual_fma_f32 v42, v64, v30, -v42
	v_dual_fmac_f32 v31, v65, v30 :: v_dual_mul_f32 v44, v64, v33
	s_delay_alu instid0(VALU_DEP_3) | instskip(NEXT) | instid1(VALU_DEP_3)
	v_fma_f32 v30, v64, v32, -v43
	v_dual_add_f32 v45, v38, v40 :: v_dual_add_f32 v24, v24, v42
	s_delay_alu instid0(VALU_DEP_3) | instskip(SKIP_1) | instid1(VALU_DEP_3)
	v_dual_add_f32 v26, v26, v31 :: v_dual_fmac_f32 v44, v65, v32
	s_wait_dscnt 0x0
	v_dual_mul_f32 v38, v51, v35 :: v_dual_add_f32 v2, v2, v30
	ds_load_2addr_b64 v[30:33], v29 offset0:128 offset1:144
	v_dual_mul_f32 v40, v50, v35 :: v_dual_mul_f32 v42, v51, v37
	v_dual_fma_f32 v38, v50, v34, -v38 :: v_dual_mul_f32 v43, v50, v37
	s_delay_alu instid0(VALU_DEP_2) | instskip(NEXT) | instid1(VALU_DEP_2)
	v_dual_fmac_f32 v40, v51, v34 :: v_dual_add_f32 v22, v22, v44
	v_dual_add_f32 v44, v39, v38 :: v_dual_fma_f32 v42, v50, v36, -v42
	s_delay_alu instid0(VALU_DEP_2) | instskip(NEXT) | instid1(VALU_DEP_4)
	v_dual_mul_f32 v38, v67, v35 :: v_dual_add_f32 v46, v41, v40
	v_dual_fmac_f32 v43, v51, v36 :: v_dual_mul_f32 v35, v66, v35
	s_delay_alu instid0(VALU_DEP_3) | instskip(NEXT) | instid1(VALU_DEP_3)
	v_add_f32_e32 v28, v28, v42
	v_dual_fma_f32 v42, v66, v34, -v38 :: v_dual_mul_f32 v47, v67, v37
	s_delay_alu instid0(VALU_DEP_3)
	v_add_f32_e32 v48, v45, v43
	ds_load_b128 v[38:41], v1 offset:1056
	v_dual_fmac_f32 v35, v67, v34 :: v_dual_mul_f32 v43, v66, v37
	v_dual_fma_f32 v34, v66, v36, -v47 :: v_dual_add_f32 v24, v24, v42
	s_wait_dscnt 0x1
	v_dual_mul_f32 v37, v57, v31 :: v_dual_mul_f32 v47, v56, v31
	s_delay_alu instid0(VALU_DEP_3) | instskip(NEXT) | instid1(VALU_DEP_3)
	v_dual_fmac_f32 v43, v67, v36 :: v_dual_add_f32 v26, v26, v35
	v_add_f32_e32 v2, v2, v34
	s_delay_alu instid0(VALU_DEP_3) | instskip(SKIP_4) | instid1(VALU_DEP_3)
	v_fma_f32 v42, v56, v30, -v37
	ds_load_2addr_b64 v[34:37], v29 offset0:160 offset1:176
	v_dual_mul_f32 v45, v57, v33 :: v_dual_add_f32 v22, v22, v43
	v_dual_fmac_f32 v47, v57, v30 :: v_dual_mul_f32 v50, v56, v33
	v_add_f32_e32 v49, v44, v42
	v_fma_f32 v51, v56, v32, -v45
	ds_load_b128 v[42:45], v1 offset:1072
	v_add_f32_e32 v46, v46, v47
	s_wait_dscnt 0x2
	v_dual_mul_f32 v52, v39, v31 :: v_dual_fmac_f32 v50, v57, v32
	v_mul_f32_e32 v31, v38, v31
	v_dual_add_f32 v28, v28, v51 :: v_dual_mul_f32 v51, v39, v33
	s_delay_alu instid0(VALU_DEP_3) | instskip(NEXT) | instid1(VALU_DEP_4)
	v_fma_f32 v47, v38, v30, -v52
	v_add_f32_e32 v48, v48, v50
	s_delay_alu instid0(VALU_DEP_4) | instskip(NEXT) | instid1(VALU_DEP_3)
	v_dual_fmac_f32 v31, v39, v30 :: v_dual_mul_f32 v50, v38, v33
	v_dual_fma_f32 v30, v38, v32, -v51 :: v_dual_add_f32 v24, v24, v47
	s_wait_dscnt 0x1
	v_dual_mul_f32 v33, v59, v35 :: v_dual_mul_f32 v38, v58, v35
	s_delay_alu instid0(VALU_DEP_3) | instskip(NEXT) | instid1(VALU_DEP_3)
	v_dual_add_f32 v26, v26, v31 :: v_dual_fmac_f32 v50, v39, v32
	v_dual_add_f32 v2, v2, v30 :: v_dual_mul_f32 v47, v59, v37
	s_delay_alu instid0(VALU_DEP_3)
	v_dual_fma_f32 v39, v58, v34, -v33 :: v_dual_fmac_f32 v38, v59, v34
	ds_load_2addr_b64 v[30:33], v29 offset0:192 offset1:208
	v_add_f32_e32 v22, v22, v50
	v_dual_fma_f32 v47, v58, v36, -v47 :: v_dual_add_f32 v49, v49, v39
	v_mul_f32_e32 v39, v58, v37
	v_dual_add_f32 v46, v46, v38 :: v_dual_mul_f32 v38, v41, v35
	v_mul_f32_e32 v35, v40, v35
	s_delay_alu instid0(VALU_DEP_4) | instskip(NEXT) | instid1(VALU_DEP_3)
	v_dual_add_f32 v28, v28, v47 :: v_dual_mul_f32 v47, v41, v37
	v_dual_fmac_f32 v39, v59, v36 :: v_dual_fma_f32 v38, v40, v34, -v38
	s_delay_alu instid0(VALU_DEP_1) | instskip(NEXT) | instid1(VALU_DEP_3)
	v_dual_fmac_f32 v35, v41, v34 :: v_dual_add_f32 v34, v48, v39
	v_dual_mul_f32 v48, v40, v37 :: v_dual_fma_f32 v37, v40, v36, -v47
	s_delay_alu instid0(VALU_DEP_2) | instskip(SKIP_2) | instid1(VALU_DEP_3)
	v_dual_add_f32 v24, v24, v38 :: v_dual_add_f32 v26, v26, v35
	s_wait_dscnt 0x0
	v_mul_f32_e32 v35, v61, v31
	v_dual_fmac_f32 v48, v41, v36 :: v_dual_add_f32 v2, v2, v37
	ds_load_2addr_b64 v[36:39], v29 offset0:224 offset1:240
	v_dual_mul_f32 v40, v60, v31 :: v_dual_fma_f32 v35, v60, v30, -v35
	v_dual_add_f32 v22, v22, v48 :: v_dual_mul_f32 v41, v61, v33
	s_delay_alu instid0(VALU_DEP_2) | instskip(NEXT) | instid1(VALU_DEP_3)
	v_dual_mul_f32 v47, v60, v33 :: v_dual_fmac_f32 v40, v61, v30
	v_add_f32_e32 v35, v49, v35
	s_delay_alu instid0(VALU_DEP_3) | instskip(NEXT) | instid1(VALU_DEP_3)
	v_dual_mul_f32 v48, v43, v31 :: v_dual_fma_f32 v41, v60, v32, -v41
	v_dual_fmac_f32 v47, v61, v32 :: v_dual_mul_f32 v31, v42, v31
	s_delay_alu instid0(VALU_DEP_4) | instskip(NEXT) | instid1(VALU_DEP_3)
	v_add_f32_e32 v40, v46, v40
	v_dual_fma_f32 v46, v42, v30, -v48 :: v_dual_add_f32 v28, v28, v41
	s_delay_alu instid0(VALU_DEP_3) | instskip(NEXT) | instid1(VALU_DEP_4)
	v_dual_mul_f32 v41, v43, v33 :: v_dual_add_f32 v47, v34, v47
	v_dual_fmac_f32 v31, v43, v30 :: v_dual_mul_f32 v30, v42, v33
	s_delay_alu instid0(VALU_DEP_2) | instskip(SKIP_2) | instid1(VALU_DEP_3)
	v_dual_add_f32 v24, v24, v46 :: v_dual_fma_f32 v33, v42, v32, -v41
	s_wait_dscnt 0x0
	v_dual_mul_f32 v34, v63, v37 :: v_dual_mul_f32 v41, v62, v37
	v_dual_add_f32 v26, v26, v31 :: v_dual_fmac_f32 v30, v43, v32
	s_delay_alu instid0(VALU_DEP_3) | instskip(NEXT) | instid1(VALU_DEP_3)
	v_add_f32_e32 v2, v2, v33
	v_dual_fma_f32 v31, v62, v36, -v34 :: v_dual_mul_f32 v33, v63, v39
	s_delay_alu instid0(VALU_DEP_4) | instskip(NEXT) | instid1(VALU_DEP_2)
	v_dual_fmac_f32 v41, v63, v36 :: v_dual_mul_f32 v42, v62, v39
	v_dual_add_f32 v22, v22, v30 :: v_dual_add_f32 v32, v35, v31
	v_mul_f32_e32 v31, v45, v37
	s_delay_alu instid0(VALU_DEP_3) | instskip(NEXT) | instid1(VALU_DEP_4)
	v_dual_add_f32 v34, v40, v41 :: v_dual_fma_f32 v30, v62, v38, -v33
	v_dual_fmac_f32 v42, v63, v38 :: v_dual_mul_f32 v33, v44, v37
	v_dual_mul_f32 v35, v45, v39 :: v_dual_mul_f32 v37, v44, v39
	s_delay_alu instid0(VALU_DEP_3) | instskip(NEXT) | instid1(VALU_DEP_3)
	v_add_f32_e32 v28, v28, v30
	v_dual_fma_f32 v31, v44, v36, -v31 :: v_dual_fmac_f32 v33, v45, v36
	s_delay_alu instid0(VALU_DEP_3) | instskip(NEXT) | instid1(VALU_DEP_2)
	v_dual_fma_f32 v35, v44, v38, -v35 :: v_dual_fmac_f32 v37, v45, v38
	v_dual_add_f32 v30, v47, v42 :: v_dual_add_f32 v24, v24, v31
	s_delay_alu instid0(VALU_DEP_3) | instskip(NEXT) | instid1(VALU_DEP_3)
	v_add_f32_e32 v26, v26, v33
	v_add_f32_e32 v2, v2, v35
	s_delay_alu instid0(VALU_DEP_4)
	v_add_f32_e32 v22, v22, v37
	s_barrier_signal -1
	s_barrier_wait -1
	s_cbranch_scc0 .LBB376_15
.LBB376_9:                              ;   Parent Loop BB376_6 Depth=1
                                        ; =>  This Inner Loop Header: Depth=2
	v_add_nc_u32_e32 v31, s27, v23
	s_delay_alu instid0(VALU_DEP_1) | instskip(SKIP_2) | instid1(SALU_CYCLE_1)
	v_cmp_le_i32_e32 vcc_lo, s23, v31
	s_wait_xcnt 0x0
	s_or_b32 s28, s26, vcc_lo
	s_and_saveexec_b32 s29, s28
	s_delay_alu instid0(SALU_CYCLE_1)
	s_xor_b32 s28, exec_lo, s29
; %bb.10:                               ;   in Loop: Header=BB376_9 Depth=2
	ds_store_b32 v25, v3
; %bb.11:                               ;   in Loop: Header=BB376_9 Depth=2
	s_or_saveexec_b32 s28, s28
	v_dual_mov_b32 v36, 0 :: v_dual_mov_b32 v31, 0
	s_xor_b32 exec_lo, exec_lo, s28
	s_cbranch_execz .LBB376_13
; %bb.12:                               ;   in Loop: Header=BB376_9 Depth=2
	flat_load_b64 v[38:39], v[18:19] offset:-4
	s_wait_loadcnt_dscnt 0x0
	v_xor_b32_e32 v31, 0x80000000, v39
	ds_store_b32 v25, v38
.LBB376_13:                             ;   in Loop: Header=BB376_9 Depth=2
	s_wait_xcnt 0x0
	s_or_b32 exec_lo, exec_lo, s28
	v_dual_add_nc_u32 v33, s27, v0 :: v_dual_mov_b32 v37, 0
	ds_store_b32 v25, v31 offset:4
	v_cmp_gt_i32_e32 vcc_lo, s23, v33
	s_and_b32 s29, vcc_lo, s0
	s_delay_alu instid0(SALU_CYCLE_1)
	s_and_saveexec_b32 s28, s29
	s_cbranch_execz .LBB376_8
; %bb.14:                               ;   in Loop: Header=BB376_9 Depth=2
	flat_load_b64 v[36:37], v[20:21]
	s_branch .LBB376_8
.LBB376_15:                             ;   in Loop: Header=BB376_6 Depth=1
	s_wait_loadcnt 0x0
	v_add_nc_u64_e32 v[16:17], s[12:13], v[16:17]
	s_delay_alu instid0(VALU_DEP_1)
	v_lshl_add_u64 v[18:19], v[8:9], 3, v[16:17]
	s_and_saveexec_b32 s27, s22
	s_cbranch_execz .LBB376_20
; %bb.16:                               ;   in Loop: Header=BB376_6 Depth=1
	v_mov_b64_e32 v[20:21], s[4:5]
	v_mov_b64_e32 v[36:37], s[14:15]
	s_and_b32 vcc_lo, exec_lo, s18
	s_mov_b32 s28, -1
	s_delay_alu instid0(VALU_DEP_2) | instskip(NEXT) | instid1(VALU_DEP_1)
	v_pk_mul_f32 v[20:21], v[34:35], v[20:21] op_sel_hi:[0,1]
	v_pk_fma_f32 v[34:35], v[32:33], v[36:37], v[20:21] op_sel_hi:[0,1,1]
	v_pk_fma_f32 v[20:21], v[32:33], v[36:37], v[20:21] neg_lo:[0,0,1] neg_hi:[0,0,1]
	v_lshl_add_u64 v[32:33], v[4:5], 3, v[18:19]
	s_delay_alu instid0(VALU_DEP_3)
	v_mov_b32_e32 v21, v35
	s_cbranch_vccz .LBB376_18
; %bb.17:                               ;   in Loop: Header=BB376_6 Depth=1
	flat_load_b64 v[34:35], v[32:33]
	v_mov_b64_e32 v[36:37], s[20:21]
	v_mov_b64_e32 v[38:39], s[2:3]
	s_mov_b32 s28, 0
	s_wait_loadcnt_dscnt 0x0
	s_delay_alu instid0(VALU_DEP_2) | instskip(NEXT) | instid1(VALU_DEP_1)
	v_pk_mul_f32 v[36:37], v[34:35], v[36:37]
	v_pk_fma_f32 v[40:41], v[34:35], v[38:39], v[36:37] op_sel:[0,0,1] op_sel_hi:[1,1,0]
	v_pk_fma_f32 v[34:35], v[34:35], v[38:39], v[36:37] op_sel:[0,0,1] op_sel_hi:[1,1,0] neg_lo:[0,0,1] neg_hi:[0,0,1]
	s_delay_alu instid0(VALU_DEP_2) | instskip(NEXT) | instid1(VALU_DEP_1)
	v_mov_b32_e32 v35, v41
	v_pk_add_f32 v[34:35], v[20:21], v[34:35]
	flat_store_b64 v[32:33], v[34:35]
.LBB376_18:                             ;   in Loop: Header=BB376_6 Depth=1
	s_and_not1_b32 vcc_lo, exec_lo, s28
	s_cbranch_vccnz .LBB376_20
; %bb.19:                               ;   in Loop: Header=BB376_6 Depth=1
	flat_store_b64 v[32:33], v[20:21]
.LBB376_20:                             ;   in Loop: Header=BB376_6 Depth=1
	s_wait_xcnt 0x0
	s_or_b32 exec_lo, exec_lo, s27
	s_and_saveexec_b32 s27, s30
	s_cbranch_execz .LBB376_25
; %bb.21:                               ;   in Loop: Header=BB376_6 Depth=1
	v_mov_b64_e32 v[20:21], s[4:5]
	v_mov_b64_e32 v[32:33], s[14:15]
	v_lshl_add_u64 v[18:19], v[6:7], 3, v[18:19]
	s_and_not1_b32 vcc_lo, exec_lo, s18
	s_mov_b32 s28, -1
	s_delay_alu instid0(VALU_DEP_3) | instskip(NEXT) | instid1(VALU_DEP_1)
	v_pk_mul_f32 v[20:21], v[30:31], v[20:21] op_sel_hi:[0,1]
	v_pk_fma_f32 v[30:31], v[28:29], v[32:33], v[20:21] op_sel_hi:[0,1,1]
	v_pk_fma_f32 v[20:21], v[28:29], v[32:33], v[20:21] neg_lo:[0,0,1] neg_hi:[0,0,1]
	s_delay_alu instid0(VALU_DEP_2)
	v_mov_b32_e32 v21, v31
	s_cbranch_vccnz .LBB376_23
; %bb.22:                               ;   in Loop: Header=BB376_6 Depth=1
	flat_load_b64 v[30:31], v[18:19]
	v_mov_b64_e32 v[32:33], s[20:21]
	v_mov_b64_e32 v[34:35], s[2:3]
	s_mov_b32 s28, 0
	s_wait_loadcnt_dscnt 0x0
	s_delay_alu instid0(VALU_DEP_2) | instskip(NEXT) | instid1(VALU_DEP_1)
	v_pk_mul_f32 v[32:33], v[30:31], v[32:33]
	v_pk_fma_f32 v[36:37], v[30:31], v[34:35], v[32:33] op_sel:[0,0,1] op_sel_hi:[1,1,0]
	v_pk_fma_f32 v[30:31], v[30:31], v[34:35], v[32:33] op_sel:[0,0,1] op_sel_hi:[1,1,0] neg_lo:[0,0,1] neg_hi:[0,0,1]
	s_delay_alu instid0(VALU_DEP_2) | instskip(NEXT) | instid1(VALU_DEP_1)
	v_mov_b32_e32 v31, v37
	v_pk_add_f32 v[30:31], v[20:21], v[30:31]
	flat_store_b64 v[18:19], v[30:31]
.LBB376_23:                             ;   in Loop: Header=BB376_6 Depth=1
	s_and_not1_b32 vcc_lo, exec_lo, s28
	s_cbranch_vccnz .LBB376_25
; %bb.24:                               ;   in Loop: Header=BB376_6 Depth=1
	flat_store_b64 v[18:19], v[20:21]
.LBB376_25:                             ;   in Loop: Header=BB376_6 Depth=1
	s_wait_xcnt 0x0
	s_or_b32 exec_lo, exec_lo, s27
	v_lshl_add_u64 v[16:17], v[10:11], 3, v[16:17]
	s_and_saveexec_b32 s27, s1
	s_cbranch_execz .LBB376_30
; %bb.26:                               ;   in Loop: Header=BB376_6 Depth=1
	v_mov_b64_e32 v[18:19], s[4:5]
	v_mov_b64_e32 v[20:21], s[14:15]
	s_and_not1_b32 vcc_lo, exec_lo, s18
	s_mov_b32 s28, -1
	s_delay_alu instid0(VALU_DEP_2) | instskip(NEXT) | instid1(VALU_DEP_1)
	v_pk_mul_f32 v[18:19], v[26:27], v[18:19] op_sel_hi:[0,1]
	v_pk_fma_f32 v[30:31], v[24:25], v[20:21], v[18:19] op_sel_hi:[0,1,1]
	v_pk_fma_f32 v[18:19], v[24:25], v[20:21], v[18:19] neg_lo:[0,0,1] neg_hi:[0,0,1]
	v_lshl_add_u64 v[20:21], v[4:5], 3, v[16:17]
	s_delay_alu instid0(VALU_DEP_3)
	v_mov_b32_e32 v19, v31
	s_cbranch_vccnz .LBB376_28
; %bb.27:                               ;   in Loop: Header=BB376_6 Depth=1
	flat_load_b64 v[30:31], v[20:21]
	v_mov_b64_e32 v[32:33], s[20:21]
	v_mov_b64_e32 v[34:35], s[2:3]
	s_mov_b32 s28, 0
	s_wait_loadcnt_dscnt 0x0
	s_delay_alu instid0(VALU_DEP_2) | instskip(NEXT) | instid1(VALU_DEP_1)
	v_pk_mul_f32 v[32:33], v[30:31], v[32:33]
	v_pk_fma_f32 v[36:37], v[30:31], v[34:35], v[32:33] op_sel:[0,0,1] op_sel_hi:[1,1,0]
	v_pk_fma_f32 v[30:31], v[30:31], v[34:35], v[32:33] op_sel:[0,0,1] op_sel_hi:[1,1,0] neg_lo:[0,0,1] neg_hi:[0,0,1]
	s_delay_alu instid0(VALU_DEP_2) | instskip(NEXT) | instid1(VALU_DEP_1)
	v_mov_b32_e32 v31, v37
	v_pk_add_f32 v[30:31], v[18:19], v[30:31]
	flat_store_b64 v[20:21], v[30:31]
.LBB376_28:                             ;   in Loop: Header=BB376_6 Depth=1
	s_and_not1_b32 vcc_lo, exec_lo, s28
	s_cbranch_vccnz .LBB376_30
; %bb.29:                               ;   in Loop: Header=BB376_6 Depth=1
	flat_store_b64 v[20:21], v[18:19]
.LBB376_30:                             ;   in Loop: Header=BB376_6 Depth=1
	s_wait_xcnt 0x0
	s_or_b32 exec_lo, exec_lo, s27
	s_and_saveexec_b32 s27, s31
	s_cbranch_execz .LBB376_5
; %bb.31:                               ;   in Loop: Header=BB376_6 Depth=1
	v_mov_b64_e32 v[18:19], s[4:5]
	v_mov_b64_e32 v[20:21], s[14:15]
	v_lshl_add_u64 v[16:17], v[6:7], 3, v[16:17]
	s_and_not1_b32 vcc_lo, exec_lo, s18
	s_mov_b32 s28, -1
	s_delay_alu instid0(VALU_DEP_3) | instskip(NEXT) | instid1(VALU_DEP_1)
	v_pk_mul_f32 v[18:19], v[22:23], v[18:19] op_sel_hi:[0,1]
	v_pk_fma_f32 v[30:31], v[2:3], v[20:21], v[18:19] op_sel_hi:[0,1,1]
	v_pk_fma_f32 v[18:19], v[2:3], v[20:21], v[18:19] neg_lo:[0,0,1] neg_hi:[0,0,1]
	s_delay_alu instid0(VALU_DEP_2)
	v_mov_b32_e32 v19, v31
	s_cbranch_vccnz .LBB376_33
; %bb.32:                               ;   in Loop: Header=BB376_6 Depth=1
	flat_load_b64 v[20:21], v[16:17]
	v_mov_b64_e32 v[30:31], s[20:21]
	v_mov_b64_e32 v[32:33], s[2:3]
	s_mov_b32 s28, 0
	s_wait_loadcnt_dscnt 0x0
	s_delay_alu instid0(VALU_DEP_2) | instskip(NEXT) | instid1(VALU_DEP_1)
	v_pk_mul_f32 v[30:31], v[20:21], v[30:31]
	v_pk_fma_f32 v[34:35], v[20:21], v[32:33], v[30:31] op_sel:[0,0,1] op_sel_hi:[1,1,0]
	v_pk_fma_f32 v[20:21], v[20:21], v[32:33], v[30:31] op_sel:[0,0,1] op_sel_hi:[1,1,0] neg_lo:[0,0,1] neg_hi:[0,0,1]
	s_delay_alu instid0(VALU_DEP_2) | instskip(NEXT) | instid1(VALU_DEP_1)
	v_mov_b32_e32 v21, v35
	v_pk_add_f32 v[20:21], v[18:19], v[20:21]
	flat_store_b64 v[16:17], v[20:21]
.LBB376_33:                             ;   in Loop: Header=BB376_6 Depth=1
	s_and_not1_b32 vcc_lo, exec_lo, s28
	s_cbranch_vccnz .LBB376_5
; %bb.34:                               ;   in Loop: Header=BB376_6 Depth=1
	flat_store_b64 v[16:17], v[18:19]
	s_branch .LBB376_5
.LBB376_35:
	s_sendmsg sendmsg(MSG_DEALLOC_VGPRS)
	s_endpgm
	.section	.rodata,"a",@progbits
	.p2align	6, 0x0
	.amdhsa_kernel _ZL29rocblas_internal_gemmt_kernelIiLi16ELi32ELi8ELc67ELc84ELc76ELb1ELb0E19rocblas_complex_numIfEPKS1_PKS3_PKPS1_EviT_T9_T10_S9_lSB_S9_lSA_T11_S9_li
		.amdhsa_group_segment_fixed_size 4096
		.amdhsa_private_segment_fixed_size 0
		.amdhsa_kernarg_size 100
		.amdhsa_user_sgpr_count 2
		.amdhsa_user_sgpr_dispatch_ptr 0
		.amdhsa_user_sgpr_queue_ptr 0
		.amdhsa_user_sgpr_kernarg_segment_ptr 1
		.amdhsa_user_sgpr_dispatch_id 0
		.amdhsa_user_sgpr_kernarg_preload_length 0
		.amdhsa_user_sgpr_kernarg_preload_offset 0
		.amdhsa_user_sgpr_private_segment_size 0
		.amdhsa_wavefront_size32 1
		.amdhsa_uses_dynamic_stack 0
		.amdhsa_enable_private_segment 0
		.amdhsa_system_sgpr_workgroup_id_x 1
		.amdhsa_system_sgpr_workgroup_id_y 1
		.amdhsa_system_sgpr_workgroup_id_z 1
		.amdhsa_system_sgpr_workgroup_info 0
		.amdhsa_system_vgpr_workitem_id 1
		.amdhsa_next_free_vgpr 71
		.amdhsa_next_free_sgpr 36
		.amdhsa_named_barrier_count 0
		.amdhsa_reserve_vcc 1
		.amdhsa_float_round_mode_32 0
		.amdhsa_float_round_mode_16_64 0
		.amdhsa_float_denorm_mode_32 3
		.amdhsa_float_denorm_mode_16_64 3
		.amdhsa_fp16_overflow 0
		.amdhsa_memory_ordered 1
		.amdhsa_forward_progress 1
		.amdhsa_inst_pref_size 26
		.amdhsa_round_robin_scheduling 0
		.amdhsa_exception_fp_ieee_invalid_op 0
		.amdhsa_exception_fp_denorm_src 0
		.amdhsa_exception_fp_ieee_div_zero 0
		.amdhsa_exception_fp_ieee_overflow 0
		.amdhsa_exception_fp_ieee_underflow 0
		.amdhsa_exception_fp_ieee_inexact 0
		.amdhsa_exception_int_div_zero 0
	.end_amdhsa_kernel
	.section	.text._ZL29rocblas_internal_gemmt_kernelIiLi16ELi32ELi8ELc67ELc84ELc76ELb1ELb0E19rocblas_complex_numIfEPKS1_PKS3_PKPS1_EviT_T9_T10_S9_lSB_S9_lSA_T11_S9_li,"axG",@progbits,_ZL29rocblas_internal_gemmt_kernelIiLi16ELi32ELi8ELc67ELc84ELc76ELb1ELb0E19rocblas_complex_numIfEPKS1_PKS3_PKPS1_EviT_T9_T10_S9_lSB_S9_lSA_T11_S9_li,comdat
.Lfunc_end376:
	.size	_ZL29rocblas_internal_gemmt_kernelIiLi16ELi32ELi8ELc67ELc84ELc76ELb1ELb0E19rocblas_complex_numIfEPKS1_PKS3_PKPS1_EviT_T9_T10_S9_lSB_S9_lSA_T11_S9_li, .Lfunc_end376-_ZL29rocblas_internal_gemmt_kernelIiLi16ELi32ELi8ELc67ELc84ELc76ELb1ELb0E19rocblas_complex_numIfEPKS1_PKS3_PKPS1_EviT_T9_T10_S9_lSB_S9_lSA_T11_S9_li
                                        ; -- End function
	.set _ZL29rocblas_internal_gemmt_kernelIiLi16ELi32ELi8ELc67ELc84ELc76ELb1ELb0E19rocblas_complex_numIfEPKS1_PKS3_PKPS1_EviT_T9_T10_S9_lSB_S9_lSA_T11_S9_li.num_vgpr, 71
	.set _ZL29rocblas_internal_gemmt_kernelIiLi16ELi32ELi8ELc67ELc84ELc76ELb1ELb0E19rocblas_complex_numIfEPKS1_PKS3_PKPS1_EviT_T9_T10_S9_lSB_S9_lSA_T11_S9_li.num_agpr, 0
	.set _ZL29rocblas_internal_gemmt_kernelIiLi16ELi32ELi8ELc67ELc84ELc76ELb1ELb0E19rocblas_complex_numIfEPKS1_PKS3_PKPS1_EviT_T9_T10_S9_lSB_S9_lSA_T11_S9_li.numbered_sgpr, 36
	.set _ZL29rocblas_internal_gemmt_kernelIiLi16ELi32ELi8ELc67ELc84ELc76ELb1ELb0E19rocblas_complex_numIfEPKS1_PKS3_PKPS1_EviT_T9_T10_S9_lSB_S9_lSA_T11_S9_li.num_named_barrier, 0
	.set _ZL29rocblas_internal_gemmt_kernelIiLi16ELi32ELi8ELc67ELc84ELc76ELb1ELb0E19rocblas_complex_numIfEPKS1_PKS3_PKPS1_EviT_T9_T10_S9_lSB_S9_lSA_T11_S9_li.private_seg_size, 0
	.set _ZL29rocblas_internal_gemmt_kernelIiLi16ELi32ELi8ELc67ELc84ELc76ELb1ELb0E19rocblas_complex_numIfEPKS1_PKS3_PKPS1_EviT_T9_T10_S9_lSB_S9_lSA_T11_S9_li.uses_vcc, 1
	.set _ZL29rocblas_internal_gemmt_kernelIiLi16ELi32ELi8ELc67ELc84ELc76ELb1ELb0E19rocblas_complex_numIfEPKS1_PKS3_PKPS1_EviT_T9_T10_S9_lSB_S9_lSA_T11_S9_li.uses_flat_scratch, 0
	.set _ZL29rocblas_internal_gemmt_kernelIiLi16ELi32ELi8ELc67ELc84ELc76ELb1ELb0E19rocblas_complex_numIfEPKS1_PKS3_PKPS1_EviT_T9_T10_S9_lSB_S9_lSA_T11_S9_li.has_dyn_sized_stack, 0
	.set _ZL29rocblas_internal_gemmt_kernelIiLi16ELi32ELi8ELc67ELc84ELc76ELb1ELb0E19rocblas_complex_numIfEPKS1_PKS3_PKPS1_EviT_T9_T10_S9_lSB_S9_lSA_T11_S9_li.has_recursion, 0
	.set _ZL29rocblas_internal_gemmt_kernelIiLi16ELi32ELi8ELc67ELc84ELc76ELb1ELb0E19rocblas_complex_numIfEPKS1_PKS3_PKPS1_EviT_T9_T10_S9_lSB_S9_lSA_T11_S9_li.has_indirect_call, 0
	.section	.AMDGPU.csdata,"",@progbits
; Kernel info:
; codeLenInByte = 3320
; TotalNumSgprs: 38
; NumVgprs: 71
; ScratchSize: 0
; MemoryBound: 0
; FloatMode: 240
; IeeeMode: 1
; LDSByteSize: 4096 bytes/workgroup (compile time only)
; SGPRBlocks: 0
; VGPRBlocks: 4
; NumSGPRsForWavesPerEU: 38
; NumVGPRsForWavesPerEU: 71
; NamedBarCnt: 0
; Occupancy: 12
; WaveLimiterHint : 1
; COMPUTE_PGM_RSRC2:SCRATCH_EN: 0
; COMPUTE_PGM_RSRC2:USER_SGPR: 2
; COMPUTE_PGM_RSRC2:TRAP_HANDLER: 0
; COMPUTE_PGM_RSRC2:TGID_X_EN: 1
; COMPUTE_PGM_RSRC2:TGID_Y_EN: 1
; COMPUTE_PGM_RSRC2:TGID_Z_EN: 1
; COMPUTE_PGM_RSRC2:TIDIG_COMP_CNT: 1
	.section	.text._ZL29rocblas_internal_gemmt_kernelIiLi16ELi32ELi8ELc67ELc67ELc76ELb1ELb1E19rocblas_complex_numIfEPKS1_PKS3_PKPS1_EviT_T9_T10_S9_lSB_S9_lSA_T11_S9_li,"axG",@progbits,_ZL29rocblas_internal_gemmt_kernelIiLi16ELi32ELi8ELc67ELc67ELc76ELb1ELb1E19rocblas_complex_numIfEPKS1_PKS3_PKPS1_EviT_T9_T10_S9_lSB_S9_lSA_T11_S9_li,comdat
	.globl	_ZL29rocblas_internal_gemmt_kernelIiLi16ELi32ELi8ELc67ELc67ELc76ELb1ELb1E19rocblas_complex_numIfEPKS1_PKS3_PKPS1_EviT_T9_T10_S9_lSB_S9_lSA_T11_S9_li ; -- Begin function _ZL29rocblas_internal_gemmt_kernelIiLi16ELi32ELi8ELc67ELc67ELc76ELb1ELb1E19rocblas_complex_numIfEPKS1_PKS3_PKPS1_EviT_T9_T10_S9_lSB_S9_lSA_T11_S9_li
	.p2align	8
	.type	_ZL29rocblas_internal_gemmt_kernelIiLi16ELi32ELi8ELc67ELc67ELc76ELb1ELb1E19rocblas_complex_numIfEPKS1_PKS3_PKPS1_EviT_T9_T10_S9_lSB_S9_lSA_T11_S9_li,@function
_ZL29rocblas_internal_gemmt_kernelIiLi16ELi32ELi8ELc67ELc67ELc76ELb1ELb1E19rocblas_complex_numIfEPKS1_PKS3_PKPS1_EviT_T9_T10_S9_lSB_S9_lSA_T11_S9_li: ; @_ZL29rocblas_internal_gemmt_kernelIiLi16ELi32ELi8ELc67ELc67ELc76ELb1ELb1E19rocblas_complex_numIfEPKS1_PKS3_PKPS1_EviT_T9_T10_S9_lSB_S9_lSA_T11_S9_li
; %bb.0:
	s_load_b128 s[12:15], s[0:1], 0x38
	s_wait_kmcnt 0x0
	s_load_b64 s[20:21], s[14:15], 0x0
	s_clause 0x1
	s_load_b128 s[4:7], s[0:1], 0x8
	s_load_b64 s[22:23], s[0:1], 0x0
	s_wait_kmcnt 0x0
	s_cmp_neq_f32 s20, 1.0
	s_load_b64 s[14:15], s[4:5], 0x0
	s_cselect_b32 s2, -1, 0
	s_and_b32 s3, s21, 0x7fffffff
	s_delay_alu instid0(SALU_CYCLE_1) | instskip(SKIP_3) | instid1(SALU_CYCLE_1)
	s_cmp_eq_u32 s3, 0
	s_cselect_b32 s30, -1, 0
	s_cmp_lg_u32 s3, 0
	s_cselect_b32 s3, -1, 0
	s_or_b32 s2, s2, s3
	s_delay_alu instid0(SALU_CYCLE_1)
	s_and_b32 vcc_lo, exec_lo, s2
	s_cbranch_vccnz .LBB377_2
; %bb.1:
	s_cmp_lg_u32 s23, 0
	s_cselect_b32 s2, -1, 0
	s_wait_kmcnt 0x0
	s_cmp_neq_f32 s14, 0
	s_cselect_b32 s3, -1, 0
	s_cmp_neq_f32 s15, 0
	s_cselect_b32 s4, -1, 0
	s_delay_alu instid0(SALU_CYCLE_1) | instskip(NEXT) | instid1(SALU_CYCLE_1)
	s_or_b32 s3, s3, s4
	s_and_b32 s2, s2, s3
.LBB377_2:
	s_delay_alu instid0(SALU_CYCLE_1)
	s_and_not1_b32 vcc_lo, exec_lo, s2
	s_cbranch_vccnz .LBB377_37
; %bb.3:
	s_load_b32 s19, s[0:1], 0x60
	s_bfe_u32 s2, ttmp6, 0x40014
	s_lshr_b32 s3, ttmp7, 16
	s_add_co_i32 s2, s2, 1
	s_wait_xcnt 0x0
	s_bfe_u32 s5, ttmp6, 0x40008
	s_mul_i32 s2, s3, s2
	s_getreg_b32 s4, hwreg(HW_REG_IB_STS2, 6, 4)
	s_add_co_i32 s5, s5, s2
	s_cmp_eq_u32 s4, 0
	s_mov_b32 s25, 0
	s_cselect_b32 s24, s3, s5
	s_wait_kmcnt 0x0
	s_cmp_ge_u32 s24, s19
	s_cbranch_scc1 .LBB377_37
; %bb.4:
	s_clause 0x4
	s_load_b32 s2, s[0:1], 0x18
	s_load_b32 s26, s[0:1], 0x30
	s_load_b96 s[16:18], s[0:1], 0x48
	s_load_b128 s[8:11], s[0:1], 0x20
	s_load_b64 s[28:29], s[0:1], 0x58
	s_wait_xcnt 0x0
	s_bfe_u32 s1, ttmp6, 0x4000c
	s_bfe_u32 s3, ttmp6, 0x40010
	v_and_b32_e32 v2, 0x3ff, v0
	v_bfe_u32 v6, v0, 10, 10
	s_and_b32 s31, ttmp7, 0xffff
	s_add_co_i32 s1, s1, 1
	s_add_co_i32 s3, s3, 1
	s_and_b32 s0, ttmp6, 15
	s_bfe_u32 s5, ttmp6, 0x40004
	s_mul_i32 s1, ttmp9, s1
	s_mul_i32 s3, s31, s3
	s_add_co_i32 s0, s0, s1
	s_add_co_i32 s1, s5, s3
	v_lshl_add_u32 v1, v6, 4, v2
	v_mov_b32_e32 v3, 0
	s_wait_kmcnt 0x0
	s_ashr_i32 s3, s2, 31
	s_ashr_i32 s27, s26, 31
	;; [unrolled: 1-line block ×3, first 2 shown]
	s_cmp_eq_u32 s4, 0
	v_dual_lshrrev_b32 v23, 5, v1 :: v_dual_lshrrev_b32 v5, 3, v1
	s_cselect_b32 s1, s31, s1
	s_cselect_b32 s0, ttmp9, s0
	s_lshl_b32 s1, s1, 5
	v_and_b32_e32 v1, 31, v1
	v_dual_add_nc_u32 v12, s1, v5 :: v_dual_bitop2_b32 v0, 7, v0 bitop3:0x40
	s_lshl_b32 s31, s0, 5
	s_cmp_neq_f32 s14, 0
	s_delay_alu instid0(VALU_DEP_1) | instskip(SKIP_3) | instid1(VALU_DEP_3)
	v_dual_lshlrev_b32 v7, 3, v0 :: v_dual_bitop2_b32 v4, s31, v1 bitop3:0x54
	v_dual_mov_b32 v1, v3 :: v_dual_lshlrev_b32 v8, 3, v1
	v_add_nc_u32_e32 v16, s1, v6
	s_cselect_b32 s0, -1, 0
	v_lshl_or_b32 v7, v5, 6, v7
	v_ashrrev_i32_e32 v5, 31, v4
	v_mul_u64_e32 v[14:15], s[26:27], v[0:1]
	v_dual_add_nc_u32 v20, 16, v16 :: v_dual_ashrrev_i32 v17, 31, v16
	s_cmp_neq_f32 s15, 0
	s_delay_alu instid0(VALU_DEP_3) | instskip(SKIP_1) | instid1(VALU_DEP_3)
	v_mul_u64_e32 v[18:19], s[2:3], v[4:5]
	v_cmp_gt_i32_e32 vcc_lo, s22, v4
	v_dual_add_nc_u32 v4, s31, v2 :: v_dual_ashrrev_i32 v21, 31, v20
	s_mov_b32 s4, s18
	s_cselect_b32 s18, -1, 0
	v_add_nc_u32_e32 v1, 0x800, v7
	v_lshl_add_u32 v29, v6, 6, 0x800
	v_mul_u64_e32 v[6:7], s[4:5], v[16:17]
	v_mul_u64_e32 v[10:11], s[4:5], v[20:21]
	s_or_b32 s34, s0, s18
	s_cmp_gt_i32 s23, 0
	v_lshl_or_b32 v25, v23, 8, v8
	s_cselect_b32 s35, -1, 0
	s_cmp_neq_f32 s20, 0
	v_dual_add_nc_u32 v8, 16, v4 :: v_dual_ashrrev_i32 v5, 31, v4
	v_dual_ashrrev_i32 v13, 31, v12 :: v_dual_lshlrev_b32 v27, 3, v2
	s_cselect_b32 s3, -1, 0
	s_xor_b32 s18, s30, -1
	s_delay_alu instid0(VALU_DEP_2)
	v_cmp_gt_i32_e64 s4, s22, v8
	s_or_b32 s18, s3, s18
	v_cmp_le_i32_e64 s3, v16, v8
	v_cmp_le_i32_e64 s5, v20, v8
	;; [unrolled: 1-line block ×3, first 2 shown]
	v_cmp_gt_i32_e64 s2, s22, v4
	v_dual_ashrrev_i32 v9, 31, v8 :: v_dual_lshlrev_b32 v2, 3, v23
	s_and_b32 s30, s3, s4
	s_and_b32 s33, s5, s4
	s_lshl_b64 s[4:5], s[12:13], 3
	v_cmp_gt_i32_e64 s0, s22, v12
	v_lshl_add_u64 v[14:15], v[14:15], 3, s[4:5]
	s_lshl_b64 s[4:5], s[8:9], 3
	s_and_b32 s22, s1, s2
	v_lshl_add_u64 v[16:17], v[18:19], 3, s[4:5]
	v_cmp_le_i32_e64 s1, v20, v4
	v_lshl_add_u64 v[12:13], v[12:13], 3, v[14:15]
	s_mov_b32 s3, s20
	s_mov_b32 s4, s15
	v_add_nc_u64_e32 v[14:15], v[16:17], v[2:3]
	s_and_b32 s31, s1, s2
	v_or_b32_e32 v12, 4, v12
	s_mov_b32 s2, s20
	s_mov_b32 s20, s21
	s_mov_b32 s5, s14
	s_lshl_b64 s[8:9], s[26:27], 6
	s_and_b32 s12, s34, s35
	s_xor_b32 s13, vcc_lo, -1
	s_xor_b32 s26, s0, -1
	s_lshl_b64 s[0:1], s[28:29], 3
	s_branch .LBB377_6
.LBB377_5:                              ;   in Loop: Header=BB377_6 Depth=1
	s_wait_xcnt 0x0
	s_or_b32 exec_lo, exec_lo, s27
	s_add_co_i32 s24, s24, 0x10000
	s_delay_alu instid0(SALU_CYCLE_1)
	s_cmp_lt_u32 s24, s19
	s_cbranch_scc0 .LBB377_37
.LBB377_6:                              ; =>This Loop Header: Depth=1
                                        ;     Child Loop BB377_9 Depth 2
	v_dual_mov_b32 v2, s24 :: v_dual_mov_b32 v32, 0
	v_dual_mov_b32 v34, 0 :: v_dual_mov_b32 v28, 0
	v_dual_mov_b32 v30, 0 :: v_dual_mov_b32 v24, 0
	global_load_b64 v[16:17], v2, s[16:17] scale_offset
	s_wait_xcnt 0x0
	v_dual_mov_b32 v26, 0 :: v_dual_mov_b32 v2, 0
	v_mov_b32_e32 v22, 0
	s_and_not1_b32 vcc_lo, exec_lo, s12
	s_cbranch_vccnz .LBB377_17
; %bb.7:                                ;   in Loop: Header=BB377_6 Depth=1
	s_lshl_b64 s[28:29], s[24:25], 3
	v_dual_mov_b32 v22, 0 :: v_dual_mov_b32 v2, 0
	s_add_nc_u64 s[34:35], s[6:7], s[28:29]
	s_add_nc_u64 s[28:29], s[10:11], s[28:29]
	s_clause 0x1
	global_load_b64 v[18:19], v3, s[34:35]
	global_load_b64 v[20:21], v3, s[28:29]
	v_dual_mov_b32 v26, 0 :: v_dual_mov_b32 v24, 0
	v_dual_mov_b32 v30, 0 :: v_dual_mov_b32 v28, 0
	;; [unrolled: 1-line block ×3, first 2 shown]
	s_mov_b32 s27, 0
	s_wait_loadcnt 0x1
	v_add_nc_u64_e32 v[18:19], v[18:19], v[14:15]
	s_wait_loadcnt 0x0
	v_add_nc_u64_e32 v[20:21], v[20:21], v[12:13]
	s_branch .LBB377_9
.LBB377_8:                              ;   in Loop: Header=BB377_9 Depth=2
	s_wait_xcnt 0x0
	s_or_b32 exec_lo, exec_lo, s28
	ds_store_b32 v1, v31 offset:4
	s_wait_dscnt 0x0
	s_barrier_signal -1
	s_barrier_wait -1
	ds_load_b128 v[36:39], v29
	ds_load_2addr_b64 v[40:43], v27 offset1:16
	ds_load_b128 v[44:47], v29 offset:1024
	ds_load_b128 v[48:51], v29 offset:16
	ds_load_2addr_b64 v[52:55], v27 offset0:32 offset1:48
	ds_load_b128 v[56:59], v29 offset:32
	ds_load_b128 v[60:63], v29 offset:48
	;; [unrolled: 1-line block ×3, first 2 shown]
	v_add_nc_u64_e32 v[18:19], 64, v[18:19]
	v_add_nc_u64_e32 v[20:21], s[8:9], v[20:21]
	s_add_co_i32 s27, s27, 8
	s_delay_alu instid0(SALU_CYCLE_1)
	s_cmp_lt_i32 s27, s23
	s_wait_dscnt 0x6
	v_dual_mul_f32 v31, v37, v41 :: v_dual_mul_f32 v33, v36, v41
	v_dual_mul_f32 v35, v37, v43 :: v_dual_mul_f32 v68, v36, v43
	s_wait_dscnt 0x5
	v_dual_mul_f32 v69, v45, v41 :: v_dual_mul_f32 v41, v44, v41
	v_dual_mul_f32 v70, v45, v43 :: v_dual_mul_f32 v43, v44, v43
	v_dual_fma_f32 v31, v36, v40, -v31 :: v_dual_fmac_f32 v33, v37, v40
	v_dual_fma_f32 v35, v36, v42, -v35 :: v_dual_fmac_f32 v68, v37, v42
	s_delay_alu instid0(VALU_DEP_3) | instskip(NEXT) | instid1(VALU_DEP_3)
	v_dual_fma_f32 v36, v44, v40, -v69 :: v_dual_fma_f32 v37, v44, v42, -v70
	v_dual_fmac_f32 v41, v45, v40 :: v_dual_add_f32 v40, v32, v31
	s_delay_alu instid0(VALU_DEP_3) | instskip(NEXT) | instid1(VALU_DEP_4)
	v_dual_add_f32 v34, v34, v33 :: v_dual_add_f32 v28, v28, v35
	v_add_f32_e32 v35, v30, v68
	s_delay_alu instid0(VALU_DEP_3)
	v_dual_add_f32 v24, v24, v36 :: v_dual_add_f32 v26, v26, v41
	s_wait_dscnt 0x3
	v_mul_f32_e32 v36, v39, v53
	ds_load_2addr_b64 v[30:33], v27 offset0:64 offset1:80
	v_dual_fmac_f32 v43, v45, v42 :: v_dual_add_f32 v2, v2, v37
	v_dual_mul_f32 v37, v38, v53 :: v_dual_fma_f32 v36, v38, v52, -v36
	v_mul_f32_e32 v41, v39, v55
	s_delay_alu instid0(VALU_DEP_2) | instskip(NEXT) | instid1(VALU_DEP_3)
	v_dual_add_f32 v22, v22, v43 :: v_dual_fmac_f32 v37, v39, v52
	v_dual_mul_f32 v42, v38, v55 :: v_dual_add_f32 v40, v40, v36
	s_delay_alu instid0(VALU_DEP_3) | instskip(NEXT) | instid1(VALU_DEP_2)
	v_dual_fma_f32 v36, v38, v54, -v41 :: v_dual_mul_f32 v38, v47, v53
	v_dual_add_f32 v41, v34, v37 :: v_dual_fmac_f32 v42, v39, v54
	s_delay_alu instid0(VALU_DEP_2) | instskip(NEXT) | instid1(VALU_DEP_3)
	v_dual_mul_f32 v34, v46, v53 :: v_dual_add_f32 v28, v28, v36
	v_dual_mul_f32 v37, v47, v55 :: v_dual_fma_f32 v36, v46, v52, -v38
	s_delay_alu instid0(VALU_DEP_3) | instskip(NEXT) | instid1(VALU_DEP_3)
	v_add_f32_e32 v38, v35, v42
	v_dual_fmac_f32 v34, v47, v52 :: v_dual_mul_f32 v39, v46, v55
	s_delay_alu instid0(VALU_DEP_3) | instskip(SKIP_1) | instid1(VALU_DEP_2)
	v_dual_fma_f32 v35, v46, v54, -v37 :: v_dual_add_f32 v24, v24, v36
	s_wait_dscnt 0x0
	v_dual_mul_f32 v36, v49, v31 :: v_dual_add_f32 v26, v26, v34
	s_delay_alu instid0(VALU_DEP_3) | instskip(NEXT) | instid1(VALU_DEP_2)
	v_dual_fmac_f32 v39, v47, v54 :: v_dual_mul_f32 v42, v48, v31
	v_dual_add_f32 v2, v2, v35 :: v_dual_fma_f32 v43, v48, v30, -v36
	v_mul_f32_e32 v44, v49, v33
	ds_load_2addr_b64 v[34:37], v27 offset0:96 offset1:112
	v_dual_fmac_f32 v42, v49, v30 :: v_dual_add_f32 v22, v22, v39
	v_add_f32_e32 v39, v40, v43
	v_dual_fma_f32 v43, v48, v32, -v44 :: v_dual_mul_f32 v40, v48, v33
	s_delay_alu instid0(VALU_DEP_3) | instskip(SKIP_1) | instid1(VALU_DEP_3)
	v_add_f32_e32 v41, v41, v42
	v_dual_mul_f32 v42, v65, v31 :: v_dual_mul_f32 v31, v64, v31
	v_dual_add_f32 v28, v28, v43 :: v_dual_mul_f32 v43, v65, v33
	s_delay_alu instid0(VALU_DEP_2) | instskip(NEXT) | instid1(VALU_DEP_3)
	v_dual_fmac_f32 v40, v49, v32 :: v_dual_fma_f32 v42, v64, v30, -v42
	v_dual_fmac_f32 v31, v65, v30 :: v_dual_mul_f32 v44, v64, v33
	s_delay_alu instid0(VALU_DEP_3) | instskip(NEXT) | instid1(VALU_DEP_3)
	v_fma_f32 v30, v64, v32, -v43
	v_dual_add_f32 v45, v38, v40 :: v_dual_add_f32 v24, v24, v42
	s_delay_alu instid0(VALU_DEP_3) | instskip(SKIP_1) | instid1(VALU_DEP_3)
	v_dual_add_f32 v26, v26, v31 :: v_dual_fmac_f32 v44, v65, v32
	s_wait_dscnt 0x0
	v_dual_mul_f32 v38, v51, v35 :: v_dual_add_f32 v2, v2, v30
	ds_load_2addr_b64 v[30:33], v27 offset0:128 offset1:144
	v_dual_mul_f32 v40, v50, v35 :: v_dual_mul_f32 v42, v51, v37
	v_dual_fma_f32 v38, v50, v34, -v38 :: v_dual_mul_f32 v43, v50, v37
	s_delay_alu instid0(VALU_DEP_2) | instskip(NEXT) | instid1(VALU_DEP_2)
	v_dual_fmac_f32 v40, v51, v34 :: v_dual_add_f32 v22, v22, v44
	v_dual_add_f32 v44, v39, v38 :: v_dual_fma_f32 v42, v50, v36, -v42
	s_delay_alu instid0(VALU_DEP_2) | instskip(NEXT) | instid1(VALU_DEP_4)
	v_dual_mul_f32 v38, v67, v35 :: v_dual_add_f32 v46, v41, v40
	v_dual_fmac_f32 v43, v51, v36 :: v_dual_mul_f32 v35, v66, v35
	s_delay_alu instid0(VALU_DEP_3) | instskip(NEXT) | instid1(VALU_DEP_3)
	v_add_f32_e32 v28, v28, v42
	v_dual_fma_f32 v42, v66, v34, -v38 :: v_dual_mul_f32 v47, v67, v37
	s_delay_alu instid0(VALU_DEP_3)
	v_add_f32_e32 v48, v45, v43
	ds_load_b128 v[38:41], v29 offset:1056
	v_dual_fmac_f32 v35, v67, v34 :: v_dual_mul_f32 v43, v66, v37
	v_dual_fma_f32 v34, v66, v36, -v47 :: v_dual_add_f32 v24, v24, v42
	s_wait_dscnt 0x1
	v_dual_mul_f32 v37, v57, v31 :: v_dual_mul_f32 v47, v56, v31
	s_delay_alu instid0(VALU_DEP_3) | instskip(NEXT) | instid1(VALU_DEP_3)
	v_dual_fmac_f32 v43, v67, v36 :: v_dual_add_f32 v26, v26, v35
	v_add_f32_e32 v2, v2, v34
	s_delay_alu instid0(VALU_DEP_3) | instskip(SKIP_4) | instid1(VALU_DEP_3)
	v_fma_f32 v42, v56, v30, -v37
	ds_load_2addr_b64 v[34:37], v27 offset0:160 offset1:176
	v_dual_mul_f32 v45, v57, v33 :: v_dual_add_f32 v22, v22, v43
	v_dual_fmac_f32 v47, v57, v30 :: v_dual_mul_f32 v50, v56, v33
	v_add_f32_e32 v49, v44, v42
	v_fma_f32 v51, v56, v32, -v45
	ds_load_b128 v[42:45], v29 offset:1072
	v_add_f32_e32 v46, v46, v47
	s_wait_dscnt 0x2
	v_dual_mul_f32 v52, v39, v31 :: v_dual_fmac_f32 v50, v57, v32
	v_mul_f32_e32 v31, v38, v31
	v_dual_add_f32 v28, v28, v51 :: v_dual_mul_f32 v51, v39, v33
	s_delay_alu instid0(VALU_DEP_3) | instskip(NEXT) | instid1(VALU_DEP_4)
	v_fma_f32 v47, v38, v30, -v52
	v_add_f32_e32 v48, v48, v50
	s_delay_alu instid0(VALU_DEP_4) | instskip(NEXT) | instid1(VALU_DEP_3)
	v_dual_fmac_f32 v31, v39, v30 :: v_dual_mul_f32 v50, v38, v33
	v_dual_fma_f32 v30, v38, v32, -v51 :: v_dual_add_f32 v24, v24, v47
	s_wait_dscnt 0x1
	v_dual_mul_f32 v33, v59, v35 :: v_dual_mul_f32 v38, v58, v35
	s_delay_alu instid0(VALU_DEP_3) | instskip(NEXT) | instid1(VALU_DEP_3)
	v_dual_add_f32 v26, v26, v31 :: v_dual_fmac_f32 v50, v39, v32
	v_dual_add_f32 v2, v2, v30 :: v_dual_mul_f32 v47, v59, v37
	s_delay_alu instid0(VALU_DEP_3)
	v_dual_fma_f32 v39, v58, v34, -v33 :: v_dual_fmac_f32 v38, v59, v34
	ds_load_2addr_b64 v[30:33], v27 offset0:192 offset1:208
	v_add_f32_e32 v22, v22, v50
	v_dual_fma_f32 v47, v58, v36, -v47 :: v_dual_add_f32 v49, v49, v39
	v_mul_f32_e32 v39, v58, v37
	v_dual_add_f32 v46, v46, v38 :: v_dual_mul_f32 v38, v41, v35
	v_mul_f32_e32 v35, v40, v35
	s_delay_alu instid0(VALU_DEP_4) | instskip(NEXT) | instid1(VALU_DEP_3)
	v_dual_add_f32 v28, v28, v47 :: v_dual_mul_f32 v47, v41, v37
	v_dual_fmac_f32 v39, v59, v36 :: v_dual_fma_f32 v38, v40, v34, -v38
	s_delay_alu instid0(VALU_DEP_1) | instskip(NEXT) | instid1(VALU_DEP_3)
	v_dual_fmac_f32 v35, v41, v34 :: v_dual_add_f32 v34, v48, v39
	v_dual_mul_f32 v48, v40, v37 :: v_dual_fma_f32 v37, v40, v36, -v47
	s_delay_alu instid0(VALU_DEP_2) | instskip(SKIP_2) | instid1(VALU_DEP_3)
	v_dual_add_f32 v24, v24, v38 :: v_dual_add_f32 v26, v26, v35
	s_wait_dscnt 0x0
	v_mul_f32_e32 v35, v61, v31
	v_dual_fmac_f32 v48, v41, v36 :: v_dual_add_f32 v2, v2, v37
	ds_load_2addr_b64 v[36:39], v27 offset0:224 offset1:240
	v_dual_mul_f32 v40, v60, v31 :: v_dual_fma_f32 v35, v60, v30, -v35
	v_dual_add_f32 v22, v22, v48 :: v_dual_mul_f32 v41, v61, v33
	s_delay_alu instid0(VALU_DEP_2) | instskip(NEXT) | instid1(VALU_DEP_3)
	v_dual_mul_f32 v47, v60, v33 :: v_dual_fmac_f32 v40, v61, v30
	v_add_f32_e32 v35, v49, v35
	s_delay_alu instid0(VALU_DEP_3) | instskip(NEXT) | instid1(VALU_DEP_3)
	v_dual_mul_f32 v48, v43, v31 :: v_dual_fma_f32 v41, v60, v32, -v41
	v_dual_fmac_f32 v47, v61, v32 :: v_dual_mul_f32 v31, v42, v31
	s_delay_alu instid0(VALU_DEP_4) | instskip(NEXT) | instid1(VALU_DEP_3)
	v_add_f32_e32 v40, v46, v40
	v_dual_fma_f32 v46, v42, v30, -v48 :: v_dual_add_f32 v28, v28, v41
	s_delay_alu instid0(VALU_DEP_3) | instskip(NEXT) | instid1(VALU_DEP_4)
	v_dual_mul_f32 v41, v43, v33 :: v_dual_add_f32 v47, v34, v47
	v_dual_fmac_f32 v31, v43, v30 :: v_dual_mul_f32 v30, v42, v33
	s_delay_alu instid0(VALU_DEP_2) | instskip(SKIP_2) | instid1(VALU_DEP_3)
	v_dual_add_f32 v24, v24, v46 :: v_dual_fma_f32 v33, v42, v32, -v41
	s_wait_dscnt 0x0
	v_dual_mul_f32 v34, v63, v37 :: v_dual_mul_f32 v41, v62, v37
	v_dual_add_f32 v26, v26, v31 :: v_dual_fmac_f32 v30, v43, v32
	s_delay_alu instid0(VALU_DEP_3) | instskip(NEXT) | instid1(VALU_DEP_3)
	v_add_f32_e32 v2, v2, v33
	v_dual_fma_f32 v31, v62, v36, -v34 :: v_dual_mul_f32 v33, v63, v39
	s_delay_alu instid0(VALU_DEP_4) | instskip(NEXT) | instid1(VALU_DEP_2)
	v_dual_fmac_f32 v41, v63, v36 :: v_dual_mul_f32 v42, v62, v39
	v_dual_add_f32 v22, v22, v30 :: v_dual_add_f32 v32, v35, v31
	v_mul_f32_e32 v31, v45, v37
	s_delay_alu instid0(VALU_DEP_3) | instskip(NEXT) | instid1(VALU_DEP_4)
	v_dual_add_f32 v34, v40, v41 :: v_dual_fma_f32 v30, v62, v38, -v33
	v_dual_fmac_f32 v42, v63, v38 :: v_dual_mul_f32 v33, v44, v37
	v_dual_mul_f32 v35, v45, v39 :: v_dual_mul_f32 v37, v44, v39
	s_delay_alu instid0(VALU_DEP_3) | instskip(NEXT) | instid1(VALU_DEP_3)
	v_add_f32_e32 v28, v28, v30
	v_dual_fma_f32 v31, v44, v36, -v31 :: v_dual_fmac_f32 v33, v45, v36
	s_delay_alu instid0(VALU_DEP_3) | instskip(NEXT) | instid1(VALU_DEP_2)
	v_dual_fma_f32 v35, v44, v38, -v35 :: v_dual_fmac_f32 v37, v45, v38
	v_dual_add_f32 v30, v47, v42 :: v_dual_add_f32 v24, v24, v31
	s_delay_alu instid0(VALU_DEP_3) | instskip(NEXT) | instid1(VALU_DEP_3)
	v_add_f32_e32 v26, v26, v33
	v_add_f32_e32 v2, v2, v35
	s_delay_alu instid0(VALU_DEP_4)
	v_add_f32_e32 v22, v22, v37
	s_barrier_signal -1
	s_barrier_wait -1
	s_cbranch_scc0 .LBB377_17
.LBB377_9:                              ;   Parent Loop BB377_6 Depth=1
                                        ; =>  This Inner Loop Header: Depth=2
	v_add_nc_u32_e32 v31, s27, v23
	s_delay_alu instid0(VALU_DEP_1) | instskip(SKIP_2) | instid1(SALU_CYCLE_1)
	v_cmp_le_i32_e32 vcc_lo, s23, v31
	s_wait_xcnt 0x0
	s_or_b32 s28, s13, vcc_lo
	s_and_saveexec_b32 s29, s28
	s_delay_alu instid0(SALU_CYCLE_1)
	s_xor_b32 s28, exec_lo, s29
; %bb.10:                               ;   in Loop: Header=BB377_9 Depth=2
	ds_store_b32 v25, v3
; %bb.11:                               ;   in Loop: Header=BB377_9 Depth=2
	s_or_saveexec_b32 s28, s28
	v_mov_b32_e32 v31, 0
	s_xor_b32 exec_lo, exec_lo, s28
	s_cbranch_execz .LBB377_13
; %bb.12:                               ;   in Loop: Header=BB377_9 Depth=2
	flat_load_b64 v[36:37], v[18:19]
	s_wait_loadcnt_dscnt 0x0
	v_xor_b32_e32 v31, 0x80000000, v37
	ds_store_b32 v25, v36
.LBB377_13:                             ;   in Loop: Header=BB377_9 Depth=2
	s_wait_xcnt 0x0
	s_or_b32 exec_lo, exec_lo, s28
	v_add_nc_u32_e32 v33, s27, v0
	ds_store_b32 v25, v31 offset:4
	v_cmp_le_i32_e32 vcc_lo, s23, v33
	s_or_b32 s28, vcc_lo, s26
	s_delay_alu instid0(SALU_CYCLE_1) | instskip(NEXT) | instid1(SALU_CYCLE_1)
	s_and_saveexec_b32 s29, s28
	s_xor_b32 s28, exec_lo, s29
; %bb.14:                               ;   in Loop: Header=BB377_9 Depth=2
	ds_store_b32 v1, v3
; %bb.15:                               ;   in Loop: Header=BB377_9 Depth=2
	s_or_saveexec_b32 s28, s28
	v_mov_b32_e32 v31, 0
	s_xor_b32 exec_lo, exec_lo, s28
	s_cbranch_execz .LBB377_8
; %bb.16:                               ;   in Loop: Header=BB377_9 Depth=2
	flat_load_b64 v[36:37], v[20:21] offset:-4
	s_wait_loadcnt_dscnt 0x0
	v_xor_b32_e32 v31, 0x80000000, v37
	ds_store_b32 v1, v36
	s_branch .LBB377_8
.LBB377_17:                             ;   in Loop: Header=BB377_6 Depth=1
	s_wait_loadcnt 0x0
	v_add_nc_u64_e32 v[16:17], s[0:1], v[16:17]
	s_delay_alu instid0(VALU_DEP_1)
	v_lshl_add_u64 v[18:19], v[6:7], 3, v[16:17]
	s_and_saveexec_b32 s27, s22
	s_cbranch_execz .LBB377_22
; %bb.18:                               ;   in Loop: Header=BB377_6 Depth=1
	v_mov_b64_e32 v[20:21], s[4:5]
	v_mov_b64_e32 v[36:37], s[14:15]
	s_and_b32 vcc_lo, exec_lo, s18
	s_mov_b32 s28, -1
	s_delay_alu instid0(VALU_DEP_2) | instskip(NEXT) | instid1(VALU_DEP_1)
	v_pk_mul_f32 v[20:21], v[34:35], v[20:21] op_sel_hi:[0,1]
	v_pk_fma_f32 v[34:35], v[32:33], v[36:37], v[20:21] op_sel_hi:[0,1,1]
	v_pk_fma_f32 v[20:21], v[32:33], v[36:37], v[20:21] neg_lo:[0,0,1] neg_hi:[0,0,1]
	v_lshl_add_u64 v[32:33], v[4:5], 3, v[18:19]
	s_delay_alu instid0(VALU_DEP_3)
	v_mov_b32_e32 v21, v35
	s_cbranch_vccz .LBB377_20
; %bb.19:                               ;   in Loop: Header=BB377_6 Depth=1
	flat_load_b64 v[34:35], v[32:33]
	v_mov_b64_e32 v[36:37], s[20:21]
	v_mov_b64_e32 v[38:39], s[2:3]
	s_mov_b32 s28, 0
	s_wait_loadcnt_dscnt 0x0
	s_delay_alu instid0(VALU_DEP_2) | instskip(NEXT) | instid1(VALU_DEP_1)
	v_pk_mul_f32 v[36:37], v[34:35], v[36:37]
	v_pk_fma_f32 v[40:41], v[34:35], v[38:39], v[36:37] op_sel:[0,0,1] op_sel_hi:[1,1,0]
	v_pk_fma_f32 v[34:35], v[34:35], v[38:39], v[36:37] op_sel:[0,0,1] op_sel_hi:[1,1,0] neg_lo:[0,0,1] neg_hi:[0,0,1]
	s_delay_alu instid0(VALU_DEP_2) | instskip(NEXT) | instid1(VALU_DEP_1)
	v_mov_b32_e32 v35, v41
	v_pk_add_f32 v[34:35], v[20:21], v[34:35]
	flat_store_b64 v[32:33], v[34:35]
.LBB377_20:                             ;   in Loop: Header=BB377_6 Depth=1
	s_and_not1_b32 vcc_lo, exec_lo, s28
	s_cbranch_vccnz .LBB377_22
; %bb.21:                               ;   in Loop: Header=BB377_6 Depth=1
	flat_store_b64 v[32:33], v[20:21]
.LBB377_22:                             ;   in Loop: Header=BB377_6 Depth=1
	s_wait_xcnt 0x0
	s_or_b32 exec_lo, exec_lo, s27
	s_and_saveexec_b32 s27, s30
	s_cbranch_execz .LBB377_27
; %bb.23:                               ;   in Loop: Header=BB377_6 Depth=1
	v_mov_b64_e32 v[20:21], s[4:5]
	v_mov_b64_e32 v[32:33], s[14:15]
	v_lshl_add_u64 v[18:19], v[8:9], 3, v[18:19]
	s_and_not1_b32 vcc_lo, exec_lo, s18
	s_mov_b32 s28, -1
	s_delay_alu instid0(VALU_DEP_3) | instskip(NEXT) | instid1(VALU_DEP_1)
	v_pk_mul_f32 v[20:21], v[30:31], v[20:21] op_sel_hi:[0,1]
	v_pk_fma_f32 v[30:31], v[28:29], v[32:33], v[20:21] op_sel_hi:[0,1,1]
	v_pk_fma_f32 v[20:21], v[28:29], v[32:33], v[20:21] neg_lo:[0,0,1] neg_hi:[0,0,1]
	s_delay_alu instid0(VALU_DEP_2)
	v_mov_b32_e32 v21, v31
	s_cbranch_vccnz .LBB377_25
; %bb.24:                               ;   in Loop: Header=BB377_6 Depth=1
	flat_load_b64 v[30:31], v[18:19]
	v_mov_b64_e32 v[32:33], s[20:21]
	v_mov_b64_e32 v[34:35], s[2:3]
	s_mov_b32 s28, 0
	s_wait_loadcnt_dscnt 0x0
	s_delay_alu instid0(VALU_DEP_2) | instskip(NEXT) | instid1(VALU_DEP_1)
	v_pk_mul_f32 v[32:33], v[30:31], v[32:33]
	v_pk_fma_f32 v[36:37], v[30:31], v[34:35], v[32:33] op_sel:[0,0,1] op_sel_hi:[1,1,0]
	v_pk_fma_f32 v[30:31], v[30:31], v[34:35], v[32:33] op_sel:[0,0,1] op_sel_hi:[1,1,0] neg_lo:[0,0,1] neg_hi:[0,0,1]
	s_delay_alu instid0(VALU_DEP_2) | instskip(NEXT) | instid1(VALU_DEP_1)
	v_mov_b32_e32 v31, v37
	v_pk_add_f32 v[30:31], v[20:21], v[30:31]
	flat_store_b64 v[18:19], v[30:31]
.LBB377_25:                             ;   in Loop: Header=BB377_6 Depth=1
	s_and_not1_b32 vcc_lo, exec_lo, s28
	s_cbranch_vccnz .LBB377_27
; %bb.26:                               ;   in Loop: Header=BB377_6 Depth=1
	flat_store_b64 v[18:19], v[20:21]
.LBB377_27:                             ;   in Loop: Header=BB377_6 Depth=1
	s_wait_xcnt 0x0
	s_or_b32 exec_lo, exec_lo, s27
	v_lshl_add_u64 v[16:17], v[10:11], 3, v[16:17]
	s_and_saveexec_b32 s27, s31
	s_cbranch_execz .LBB377_32
; %bb.28:                               ;   in Loop: Header=BB377_6 Depth=1
	v_mov_b64_e32 v[18:19], s[4:5]
	v_mov_b64_e32 v[20:21], s[14:15]
	s_and_not1_b32 vcc_lo, exec_lo, s18
	s_mov_b32 s28, -1
	s_delay_alu instid0(VALU_DEP_2) | instskip(NEXT) | instid1(VALU_DEP_1)
	v_pk_mul_f32 v[18:19], v[26:27], v[18:19] op_sel_hi:[0,1]
	v_pk_fma_f32 v[30:31], v[24:25], v[20:21], v[18:19] op_sel_hi:[0,1,1]
	v_pk_fma_f32 v[18:19], v[24:25], v[20:21], v[18:19] neg_lo:[0,0,1] neg_hi:[0,0,1]
	v_lshl_add_u64 v[20:21], v[4:5], 3, v[16:17]
	s_delay_alu instid0(VALU_DEP_3)
	v_mov_b32_e32 v19, v31
	s_cbranch_vccnz .LBB377_30
; %bb.29:                               ;   in Loop: Header=BB377_6 Depth=1
	flat_load_b64 v[30:31], v[20:21]
	v_mov_b64_e32 v[32:33], s[20:21]
	v_mov_b64_e32 v[34:35], s[2:3]
	s_mov_b32 s28, 0
	s_wait_loadcnt_dscnt 0x0
	s_delay_alu instid0(VALU_DEP_2) | instskip(NEXT) | instid1(VALU_DEP_1)
	v_pk_mul_f32 v[32:33], v[30:31], v[32:33]
	v_pk_fma_f32 v[36:37], v[30:31], v[34:35], v[32:33] op_sel:[0,0,1] op_sel_hi:[1,1,0]
	v_pk_fma_f32 v[30:31], v[30:31], v[34:35], v[32:33] op_sel:[0,0,1] op_sel_hi:[1,1,0] neg_lo:[0,0,1] neg_hi:[0,0,1]
	s_delay_alu instid0(VALU_DEP_2) | instskip(NEXT) | instid1(VALU_DEP_1)
	v_mov_b32_e32 v31, v37
	v_pk_add_f32 v[30:31], v[18:19], v[30:31]
	flat_store_b64 v[20:21], v[30:31]
.LBB377_30:                             ;   in Loop: Header=BB377_6 Depth=1
	s_and_not1_b32 vcc_lo, exec_lo, s28
	s_cbranch_vccnz .LBB377_32
; %bb.31:                               ;   in Loop: Header=BB377_6 Depth=1
	flat_store_b64 v[20:21], v[18:19]
.LBB377_32:                             ;   in Loop: Header=BB377_6 Depth=1
	s_wait_xcnt 0x0
	s_or_b32 exec_lo, exec_lo, s27
	s_and_saveexec_b32 s27, s33
	s_cbranch_execz .LBB377_5
; %bb.33:                               ;   in Loop: Header=BB377_6 Depth=1
	v_mov_b64_e32 v[18:19], s[4:5]
	v_mov_b64_e32 v[20:21], s[14:15]
	v_lshl_add_u64 v[16:17], v[8:9], 3, v[16:17]
	s_and_not1_b32 vcc_lo, exec_lo, s18
	s_mov_b32 s28, -1
	s_delay_alu instid0(VALU_DEP_3) | instskip(NEXT) | instid1(VALU_DEP_1)
	v_pk_mul_f32 v[18:19], v[22:23], v[18:19] op_sel_hi:[0,1]
	v_pk_fma_f32 v[30:31], v[2:3], v[20:21], v[18:19] op_sel_hi:[0,1,1]
	v_pk_fma_f32 v[18:19], v[2:3], v[20:21], v[18:19] neg_lo:[0,0,1] neg_hi:[0,0,1]
	s_delay_alu instid0(VALU_DEP_2)
	v_mov_b32_e32 v19, v31
	s_cbranch_vccnz .LBB377_35
; %bb.34:                               ;   in Loop: Header=BB377_6 Depth=1
	flat_load_b64 v[20:21], v[16:17]
	v_mov_b64_e32 v[30:31], s[20:21]
	v_mov_b64_e32 v[32:33], s[2:3]
	s_mov_b32 s28, 0
	s_wait_loadcnt_dscnt 0x0
	s_delay_alu instid0(VALU_DEP_2) | instskip(NEXT) | instid1(VALU_DEP_1)
	v_pk_mul_f32 v[30:31], v[20:21], v[30:31]
	v_pk_fma_f32 v[34:35], v[20:21], v[32:33], v[30:31] op_sel:[0,0,1] op_sel_hi:[1,1,0]
	v_pk_fma_f32 v[20:21], v[20:21], v[32:33], v[30:31] op_sel:[0,0,1] op_sel_hi:[1,1,0] neg_lo:[0,0,1] neg_hi:[0,0,1]
	s_delay_alu instid0(VALU_DEP_2) | instskip(NEXT) | instid1(VALU_DEP_1)
	v_mov_b32_e32 v21, v35
	v_pk_add_f32 v[20:21], v[18:19], v[20:21]
	flat_store_b64 v[16:17], v[20:21]
.LBB377_35:                             ;   in Loop: Header=BB377_6 Depth=1
	s_and_not1_b32 vcc_lo, exec_lo, s28
	s_cbranch_vccnz .LBB377_5
; %bb.36:                               ;   in Loop: Header=BB377_6 Depth=1
	flat_store_b64 v[16:17], v[18:19]
	s_branch .LBB377_5
.LBB377_37:
	s_sendmsg sendmsg(MSG_DEALLOC_VGPRS)
	s_endpgm
	.section	.rodata,"a",@progbits
	.p2align	6, 0x0
	.amdhsa_kernel _ZL29rocblas_internal_gemmt_kernelIiLi16ELi32ELi8ELc67ELc67ELc76ELb1ELb1E19rocblas_complex_numIfEPKS1_PKS3_PKPS1_EviT_T9_T10_S9_lSB_S9_lSA_T11_S9_li
		.amdhsa_group_segment_fixed_size 4096
		.amdhsa_private_segment_fixed_size 0
		.amdhsa_kernarg_size 100
		.amdhsa_user_sgpr_count 2
		.amdhsa_user_sgpr_dispatch_ptr 0
		.amdhsa_user_sgpr_queue_ptr 0
		.amdhsa_user_sgpr_kernarg_segment_ptr 1
		.amdhsa_user_sgpr_dispatch_id 0
		.amdhsa_user_sgpr_kernarg_preload_length 0
		.amdhsa_user_sgpr_kernarg_preload_offset 0
		.amdhsa_user_sgpr_private_segment_size 0
		.amdhsa_wavefront_size32 1
		.amdhsa_uses_dynamic_stack 0
		.amdhsa_enable_private_segment 0
		.amdhsa_system_sgpr_workgroup_id_x 1
		.amdhsa_system_sgpr_workgroup_id_y 1
		.amdhsa_system_sgpr_workgroup_id_z 1
		.amdhsa_system_sgpr_workgroup_info 0
		.amdhsa_system_vgpr_workitem_id 1
		.amdhsa_next_free_vgpr 71
		.amdhsa_next_free_sgpr 36
		.amdhsa_named_barrier_count 0
		.amdhsa_reserve_vcc 1
		.amdhsa_float_round_mode_32 0
		.amdhsa_float_round_mode_16_64 0
		.amdhsa_float_denorm_mode_32 3
		.amdhsa_float_denorm_mode_16_64 3
		.amdhsa_fp16_overflow 0
		.amdhsa_memory_ordered 1
		.amdhsa_forward_progress 1
		.amdhsa_inst_pref_size 27
		.amdhsa_round_robin_scheduling 0
		.amdhsa_exception_fp_ieee_invalid_op 0
		.amdhsa_exception_fp_denorm_src 0
		.amdhsa_exception_fp_ieee_div_zero 0
		.amdhsa_exception_fp_ieee_overflow 0
		.amdhsa_exception_fp_ieee_underflow 0
		.amdhsa_exception_fp_ieee_inexact 0
		.amdhsa_exception_int_div_zero 0
	.end_amdhsa_kernel
	.section	.text._ZL29rocblas_internal_gemmt_kernelIiLi16ELi32ELi8ELc67ELc67ELc76ELb1ELb1E19rocblas_complex_numIfEPKS1_PKS3_PKPS1_EviT_T9_T10_S9_lSB_S9_lSA_T11_S9_li,"axG",@progbits,_ZL29rocblas_internal_gemmt_kernelIiLi16ELi32ELi8ELc67ELc67ELc76ELb1ELb1E19rocblas_complex_numIfEPKS1_PKS3_PKPS1_EviT_T9_T10_S9_lSB_S9_lSA_T11_S9_li,comdat
.Lfunc_end377:
	.size	_ZL29rocblas_internal_gemmt_kernelIiLi16ELi32ELi8ELc67ELc67ELc76ELb1ELb1E19rocblas_complex_numIfEPKS1_PKS3_PKPS1_EviT_T9_T10_S9_lSB_S9_lSA_T11_S9_li, .Lfunc_end377-_ZL29rocblas_internal_gemmt_kernelIiLi16ELi32ELi8ELc67ELc67ELc76ELb1ELb1E19rocblas_complex_numIfEPKS1_PKS3_PKPS1_EviT_T9_T10_S9_lSB_S9_lSA_T11_S9_li
                                        ; -- End function
	.set _ZL29rocblas_internal_gemmt_kernelIiLi16ELi32ELi8ELc67ELc67ELc76ELb1ELb1E19rocblas_complex_numIfEPKS1_PKS3_PKPS1_EviT_T9_T10_S9_lSB_S9_lSA_T11_S9_li.num_vgpr, 71
	.set _ZL29rocblas_internal_gemmt_kernelIiLi16ELi32ELi8ELc67ELc67ELc76ELb1ELb1E19rocblas_complex_numIfEPKS1_PKS3_PKPS1_EviT_T9_T10_S9_lSB_S9_lSA_T11_S9_li.num_agpr, 0
	.set _ZL29rocblas_internal_gemmt_kernelIiLi16ELi32ELi8ELc67ELc67ELc76ELb1ELb1E19rocblas_complex_numIfEPKS1_PKS3_PKPS1_EviT_T9_T10_S9_lSB_S9_lSA_T11_S9_li.numbered_sgpr, 36
	.set _ZL29rocblas_internal_gemmt_kernelIiLi16ELi32ELi8ELc67ELc67ELc76ELb1ELb1E19rocblas_complex_numIfEPKS1_PKS3_PKPS1_EviT_T9_T10_S9_lSB_S9_lSA_T11_S9_li.num_named_barrier, 0
	.set _ZL29rocblas_internal_gemmt_kernelIiLi16ELi32ELi8ELc67ELc67ELc76ELb1ELb1E19rocblas_complex_numIfEPKS1_PKS3_PKPS1_EviT_T9_T10_S9_lSB_S9_lSA_T11_S9_li.private_seg_size, 0
	.set _ZL29rocblas_internal_gemmt_kernelIiLi16ELi32ELi8ELc67ELc67ELc76ELb1ELb1E19rocblas_complex_numIfEPKS1_PKS3_PKPS1_EviT_T9_T10_S9_lSB_S9_lSA_T11_S9_li.uses_vcc, 1
	.set _ZL29rocblas_internal_gemmt_kernelIiLi16ELi32ELi8ELc67ELc67ELc76ELb1ELb1E19rocblas_complex_numIfEPKS1_PKS3_PKPS1_EviT_T9_T10_S9_lSB_S9_lSA_T11_S9_li.uses_flat_scratch, 0
	.set _ZL29rocblas_internal_gemmt_kernelIiLi16ELi32ELi8ELc67ELc67ELc76ELb1ELb1E19rocblas_complex_numIfEPKS1_PKS3_PKPS1_EviT_T9_T10_S9_lSB_S9_lSA_T11_S9_li.has_dyn_sized_stack, 0
	.set _ZL29rocblas_internal_gemmt_kernelIiLi16ELi32ELi8ELc67ELc67ELc76ELb1ELb1E19rocblas_complex_numIfEPKS1_PKS3_PKPS1_EviT_T9_T10_S9_lSB_S9_lSA_T11_S9_li.has_recursion, 0
	.set _ZL29rocblas_internal_gemmt_kernelIiLi16ELi32ELi8ELc67ELc67ELc76ELb1ELb1E19rocblas_complex_numIfEPKS1_PKS3_PKPS1_EviT_T9_T10_S9_lSB_S9_lSA_T11_S9_li.has_indirect_call, 0
	.section	.AMDGPU.csdata,"",@progbits
; Kernel info:
; codeLenInByte = 3340
; TotalNumSgprs: 38
; NumVgprs: 71
; ScratchSize: 0
; MemoryBound: 0
; FloatMode: 240
; IeeeMode: 1
; LDSByteSize: 4096 bytes/workgroup (compile time only)
; SGPRBlocks: 0
; VGPRBlocks: 4
; NumSGPRsForWavesPerEU: 38
; NumVGPRsForWavesPerEU: 71
; NamedBarCnt: 0
; Occupancy: 12
; WaveLimiterHint : 1
; COMPUTE_PGM_RSRC2:SCRATCH_EN: 0
; COMPUTE_PGM_RSRC2:USER_SGPR: 2
; COMPUTE_PGM_RSRC2:TRAP_HANDLER: 0
; COMPUTE_PGM_RSRC2:TGID_X_EN: 1
; COMPUTE_PGM_RSRC2:TGID_Y_EN: 1
; COMPUTE_PGM_RSRC2:TGID_Z_EN: 1
; COMPUTE_PGM_RSRC2:TIDIG_COMP_CNT: 1
	.section	.text._ZL29rocblas_internal_gemmt_kernelIiLi16ELi32ELi8ELc78ELc78ELc85ELb0ELb0E19rocblas_complex_numIfES1_PKPKS1_PKPS1_EviT_T9_T10_S9_lSB_S9_lSA_T11_S9_li,"axG",@progbits,_ZL29rocblas_internal_gemmt_kernelIiLi16ELi32ELi8ELc78ELc78ELc85ELb0ELb0E19rocblas_complex_numIfES1_PKPKS1_PKPS1_EviT_T9_T10_S9_lSB_S9_lSA_T11_S9_li,comdat
	.globl	_ZL29rocblas_internal_gemmt_kernelIiLi16ELi32ELi8ELc78ELc78ELc85ELb0ELb0E19rocblas_complex_numIfES1_PKPKS1_PKPS1_EviT_T9_T10_S9_lSB_S9_lSA_T11_S9_li ; -- Begin function _ZL29rocblas_internal_gemmt_kernelIiLi16ELi32ELi8ELc78ELc78ELc85ELb0ELb0E19rocblas_complex_numIfES1_PKPKS1_PKPS1_EviT_T9_T10_S9_lSB_S9_lSA_T11_S9_li
	.p2align	8
	.type	_ZL29rocblas_internal_gemmt_kernelIiLi16ELi32ELi8ELc78ELc78ELc85ELb0ELb0E19rocblas_complex_numIfES1_PKPKS1_PKPS1_EviT_T9_T10_S9_lSB_S9_lSA_T11_S9_li,@function
_ZL29rocblas_internal_gemmt_kernelIiLi16ELi32ELi8ELc78ELc78ELc85ELb0ELb0E19rocblas_complex_numIfES1_PKPKS1_PKPS1_EviT_T9_T10_S9_lSB_S9_lSA_T11_S9_li: ; @_ZL29rocblas_internal_gemmt_kernelIiLi16ELi32ELi8ELc78ELc78ELc85ELb0ELb0E19rocblas_complex_numIfES1_PKPKS1_PKPS1_EviT_T9_T10_S9_lSB_S9_lSA_T11_S9_li
; %bb.0:
	s_clause 0x1
	s_load_b64 s[6:7], s[0:1], 0x40
	s_load_b128 s[8:11], s[0:1], 0x0
	s_wait_kmcnt 0x0
	s_cmp_neq_f32 s6, 1.0
	s_cselect_b32 s2, -1, 0
	s_and_b32 s3, s7, 0x7fffffff
	s_delay_alu instid0(SALU_CYCLE_1) | instskip(SKIP_3) | instid1(SALU_CYCLE_1)
	s_cmp_eq_u32 s3, 0
	s_cselect_b32 s30, -1, 0
	s_cmp_lg_u32 s3, 0
	s_cselect_b32 s3, -1, 0
	s_or_b32 s2, s2, s3
	s_delay_alu instid0(SALU_CYCLE_1)
	s_and_b32 vcc_lo, exec_lo, s2
	s_cbranch_vccnz .LBB378_2
; %bb.1:
	s_cmp_lg_u32 s9, 0
	s_cselect_b32 s2, -1, 0
	s_cmp_neq_f32 s10, 0
	s_cselect_b32 s3, -1, 0
	s_cmp_neq_f32 s11, 0
	s_cselect_b32 s4, -1, 0
	s_delay_alu instid0(SALU_CYCLE_1) | instskip(NEXT) | instid1(SALU_CYCLE_1)
	s_or_b32 s3, s3, s4
	s_and_b32 s2, s2, s3
.LBB378_2:
	s_delay_alu instid0(SALU_CYCLE_1)
	s_and_not1_b32 vcc_lo, exec_lo, s2
	s_cbranch_vccnz .LBB378_33
; %bb.3:
	s_load_b32 s23, s[0:1], 0x60
	s_bfe_u32 s2, ttmp6, 0x40014
	s_lshr_b32 s3, ttmp7, 16
	s_add_co_i32 s2, s2, 1
	s_bfe_u32 s5, ttmp6, 0x40008
	s_mul_i32 s2, s3, s2
	s_getreg_b32 s4, hwreg(HW_REG_IB_STS2, 6, 4)
	s_add_co_i32 s5, s5, s2
	s_cmp_eq_u32 s4, 0
	s_mov_b32 s25, 0
	s_cselect_b32 s24, s3, s5
	s_wait_kmcnt 0x0
	s_cmp_ge_u32 s24, s23
	s_cbranch_scc1 .LBB378_33
; %bb.4:
	s_clause 0x2
	s_load_b96 s[16:18], s[0:1], 0x10
	s_load_b32 s2, s[0:1], 0x30
	s_load_b96 s[20:22], s[0:1], 0x48
	v_and_b32_e32 v4, 0x3ff, v0
	v_bfe_u32 v7, v0, 10, 10
	s_clause 0x2
	s_load_b128 s[12:15], s[0:1], 0x20
	s_load_b64 s[26:27], s[0:1], 0x38
	s_load_b64 s[28:29], s[0:1], 0x58
	s_wait_xcnt 0x0
	s_bfe_u32 s1, ttmp6, 0x4000c
	s_bfe_u32 s3, ttmp6, 0x40010
	s_and_b32 s31, ttmp7, 0xffff
	s_add_co_i32 s1, s1, 1
	s_add_co_i32 s3, s3, 1
	v_lshl_add_u32 v1, v7, 4, v4
	s_and_b32 s0, ttmp6, 15
	s_bfe_u32 s33, ttmp6, 0x40004
	s_mul_i32 s1, ttmp9, s1
	s_mul_i32 s34, s31, s3
	s_add_co_i32 s0, s0, s1
	s_add_co_i32 s33, s33, s34
	v_dual_lshrrev_b32 v2, 5, v1 :: v_dual_bitop2_b32 v21, 7, v0 bitop3:0x40
	s_wait_kmcnt 0x0
	s_ashr_i32 s19, s18, 31
	s_ashr_i32 s3, s2, 31
	;; [unrolled: 1-line block ×3, first 2 shown]
	s_cmp_eq_u32 s4, 0
	v_dual_lshrrev_b32 v5, 3, v1 :: v_dual_bitop2_b32 v1, 31, v1 bitop3:0x40
	s_cselect_b32 s0, ttmp9, s0
	s_cselect_b32 s1, s31, s33
	s_lshl_b32 s31, s0, 5
	s_lshl_b32 s1, s1, 5
	v_dual_lshlrev_b32 v1, 3, v1 :: v_dual_bitop2_b32 v10, s31, v1 bitop3:0x54
	v_dual_mov_b32 v3, 0 :: v_dual_add_nc_u32 v0, s1, v5
	v_dual_lshlrev_b32 v12, 3, v21 :: v_dual_add_nc_u32 v16, s1, v7
	v_lshlrev_b32_e32 v27, 3, v4
	s_delay_alu instid0(VALU_DEP_4) | instskip(NEXT) | instid1(VALU_DEP_4)
	v_lshl_or_b32 v23, v2, 8, v1
	v_ashrrev_i32_e32 v1, 31, v0
	v_mul_u64_e32 v[14:15], s[18:19], v[2:3]
	v_dual_add_nc_u32 v28, 16, v16 :: v_dual_ashrrev_i32 v17, 31, v16
	s_cmp_neq_f32 s10, 0
	s_delay_alu instid0(VALU_DEP_3) | instskip(SKIP_1) | instid1(VALU_DEP_3)
	v_mul_u64_e32 v[18:19], s[2:3], v[0:1]
	v_lshl_or_b32 v5, v5, 6, v12
	v_dual_ashrrev_i32 v29, 31, v28 :: v_dual_ashrrev_i32 v11, 31, v10
	s_cselect_b32 s0, -1, 0
	s_cmp_neq_f32 s11, 0
	s_mov_b32 s4, s22
	v_cmp_gt_i32_e64 s1, s8, v0
	v_add_nc_u32_e32 v25, 0x800, v5
	s_cselect_b32 s22, -1, 0
	v_add_nc_u32_e32 v0, s31, v4
	v_mul_u64_e32 v[4:5], s[4:5], v[16:17]
	v_mul_u64_e32 v[8:9], s[4:5], v[28:29]
	s_or_b32 s34, s0, s22
	s_cmp_gt_i32 s9, 0
	v_add_nc_u32_e32 v6, 16, v0
	s_cselect_b32 s35, -1, 0
	s_cmp_neq_f32 s6, 0
	v_lshl_add_u32 v29, v7, 6, 0x800
	v_cmp_gt_i32_e32 vcc_lo, s8, v16
	v_ashrrev_i32_e32 v7, 31, v6
	s_cselect_b32 s3, -1, 0
	s_xor_b32 s4, s30, -1
	v_ashrrev_i32_e32 v1, 31, v0
	s_or_b32 s22, s3, s4
	v_cmp_gt_i32_e64 s3, s8, v28
	v_cmp_le_i32_e64 s4, v0, v28
	v_cmp_le_i32_e64 s5, v6, v28
	;; [unrolled: 1-line block ×3, first 2 shown]
	v_mov_b32_e32 v13, v3
	v_cmp_gt_i32_e64 s0, s8, v10
	s_and_b32 s31, s3, s4
	s_and_b32 s33, s3, s5
	s_lshl_b64 s[4:5], s[12:13], 3
	s_and_b32 s30, vcc_lo, s2
	v_lshl_add_u64 v[14:15], v[14:15], 3, s[4:5]
	s_lshl_b64 s[4:5], s[26:27], 3
	v_cmp_le_i32_e64 s2, v6, v16
	v_lshl_add_u64 v[16:17], v[18:19], 3, s[4:5]
	s_mov_b32 s3, s6
	v_lshl_add_u64 v[10:11], v[10:11], 3, v[14:15]
	s_mov_b32 s4, s11
	s_and_b32 s8, vcc_lo, s2
	v_add_nc_u64_e32 v[12:13], v[16:17], v[12:13]
	s_mov_b32 s2, s6
	s_mov_b32 s6, s7
	s_and_b32 s26, s34, s35
	s_mov_b32 s5, s10
	s_lshl_b64 s[12:13], s[18:19], 6
	s_lshl_b64 s[18:19], s[28:29], 3
	s_branch .LBB378_6
.LBB378_5:                              ;   in Loop: Header=BB378_6 Depth=1
	s_wait_xcnt 0x0
	s_or_b32 exec_lo, exec_lo, s27
	s_add_co_i32 s24, s24, 0x10000
	s_delay_alu instid0(SALU_CYCLE_1)
	s_cmp_lt_u32 s24, s23
	s_cbranch_scc0 .LBB378_33
.LBB378_6:                              ; =>This Loop Header: Depth=1
                                        ;     Child Loop BB378_9 Depth 2
	v_dual_mov_b32 v14, s24 :: v_dual_mov_b32 v32, 0
	v_dual_mov_b32 v34, 0 :: v_dual_mov_b32 v28, 0
	;; [unrolled: 1-line block ×3, first 2 shown]
	global_load_b64 v[14:15], v14, s[20:21] scale_offset
	v_dual_mov_b32 v26, 0 :: v_dual_mov_b32 v20, 0
	v_mov_b32_e32 v22, 0
	s_and_not1_b32 vcc_lo, exec_lo, s26
	s_cbranch_vccnz .LBB378_13
; %bb.7:                                ;   in Loop: Header=BB378_6 Depth=1
	s_lshl_b64 s[28:29], s[24:25], 3
	v_dual_mov_b32 v22, 0 :: v_dual_mov_b32 v20, 0
	s_add_nc_u64 s[34:35], s[16:17], s[28:29]
	s_add_nc_u64 s[28:29], s[14:15], s[28:29]
	s_clause 0x1
	global_load_b64 v[16:17], v3, s[34:35]
	global_load_b64 v[18:19], v3, s[28:29]
	v_dual_mov_b32 v26, 0 :: v_dual_mov_b32 v24, 0
	v_dual_mov_b32 v30, 0 :: v_dual_mov_b32 v28, 0
	;; [unrolled: 1-line block ×3, first 2 shown]
	s_mov_b32 s27, 0
	s_wait_loadcnt 0x1
	v_add_nc_u64_e32 v[16:17], v[16:17], v[10:11]
	s_wait_loadcnt 0x0
	v_add_nc_u64_e32 v[18:19], v[18:19], v[12:13]
	s_branch .LBB378_9
.LBB378_8:                              ;   in Loop: Header=BB378_9 Depth=2
	s_wait_xcnt 0x0
	s_or_b32 exec_lo, exec_lo, s28
	s_wait_loadcnt_dscnt 0x0
	ds_store_b64 v25, v[38:39]
	s_wait_dscnt 0x0
	s_barrier_signal -1
	s_barrier_wait -1
	ds_load_b128 v[36:39], v29
	ds_load_2addr_b64 v[40:43], v27 offset1:16
	ds_load_b128 v[44:47], v29 offset:1024
	ds_load_b128 v[48:51], v29 offset:16
	ds_load_2addr_b64 v[52:55], v27 offset0:32 offset1:48
	ds_load_b128 v[56:59], v29 offset:32
	ds_load_b128 v[60:63], v29 offset:48
	;; [unrolled: 1-line block ×3, first 2 shown]
	v_add_nc_u64_e32 v[16:17], s[12:13], v[16:17]
	v_add_nc_u64_e32 v[18:19], 64, v[18:19]
	s_add_co_i32 s27, s27, 8
	s_delay_alu instid0(SALU_CYCLE_1)
	s_cmp_lt_i32 s27, s9
	s_wait_dscnt 0x6
	v_dual_mul_f32 v31, v37, v41 :: v_dual_mul_f32 v33, v36, v41
	v_dual_mul_f32 v35, v37, v43 :: v_dual_mul_f32 v68, v36, v43
	s_wait_dscnt 0x5
	v_dual_mul_f32 v69, v45, v41 :: v_dual_mul_f32 v41, v44, v41
	v_dual_mul_f32 v70, v45, v43 :: v_dual_mul_f32 v43, v44, v43
	v_dual_fma_f32 v31, v36, v40, -v31 :: v_dual_fmac_f32 v33, v37, v40
	v_dual_fma_f32 v35, v36, v42, -v35 :: v_dual_fmac_f32 v68, v37, v42
	s_delay_alu instid0(VALU_DEP_3) | instskip(NEXT) | instid1(VALU_DEP_3)
	v_dual_fma_f32 v36, v44, v40, -v69 :: v_dual_fma_f32 v37, v44, v42, -v70
	v_dual_fmac_f32 v41, v45, v40 :: v_dual_add_f32 v40, v32, v31
	s_delay_alu instid0(VALU_DEP_3) | instskip(NEXT) | instid1(VALU_DEP_4)
	v_dual_add_f32 v34, v34, v33 :: v_dual_add_f32 v28, v28, v35
	v_add_f32_e32 v35, v30, v68
	s_delay_alu instid0(VALU_DEP_3)
	v_dual_add_f32 v24, v24, v36 :: v_dual_add_f32 v26, v26, v41
	s_wait_dscnt 0x3
	v_mul_f32_e32 v36, v39, v53
	ds_load_2addr_b64 v[30:33], v27 offset0:64 offset1:80
	v_dual_fmac_f32 v43, v45, v42 :: v_dual_add_f32 v20, v20, v37
	v_dual_mul_f32 v37, v38, v53 :: v_dual_fma_f32 v36, v38, v52, -v36
	v_mul_f32_e32 v41, v39, v55
	s_delay_alu instid0(VALU_DEP_2) | instskip(NEXT) | instid1(VALU_DEP_3)
	v_dual_add_f32 v22, v22, v43 :: v_dual_fmac_f32 v37, v39, v52
	v_dual_mul_f32 v42, v38, v55 :: v_dual_add_f32 v40, v40, v36
	s_delay_alu instid0(VALU_DEP_3) | instskip(NEXT) | instid1(VALU_DEP_2)
	v_dual_fma_f32 v36, v38, v54, -v41 :: v_dual_mul_f32 v38, v47, v53
	v_dual_add_f32 v41, v34, v37 :: v_dual_fmac_f32 v42, v39, v54
	s_delay_alu instid0(VALU_DEP_2) | instskip(NEXT) | instid1(VALU_DEP_3)
	v_dual_mul_f32 v34, v46, v53 :: v_dual_add_f32 v28, v28, v36
	v_dual_mul_f32 v37, v47, v55 :: v_dual_fma_f32 v36, v46, v52, -v38
	s_delay_alu instid0(VALU_DEP_3) | instskip(NEXT) | instid1(VALU_DEP_3)
	v_add_f32_e32 v38, v35, v42
	v_dual_fmac_f32 v34, v47, v52 :: v_dual_mul_f32 v39, v46, v55
	s_delay_alu instid0(VALU_DEP_3) | instskip(SKIP_1) | instid1(VALU_DEP_2)
	v_dual_fma_f32 v35, v46, v54, -v37 :: v_dual_add_f32 v24, v24, v36
	s_wait_dscnt 0x0
	v_dual_mul_f32 v36, v49, v31 :: v_dual_add_f32 v26, v26, v34
	s_delay_alu instid0(VALU_DEP_3) | instskip(NEXT) | instid1(VALU_DEP_3)
	v_dual_fmac_f32 v39, v47, v54 :: v_dual_mul_f32 v42, v48, v31
	v_dual_add_f32 v20, v20, v35 :: v_dual_mul_f32 v44, v49, v33
	s_delay_alu instid0(VALU_DEP_3) | instskip(SKIP_4) | instid1(VALU_DEP_3)
	v_fma_f32 v43, v48, v30, -v36
	ds_load_2addr_b64 v[34:37], v27 offset0:96 offset1:112
	v_dual_fmac_f32 v42, v49, v30 :: v_dual_add_f32 v22, v22, v39
	v_add_f32_e32 v39, v40, v43
	v_dual_fma_f32 v43, v48, v32, -v44 :: v_dual_mul_f32 v40, v48, v33
	v_add_f32_e32 v41, v41, v42
	v_dual_mul_f32 v42, v65, v31 :: v_dual_mul_f32 v31, v64, v31
	s_delay_alu instid0(VALU_DEP_3) | instskip(NEXT) | instid1(VALU_DEP_2)
	v_dual_add_f32 v28, v28, v43 :: v_dual_mul_f32 v43, v65, v33
	v_dual_fmac_f32 v40, v49, v32 :: v_dual_fma_f32 v42, v64, v30, -v42
	s_delay_alu instid0(VALU_DEP_3) | instskip(NEXT) | instid1(VALU_DEP_3)
	v_dual_fmac_f32 v31, v65, v30 :: v_dual_mul_f32 v44, v64, v33
	v_fma_f32 v30, v64, v32, -v43
	s_delay_alu instid0(VALU_DEP_3) | instskip(NEXT) | instid1(VALU_DEP_3)
	v_dual_add_f32 v45, v38, v40 :: v_dual_add_f32 v24, v24, v42
	v_dual_add_f32 v26, v26, v31 :: v_dual_fmac_f32 v44, v65, v32
	s_wait_dscnt 0x0
	s_delay_alu instid0(VALU_DEP_3) | instskip(SKIP_3) | instid1(VALU_DEP_2)
	v_dual_mul_f32 v38, v51, v35 :: v_dual_add_f32 v20, v20, v30
	ds_load_2addr_b64 v[30:33], v27 offset0:128 offset1:144
	v_dual_mul_f32 v40, v50, v35 :: v_dual_mul_f32 v42, v51, v37
	v_dual_fma_f32 v38, v50, v34, -v38 :: v_dual_mul_f32 v43, v50, v37
	v_dual_fmac_f32 v40, v51, v34 :: v_dual_add_f32 v22, v22, v44
	s_delay_alu instid0(VALU_DEP_2) | instskip(NEXT) | instid1(VALU_DEP_2)
	v_dual_add_f32 v44, v39, v38 :: v_dual_fma_f32 v42, v50, v36, -v42
	v_dual_mul_f32 v38, v67, v35 :: v_dual_add_f32 v46, v41, v40
	s_delay_alu instid0(VALU_DEP_4) | instskip(NEXT) | instid1(VALU_DEP_3)
	v_dual_fmac_f32 v43, v51, v36 :: v_dual_mul_f32 v35, v66, v35
	v_add_f32_e32 v28, v28, v42
	s_delay_alu instid0(VALU_DEP_3) | instskip(NEXT) | instid1(VALU_DEP_3)
	v_dual_fma_f32 v42, v66, v34, -v38 :: v_dual_mul_f32 v47, v67, v37
	v_add_f32_e32 v48, v45, v43
	ds_load_b128 v[38:41], v29 offset:1056
	v_dual_fmac_f32 v35, v67, v34 :: v_dual_mul_f32 v43, v66, v37
	v_dual_fma_f32 v34, v66, v36, -v47 :: v_dual_add_f32 v24, v24, v42
	s_wait_dscnt 0x1
	v_mul_f32_e32 v37, v57, v31
	s_delay_alu instid0(VALU_DEP_3) | instskip(NEXT) | instid1(VALU_DEP_3)
	v_dual_add_f32 v26, v26, v35 :: v_dual_fmac_f32 v43, v67, v36
	v_add_f32_e32 v20, v20, v34
	s_delay_alu instid0(VALU_DEP_3) | instskip(SKIP_4) | instid1(VALU_DEP_3)
	v_dual_mul_f32 v47, v56, v31 :: v_dual_fma_f32 v42, v56, v30, -v37
	ds_load_2addr_b64 v[34:37], v27 offset0:160 offset1:176
	v_dual_mul_f32 v45, v57, v33 :: v_dual_add_f32 v22, v22, v43
	v_dual_fmac_f32 v47, v57, v30 :: v_dual_mul_f32 v50, v56, v33
	v_add_f32_e32 v49, v44, v42
	v_fma_f32 v51, v56, v32, -v45
	ds_load_b128 v[42:45], v29 offset:1072
	v_add_f32_e32 v46, v46, v47
	s_wait_dscnt 0x2
	v_dual_mul_f32 v52, v39, v31 :: v_dual_fmac_f32 v50, v57, v32
	v_mul_f32_e32 v31, v38, v31
	v_dual_add_f32 v28, v28, v51 :: v_dual_mul_f32 v51, v39, v33
	s_delay_alu instid0(VALU_DEP_3) | instskip(NEXT) | instid1(VALU_DEP_4)
	v_fma_f32 v47, v38, v30, -v52
	v_add_f32_e32 v48, v48, v50
	s_delay_alu instid0(VALU_DEP_4) | instskip(NEXT) | instid1(VALU_DEP_3)
	v_dual_fmac_f32 v31, v39, v30 :: v_dual_mul_f32 v50, v38, v33
	v_dual_fma_f32 v30, v38, v32, -v51 :: v_dual_add_f32 v24, v24, v47
	s_wait_dscnt 0x1
	v_dual_mul_f32 v33, v59, v35 :: v_dual_mul_f32 v38, v58, v35
	s_delay_alu instid0(VALU_DEP_3) | instskip(NEXT) | instid1(VALU_DEP_3)
	v_dual_add_f32 v26, v26, v31 :: v_dual_fmac_f32 v50, v39, v32
	v_dual_add_f32 v20, v20, v30 :: v_dual_mul_f32 v47, v59, v37
	s_delay_alu instid0(VALU_DEP_3)
	v_dual_fma_f32 v39, v58, v34, -v33 :: v_dual_fmac_f32 v38, v59, v34
	ds_load_2addr_b64 v[30:33], v27 offset0:192 offset1:208
	v_add_f32_e32 v22, v22, v50
	v_dual_fma_f32 v47, v58, v36, -v47 :: v_dual_add_f32 v49, v49, v39
	v_mul_f32_e32 v39, v58, v37
	v_dual_add_f32 v46, v46, v38 :: v_dual_mul_f32 v38, v41, v35
	v_mul_f32_e32 v35, v40, v35
	s_delay_alu instid0(VALU_DEP_4) | instskip(NEXT) | instid1(VALU_DEP_3)
	v_dual_add_f32 v28, v28, v47 :: v_dual_mul_f32 v47, v41, v37
	v_dual_fmac_f32 v39, v59, v36 :: v_dual_fma_f32 v38, v40, v34, -v38
	s_delay_alu instid0(VALU_DEP_1) | instskip(NEXT) | instid1(VALU_DEP_3)
	v_dual_fmac_f32 v35, v41, v34 :: v_dual_add_f32 v34, v48, v39
	v_dual_mul_f32 v48, v40, v37 :: v_dual_fma_f32 v37, v40, v36, -v47
	s_delay_alu instid0(VALU_DEP_2) | instskip(SKIP_2) | instid1(VALU_DEP_3)
	v_dual_add_f32 v24, v24, v38 :: v_dual_add_f32 v26, v26, v35
	s_wait_dscnt 0x0
	v_mul_f32_e32 v35, v61, v31
	v_dual_fmac_f32 v48, v41, v36 :: v_dual_add_f32 v20, v20, v37
	ds_load_2addr_b64 v[36:39], v27 offset0:224 offset1:240
	v_dual_mul_f32 v40, v60, v31 :: v_dual_fma_f32 v35, v60, v30, -v35
	v_dual_add_f32 v22, v22, v48 :: v_dual_mul_f32 v41, v61, v33
	s_delay_alu instid0(VALU_DEP_2) | instskip(NEXT) | instid1(VALU_DEP_3)
	v_dual_mul_f32 v47, v60, v33 :: v_dual_fmac_f32 v40, v61, v30
	v_add_f32_e32 v35, v49, v35
	s_delay_alu instid0(VALU_DEP_3) | instskip(NEXT) | instid1(VALU_DEP_3)
	v_dual_mul_f32 v48, v43, v31 :: v_dual_fma_f32 v41, v60, v32, -v41
	v_dual_fmac_f32 v47, v61, v32 :: v_dual_mul_f32 v31, v42, v31
	s_delay_alu instid0(VALU_DEP_4) | instskip(NEXT) | instid1(VALU_DEP_3)
	v_add_f32_e32 v40, v46, v40
	v_dual_fma_f32 v46, v42, v30, -v48 :: v_dual_add_f32 v28, v28, v41
	s_delay_alu instid0(VALU_DEP_3) | instskip(NEXT) | instid1(VALU_DEP_4)
	v_dual_mul_f32 v41, v43, v33 :: v_dual_add_f32 v47, v34, v47
	v_dual_fmac_f32 v31, v43, v30 :: v_dual_mul_f32 v30, v42, v33
	s_delay_alu instid0(VALU_DEP_2) | instskip(SKIP_2) | instid1(VALU_DEP_3)
	v_dual_add_f32 v24, v24, v46 :: v_dual_fma_f32 v33, v42, v32, -v41
	s_wait_dscnt 0x0
	v_dual_mul_f32 v34, v63, v37 :: v_dual_mul_f32 v41, v62, v37
	v_dual_add_f32 v26, v26, v31 :: v_dual_fmac_f32 v30, v43, v32
	s_delay_alu instid0(VALU_DEP_2) | instskip(NEXT) | instid1(VALU_DEP_3)
	v_dual_add_f32 v20, v20, v33 :: v_dual_fma_f32 v31, v62, v36, -v34
	v_dual_fmac_f32 v41, v63, v36 :: v_dual_mul_f32 v33, v63, v39
	v_mul_f32_e32 v42, v62, v39
	s_delay_alu instid0(VALU_DEP_3) | instskip(NEXT) | instid1(VALU_DEP_3)
	v_dual_add_f32 v22, v22, v30 :: v_dual_add_f32 v32, v35, v31
	v_dual_add_f32 v34, v40, v41 :: v_dual_fma_f32 v30, v62, v38, -v33
	s_delay_alu instid0(VALU_DEP_3) | instskip(SKIP_2) | instid1(VALU_DEP_4)
	v_dual_fmac_f32 v42, v63, v38 :: v_dual_mul_f32 v31, v45, v37
	v_dual_mul_f32 v33, v44, v37 :: v_dual_mul_f32 v35, v45, v39
	v_mul_f32_e32 v37, v44, v39
	v_add_f32_e32 v28, v28, v30
	s_delay_alu instid0(VALU_DEP_3) | instskip(NEXT) | instid1(VALU_DEP_3)
	v_dual_fma_f32 v31, v44, v36, -v31 :: v_dual_fmac_f32 v33, v45, v36
	v_dual_fma_f32 v35, v44, v38, -v35 :: v_dual_fmac_f32 v37, v45, v38
	s_delay_alu instid0(VALU_DEP_2) | instskip(NEXT) | instid1(VALU_DEP_2)
	v_dual_add_f32 v30, v47, v42 :: v_dual_add_f32 v24, v24, v31
	v_dual_add_f32 v26, v26, v33 :: v_dual_add_f32 v20, v20, v35
	s_delay_alu instid0(VALU_DEP_3)
	v_add_f32_e32 v22, v22, v37
	s_barrier_signal -1
	s_barrier_wait -1
	s_cbranch_scc0 .LBB378_13
.LBB378_9:                              ;   Parent Loop BB378_6 Depth=1
                                        ; =>  This Inner Loop Header: Depth=2
	v_dual_mov_b32 v36, 0 :: v_dual_add_nc_u32 v31, s27, v2
	v_mov_b32_e32 v37, 0
	s_delay_alu instid0(VALU_DEP_2) | instskip(SKIP_2) | instid1(SALU_CYCLE_1)
	v_cmp_gt_i32_e32 vcc_lo, s9, v31
	s_wait_xcnt 0x0
	s_and_b32 s29, s0, vcc_lo
	s_and_saveexec_b32 s28, s29
	s_cbranch_execz .LBB378_11
; %bb.10:                               ;   in Loop: Header=BB378_9 Depth=2
	flat_load_b64 v[36:37], v[16:17]
.LBB378_11:                             ;   in Loop: Header=BB378_9 Depth=2
	s_wait_xcnt 0x0
	s_or_b32 exec_lo, exec_lo, s28
	v_dual_mov_b32 v38, 0 :: v_dual_add_nc_u32 v31, s27, v21
	v_mov_b32_e32 v39, 0
	s_wait_loadcnt_dscnt 0x0
	ds_store_b64 v23, v[36:37]
	v_cmp_gt_i32_e32 vcc_lo, s9, v31
	s_and_b32 s29, vcc_lo, s1
	s_delay_alu instid0(SALU_CYCLE_1)
	s_and_saveexec_b32 s28, s29
	s_cbranch_execz .LBB378_8
; %bb.12:                               ;   in Loop: Header=BB378_9 Depth=2
	flat_load_b64 v[38:39], v[18:19]
	s_branch .LBB378_8
.LBB378_13:                             ;   in Loop: Header=BB378_6 Depth=1
	s_wait_loadcnt 0x0
	s_wait_xcnt 0x0
	v_add_nc_u64_e32 v[14:15], s[18:19], v[14:15]
	s_delay_alu instid0(VALU_DEP_1)
	v_lshl_add_u64 v[16:17], v[4:5], 3, v[14:15]
	s_and_saveexec_b32 s27, s30
	s_cbranch_execz .LBB378_18
; %bb.14:                               ;   in Loop: Header=BB378_6 Depth=1
	v_mov_b64_e32 v[18:19], s[4:5]
	v_mov_b64_e32 v[36:37], s[10:11]
	s_and_b32 vcc_lo, exec_lo, s22
	s_mov_b32 s28, -1
	s_delay_alu instid0(VALU_DEP_2) | instskip(NEXT) | instid1(VALU_DEP_1)
	v_pk_mul_f32 v[18:19], v[34:35], v[18:19] op_sel_hi:[0,1]
	v_pk_fma_f32 v[34:35], v[32:33], v[36:37], v[18:19] op_sel_hi:[0,1,1]
	v_pk_fma_f32 v[18:19], v[32:33], v[36:37], v[18:19] neg_lo:[0,0,1] neg_hi:[0,0,1]
	v_lshl_add_u64 v[32:33], v[0:1], 3, v[16:17]
	s_delay_alu instid0(VALU_DEP_3)
	v_mov_b32_e32 v19, v35
	s_cbranch_vccz .LBB378_16
; %bb.15:                               ;   in Loop: Header=BB378_6 Depth=1
	flat_load_b64 v[34:35], v[32:33]
	v_mov_b64_e32 v[36:37], s[6:7]
	v_mov_b64_e32 v[38:39], s[2:3]
	s_mov_b32 s28, 0
	s_wait_loadcnt_dscnt 0x0
	s_delay_alu instid0(VALU_DEP_2) | instskip(NEXT) | instid1(VALU_DEP_1)
	v_pk_mul_f32 v[36:37], v[34:35], v[36:37]
	v_pk_fma_f32 v[40:41], v[34:35], v[38:39], v[36:37] op_sel:[0,0,1] op_sel_hi:[1,1,0]
	v_pk_fma_f32 v[34:35], v[34:35], v[38:39], v[36:37] op_sel:[0,0,1] op_sel_hi:[1,1,0] neg_lo:[0,0,1] neg_hi:[0,0,1]
	s_delay_alu instid0(VALU_DEP_2) | instskip(NEXT) | instid1(VALU_DEP_1)
	v_mov_b32_e32 v35, v41
	v_pk_add_f32 v[34:35], v[18:19], v[34:35]
	flat_store_b64 v[32:33], v[34:35]
.LBB378_16:                             ;   in Loop: Header=BB378_6 Depth=1
	s_and_not1_b32 vcc_lo, exec_lo, s28
	s_cbranch_vccnz .LBB378_18
; %bb.17:                               ;   in Loop: Header=BB378_6 Depth=1
	flat_store_b64 v[32:33], v[18:19]
.LBB378_18:                             ;   in Loop: Header=BB378_6 Depth=1
	s_wait_xcnt 0x0
	s_or_b32 exec_lo, exec_lo, s27
	s_and_saveexec_b32 s27, s8
	s_cbranch_execz .LBB378_23
; %bb.19:                               ;   in Loop: Header=BB378_6 Depth=1
	v_mov_b64_e32 v[18:19], s[4:5]
	v_mov_b64_e32 v[32:33], s[10:11]
	v_lshl_add_u64 v[16:17], v[6:7], 3, v[16:17]
	s_and_not1_b32 vcc_lo, exec_lo, s22
	s_mov_b32 s28, -1
	s_delay_alu instid0(VALU_DEP_3) | instskip(NEXT) | instid1(VALU_DEP_1)
	v_pk_mul_f32 v[18:19], v[30:31], v[18:19] op_sel_hi:[0,1]
	v_pk_fma_f32 v[30:31], v[28:29], v[32:33], v[18:19] op_sel_hi:[0,1,1]
	v_pk_fma_f32 v[18:19], v[28:29], v[32:33], v[18:19] neg_lo:[0,0,1] neg_hi:[0,0,1]
	s_delay_alu instid0(VALU_DEP_2)
	v_mov_b32_e32 v19, v31
	s_cbranch_vccnz .LBB378_21
; %bb.20:                               ;   in Loop: Header=BB378_6 Depth=1
	flat_load_b64 v[30:31], v[16:17]
	v_mov_b64_e32 v[32:33], s[6:7]
	v_mov_b64_e32 v[34:35], s[2:3]
	s_mov_b32 s28, 0
	s_wait_loadcnt_dscnt 0x0
	s_delay_alu instid0(VALU_DEP_2) | instskip(NEXT) | instid1(VALU_DEP_1)
	v_pk_mul_f32 v[32:33], v[30:31], v[32:33]
	v_pk_fma_f32 v[36:37], v[30:31], v[34:35], v[32:33] op_sel:[0,0,1] op_sel_hi:[1,1,0]
	v_pk_fma_f32 v[30:31], v[30:31], v[34:35], v[32:33] op_sel:[0,0,1] op_sel_hi:[1,1,0] neg_lo:[0,0,1] neg_hi:[0,0,1]
	s_delay_alu instid0(VALU_DEP_2) | instskip(NEXT) | instid1(VALU_DEP_1)
	v_mov_b32_e32 v31, v37
	v_pk_add_f32 v[30:31], v[18:19], v[30:31]
	flat_store_b64 v[16:17], v[30:31]
.LBB378_21:                             ;   in Loop: Header=BB378_6 Depth=1
	s_and_not1_b32 vcc_lo, exec_lo, s28
	s_cbranch_vccnz .LBB378_23
; %bb.22:                               ;   in Loop: Header=BB378_6 Depth=1
	flat_store_b64 v[16:17], v[18:19]
.LBB378_23:                             ;   in Loop: Header=BB378_6 Depth=1
	s_wait_xcnt 0x0
	s_or_b32 exec_lo, exec_lo, s27
	v_lshl_add_u64 v[14:15], v[8:9], 3, v[14:15]
	s_and_saveexec_b32 s27, s31
	s_cbranch_execz .LBB378_28
; %bb.24:                               ;   in Loop: Header=BB378_6 Depth=1
	v_mov_b64_e32 v[16:17], s[4:5]
	v_mov_b64_e32 v[18:19], s[10:11]
	s_and_not1_b32 vcc_lo, exec_lo, s22
	s_mov_b32 s28, -1
	s_delay_alu instid0(VALU_DEP_2) | instskip(NEXT) | instid1(VALU_DEP_1)
	v_pk_mul_f32 v[16:17], v[26:27], v[16:17] op_sel_hi:[0,1]
	v_pk_fma_f32 v[30:31], v[24:25], v[18:19], v[16:17] op_sel_hi:[0,1,1]
	v_pk_fma_f32 v[16:17], v[24:25], v[18:19], v[16:17] neg_lo:[0,0,1] neg_hi:[0,0,1]
	v_lshl_add_u64 v[18:19], v[0:1], 3, v[14:15]
	s_delay_alu instid0(VALU_DEP_3)
	v_mov_b32_e32 v17, v31
	s_cbranch_vccnz .LBB378_26
; %bb.25:                               ;   in Loop: Header=BB378_6 Depth=1
	flat_load_b64 v[30:31], v[18:19]
	v_mov_b64_e32 v[32:33], s[6:7]
	v_mov_b64_e32 v[34:35], s[2:3]
	s_mov_b32 s28, 0
	s_wait_loadcnt_dscnt 0x0
	s_delay_alu instid0(VALU_DEP_2) | instskip(NEXT) | instid1(VALU_DEP_1)
	v_pk_mul_f32 v[32:33], v[30:31], v[32:33]
	v_pk_fma_f32 v[36:37], v[30:31], v[34:35], v[32:33] op_sel:[0,0,1] op_sel_hi:[1,1,0]
	v_pk_fma_f32 v[30:31], v[30:31], v[34:35], v[32:33] op_sel:[0,0,1] op_sel_hi:[1,1,0] neg_lo:[0,0,1] neg_hi:[0,0,1]
	s_delay_alu instid0(VALU_DEP_2) | instskip(NEXT) | instid1(VALU_DEP_1)
	v_mov_b32_e32 v31, v37
	v_pk_add_f32 v[30:31], v[16:17], v[30:31]
	flat_store_b64 v[18:19], v[30:31]
.LBB378_26:                             ;   in Loop: Header=BB378_6 Depth=1
	s_and_not1_b32 vcc_lo, exec_lo, s28
	s_cbranch_vccnz .LBB378_28
; %bb.27:                               ;   in Loop: Header=BB378_6 Depth=1
	flat_store_b64 v[18:19], v[16:17]
.LBB378_28:                             ;   in Loop: Header=BB378_6 Depth=1
	s_wait_xcnt 0x0
	s_or_b32 exec_lo, exec_lo, s27
	s_and_saveexec_b32 s27, s33
	s_cbranch_execz .LBB378_5
; %bb.29:                               ;   in Loop: Header=BB378_6 Depth=1
	v_mov_b64_e32 v[16:17], s[4:5]
	v_mov_b64_e32 v[18:19], s[10:11]
	v_lshl_add_u64 v[14:15], v[6:7], 3, v[14:15]
	s_and_not1_b32 vcc_lo, exec_lo, s22
	s_mov_b32 s28, -1
	s_delay_alu instid0(VALU_DEP_3) | instskip(NEXT) | instid1(VALU_DEP_1)
	v_pk_mul_f32 v[16:17], v[22:23], v[16:17] op_sel_hi:[0,1]
	v_pk_fma_f32 v[30:31], v[20:21], v[18:19], v[16:17] op_sel_hi:[0,1,1]
	v_pk_fma_f32 v[16:17], v[20:21], v[18:19], v[16:17] neg_lo:[0,0,1] neg_hi:[0,0,1]
	s_delay_alu instid0(VALU_DEP_2)
	v_mov_b32_e32 v17, v31
	s_cbranch_vccnz .LBB378_31
; %bb.30:                               ;   in Loop: Header=BB378_6 Depth=1
	flat_load_b64 v[18:19], v[14:15]
	v_mov_b64_e32 v[30:31], s[6:7]
	v_mov_b64_e32 v[32:33], s[2:3]
	s_mov_b32 s28, 0
	s_wait_loadcnt_dscnt 0x0
	s_delay_alu instid0(VALU_DEP_2) | instskip(NEXT) | instid1(VALU_DEP_1)
	v_pk_mul_f32 v[30:31], v[18:19], v[30:31]
	v_pk_fma_f32 v[34:35], v[18:19], v[32:33], v[30:31] op_sel:[0,0,1] op_sel_hi:[1,1,0]
	v_pk_fma_f32 v[18:19], v[18:19], v[32:33], v[30:31] op_sel:[0,0,1] op_sel_hi:[1,1,0] neg_lo:[0,0,1] neg_hi:[0,0,1]
	s_delay_alu instid0(VALU_DEP_2) | instskip(NEXT) | instid1(VALU_DEP_1)
	v_mov_b32_e32 v19, v35
	v_pk_add_f32 v[18:19], v[16:17], v[18:19]
	flat_store_b64 v[14:15], v[18:19]
.LBB378_31:                             ;   in Loop: Header=BB378_6 Depth=1
	s_and_not1_b32 vcc_lo, exec_lo, s28
	s_cbranch_vccnz .LBB378_5
; %bb.32:                               ;   in Loop: Header=BB378_6 Depth=1
	flat_store_b64 v[14:15], v[16:17]
	s_branch .LBB378_5
.LBB378_33:
	s_sendmsg sendmsg(MSG_DEALLOC_VGPRS)
	s_endpgm
	.section	.rodata,"a",@progbits
	.p2align	6, 0x0
	.amdhsa_kernel _ZL29rocblas_internal_gemmt_kernelIiLi16ELi32ELi8ELc78ELc78ELc85ELb0ELb0E19rocblas_complex_numIfES1_PKPKS1_PKPS1_EviT_T9_T10_S9_lSB_S9_lSA_T11_S9_li
		.amdhsa_group_segment_fixed_size 4096
		.amdhsa_private_segment_fixed_size 0
		.amdhsa_kernarg_size 100
		.amdhsa_user_sgpr_count 2
		.amdhsa_user_sgpr_dispatch_ptr 0
		.amdhsa_user_sgpr_queue_ptr 0
		.amdhsa_user_sgpr_kernarg_segment_ptr 1
		.amdhsa_user_sgpr_dispatch_id 0
		.amdhsa_user_sgpr_kernarg_preload_length 0
		.amdhsa_user_sgpr_kernarg_preload_offset 0
		.amdhsa_user_sgpr_private_segment_size 0
		.amdhsa_wavefront_size32 1
		.amdhsa_uses_dynamic_stack 0
		.amdhsa_enable_private_segment 0
		.amdhsa_system_sgpr_workgroup_id_x 1
		.amdhsa_system_sgpr_workgroup_id_y 1
		.amdhsa_system_sgpr_workgroup_id_z 1
		.amdhsa_system_sgpr_workgroup_info 0
		.amdhsa_system_vgpr_workitem_id 1
		.amdhsa_next_free_vgpr 71
		.amdhsa_next_free_sgpr 36
		.amdhsa_named_barrier_count 0
		.amdhsa_reserve_vcc 1
		.amdhsa_float_round_mode_32 0
		.amdhsa_float_round_mode_16_64 0
		.amdhsa_float_denorm_mode_32 3
		.amdhsa_float_denorm_mode_16_64 3
		.amdhsa_fp16_overflow 0
		.amdhsa_memory_ordered 1
		.amdhsa_forward_progress 1
		.amdhsa_inst_pref_size 26
		.amdhsa_round_robin_scheduling 0
		.amdhsa_exception_fp_ieee_invalid_op 0
		.amdhsa_exception_fp_denorm_src 0
		.amdhsa_exception_fp_ieee_div_zero 0
		.amdhsa_exception_fp_ieee_overflow 0
		.amdhsa_exception_fp_ieee_underflow 0
		.amdhsa_exception_fp_ieee_inexact 0
		.amdhsa_exception_int_div_zero 0
	.end_amdhsa_kernel
	.section	.text._ZL29rocblas_internal_gemmt_kernelIiLi16ELi32ELi8ELc78ELc78ELc85ELb0ELb0E19rocblas_complex_numIfES1_PKPKS1_PKPS1_EviT_T9_T10_S9_lSB_S9_lSA_T11_S9_li,"axG",@progbits,_ZL29rocblas_internal_gemmt_kernelIiLi16ELi32ELi8ELc78ELc78ELc85ELb0ELb0E19rocblas_complex_numIfES1_PKPKS1_PKPS1_EviT_T9_T10_S9_lSB_S9_lSA_T11_S9_li,comdat
.Lfunc_end378:
	.size	_ZL29rocblas_internal_gemmt_kernelIiLi16ELi32ELi8ELc78ELc78ELc85ELb0ELb0E19rocblas_complex_numIfES1_PKPKS1_PKPS1_EviT_T9_T10_S9_lSB_S9_lSA_T11_S9_li, .Lfunc_end378-_ZL29rocblas_internal_gemmt_kernelIiLi16ELi32ELi8ELc78ELc78ELc85ELb0ELb0E19rocblas_complex_numIfES1_PKPKS1_PKPS1_EviT_T9_T10_S9_lSB_S9_lSA_T11_S9_li
                                        ; -- End function
	.set _ZL29rocblas_internal_gemmt_kernelIiLi16ELi32ELi8ELc78ELc78ELc85ELb0ELb0E19rocblas_complex_numIfES1_PKPKS1_PKPS1_EviT_T9_T10_S9_lSB_S9_lSA_T11_S9_li.num_vgpr, 71
	.set _ZL29rocblas_internal_gemmt_kernelIiLi16ELi32ELi8ELc78ELc78ELc85ELb0ELb0E19rocblas_complex_numIfES1_PKPKS1_PKPS1_EviT_T9_T10_S9_lSB_S9_lSA_T11_S9_li.num_agpr, 0
	.set _ZL29rocblas_internal_gemmt_kernelIiLi16ELi32ELi8ELc78ELc78ELc85ELb0ELb0E19rocblas_complex_numIfES1_PKPKS1_PKPS1_EviT_T9_T10_S9_lSB_S9_lSA_T11_S9_li.numbered_sgpr, 36
	.set _ZL29rocblas_internal_gemmt_kernelIiLi16ELi32ELi8ELc78ELc78ELc85ELb0ELb0E19rocblas_complex_numIfES1_PKPKS1_PKPS1_EviT_T9_T10_S9_lSB_S9_lSA_T11_S9_li.num_named_barrier, 0
	.set _ZL29rocblas_internal_gemmt_kernelIiLi16ELi32ELi8ELc78ELc78ELc85ELb0ELb0E19rocblas_complex_numIfES1_PKPKS1_PKPS1_EviT_T9_T10_S9_lSB_S9_lSA_T11_S9_li.private_seg_size, 0
	.set _ZL29rocblas_internal_gemmt_kernelIiLi16ELi32ELi8ELc78ELc78ELc85ELb0ELb0E19rocblas_complex_numIfES1_PKPKS1_PKPS1_EviT_T9_T10_S9_lSB_S9_lSA_T11_S9_li.uses_vcc, 1
	.set _ZL29rocblas_internal_gemmt_kernelIiLi16ELi32ELi8ELc78ELc78ELc85ELb0ELb0E19rocblas_complex_numIfES1_PKPKS1_PKPS1_EviT_T9_T10_S9_lSB_S9_lSA_T11_S9_li.uses_flat_scratch, 0
	.set _ZL29rocblas_internal_gemmt_kernelIiLi16ELi32ELi8ELc78ELc78ELc85ELb0ELb0E19rocblas_complex_numIfES1_PKPKS1_PKPS1_EviT_T9_T10_S9_lSB_S9_lSA_T11_S9_li.has_dyn_sized_stack, 0
	.set _ZL29rocblas_internal_gemmt_kernelIiLi16ELi32ELi8ELc78ELc78ELc85ELb0ELb0E19rocblas_complex_numIfES1_PKPKS1_PKPS1_EviT_T9_T10_S9_lSB_S9_lSA_T11_S9_li.has_recursion, 0
	.set _ZL29rocblas_internal_gemmt_kernelIiLi16ELi32ELi8ELc78ELc78ELc85ELb0ELb0E19rocblas_complex_numIfES1_PKPKS1_PKPS1_EviT_T9_T10_S9_lSB_S9_lSA_T11_S9_li.has_indirect_call, 0
	.section	.AMDGPU.csdata,"",@progbits
; Kernel info:
; codeLenInByte = 3224
; TotalNumSgprs: 38
; NumVgprs: 71
; ScratchSize: 0
; MemoryBound: 0
; FloatMode: 240
; IeeeMode: 1
; LDSByteSize: 4096 bytes/workgroup (compile time only)
; SGPRBlocks: 0
; VGPRBlocks: 4
; NumSGPRsForWavesPerEU: 38
; NumVGPRsForWavesPerEU: 71
; NamedBarCnt: 0
; Occupancy: 12
; WaveLimiterHint : 1
; COMPUTE_PGM_RSRC2:SCRATCH_EN: 0
; COMPUTE_PGM_RSRC2:USER_SGPR: 2
; COMPUTE_PGM_RSRC2:TRAP_HANDLER: 0
; COMPUTE_PGM_RSRC2:TGID_X_EN: 1
; COMPUTE_PGM_RSRC2:TGID_Y_EN: 1
; COMPUTE_PGM_RSRC2:TGID_Z_EN: 1
; COMPUTE_PGM_RSRC2:TIDIG_COMP_CNT: 1
	.section	.text._ZL29rocblas_internal_gemmt_kernelIiLi16ELi32ELi8ELc78ELc84ELc85ELb0ELb0E19rocblas_complex_numIfES1_PKPKS1_PKPS1_EviT_T9_T10_S9_lSB_S9_lSA_T11_S9_li,"axG",@progbits,_ZL29rocblas_internal_gemmt_kernelIiLi16ELi32ELi8ELc78ELc84ELc85ELb0ELb0E19rocblas_complex_numIfES1_PKPKS1_PKPS1_EviT_T9_T10_S9_lSB_S9_lSA_T11_S9_li,comdat
	.globl	_ZL29rocblas_internal_gemmt_kernelIiLi16ELi32ELi8ELc78ELc84ELc85ELb0ELb0E19rocblas_complex_numIfES1_PKPKS1_PKPS1_EviT_T9_T10_S9_lSB_S9_lSA_T11_S9_li ; -- Begin function _ZL29rocblas_internal_gemmt_kernelIiLi16ELi32ELi8ELc78ELc84ELc85ELb0ELb0E19rocblas_complex_numIfES1_PKPKS1_PKPS1_EviT_T9_T10_S9_lSB_S9_lSA_T11_S9_li
	.p2align	8
	.type	_ZL29rocblas_internal_gemmt_kernelIiLi16ELi32ELi8ELc78ELc84ELc85ELb0ELb0E19rocblas_complex_numIfES1_PKPKS1_PKPS1_EviT_T9_T10_S9_lSB_S9_lSA_T11_S9_li,@function
_ZL29rocblas_internal_gemmt_kernelIiLi16ELi32ELi8ELc78ELc84ELc85ELb0ELb0E19rocblas_complex_numIfES1_PKPKS1_PKPS1_EviT_T9_T10_S9_lSB_S9_lSA_T11_S9_li: ; @_ZL29rocblas_internal_gemmt_kernelIiLi16ELi32ELi8ELc78ELc84ELc85ELb0ELb0E19rocblas_complex_numIfES1_PKPKS1_PKPS1_EviT_T9_T10_S9_lSB_S9_lSA_T11_S9_li
; %bb.0:
	s_clause 0x1
	s_load_b64 s[6:7], s[0:1], 0x40
	s_load_b128 s[8:11], s[0:1], 0x0
	s_wait_kmcnt 0x0
	s_cmp_neq_f32 s6, 1.0
	s_cselect_b32 s2, -1, 0
	s_and_b32 s4, s7, 0x7fffffff
	s_delay_alu instid0(SALU_CYCLE_1) | instskip(SKIP_3) | instid1(SALU_CYCLE_1)
	s_cmp_eq_u32 s4, 0
	s_cselect_b32 s3, -1, 0
	s_cmp_lg_u32 s4, 0
	s_cselect_b32 s4, -1, 0
	s_or_b32 s2, s2, s4
	s_delay_alu instid0(SALU_CYCLE_1)
	s_and_b32 vcc_lo, exec_lo, s2
	s_cbranch_vccnz .LBB379_2
; %bb.1:
	s_cmp_lg_u32 s9, 0
	s_cselect_b32 s2, -1, 0
	s_cmp_neq_f32 s10, 0
	s_cselect_b32 s4, -1, 0
	s_cmp_neq_f32 s11, 0
	s_cselect_b32 s5, -1, 0
	s_delay_alu instid0(SALU_CYCLE_1) | instskip(NEXT) | instid1(SALU_CYCLE_1)
	s_or_b32 s4, s4, s5
	s_and_b32 s2, s2, s4
.LBB379_2:
	s_delay_alu instid0(SALU_CYCLE_1)
	s_and_not1_b32 vcc_lo, exec_lo, s2
	s_cbranch_vccnz .LBB379_33
; %bb.3:
	s_load_b32 s33, s[0:1], 0x60
	s_bfe_u32 s2, ttmp6, 0x40014
	s_lshr_b32 s4, ttmp7, 16
	s_add_co_i32 s2, s2, 1
	s_bfe_u32 s12, ttmp6, 0x40008
	s_mul_i32 s5, s4, s2
	s_getreg_b32 s2, hwreg(HW_REG_IB_STS2, 6, 4)
	s_add_co_i32 s12, s12, s5
	s_cmp_eq_u32 s2, 0
	s_mov_b32 s25, 0
	s_cselect_b32 s24, s4, s12
	s_wait_kmcnt 0x0
	s_cmp_ge_u32 s24, s33
	s_cbranch_scc1 .LBB379_33
; %bb.4:
	s_clause 0x2
	s_load_b96 s[16:18], s[0:1], 0x10
	s_load_b32 s26, s[0:1], 0x30
	s_load_b96 s[20:22], s[0:1], 0x48
	v_and_b32_e32 v4, 0x3ff, v0
	v_bfe_u32 v5, v0, 10, 10
	s_clause 0x2
	s_load_b128 s[12:15], s[0:1], 0x20
	s_load_b64 s[28:29], s[0:1], 0x38
	s_load_b64 s[30:31], s[0:1], 0x58
	s_wait_xcnt 0x0
	s_bfe_u32 s1, ttmp6, 0x4000c
	s_bfe_u32 s5, ttmp6, 0x40010
	s_and_b32 s4, ttmp7, 0xffff
	s_add_co_i32 s1, s1, 1
	s_add_co_i32 s5, s5, 1
	v_lshl_add_u32 v1, v5, 4, v4
	s_and_b32 s0, ttmp6, 15
	s_bfe_u32 s23, ttmp6, 0x40004
	s_mul_i32 s1, ttmp9, s1
	s_mul_i32 s34, s4, s5
	s_add_co_i32 s0, s0, s1
	s_add_co_i32 s23, s23, s34
	v_dual_lshrrev_b32 v2, 5, v1 :: v_dual_bitop2_b32 v0, 7, v0 bitop3:0x40
	s_wait_kmcnt 0x0
	s_ashr_i32 s19, s18, 31
	s_ashr_i32 s27, s26, 31
	;; [unrolled: 1-line block ×3, first 2 shown]
	s_cmp_eq_u32 s2, 0
	v_dual_lshrrev_b32 v6, 3, v1 :: v_dual_bitop2_b32 v1, 31, v1 bitop3:0x40
	s_cselect_b32 s0, ttmp9, s0
	s_cselect_b32 s1, s4, s23
	s_lshl_b32 s2, s0, 5
	s_lshl_b32 s23, s1, 5
	s_delay_alu instid0(SALU_CYCLE_1) | instskip(SKIP_2) | instid1(VALU_DEP_3)
	v_dual_add_nc_u32 v14, s23, v6 :: v_dual_bitop2_b32 v12, s2, v1 bitop3:0x54
	v_dual_lshlrev_b32 v1, 3, v1 :: v_dual_lshlrev_b32 v7, 3, v0
	v_dual_mov_b32 v3, 0 :: v_dual_add_nc_u32 v16, s23, v5
	v_ashrrev_i32_e32 v15, 31, v14
	s_delay_alu instid0(VALU_DEP_3) | instskip(SKIP_1) | instid1(VALU_DEP_3)
	v_lshl_or_b32 v23, v2, 8, v1
	s_cmp_neq_f32 s10, 0
	v_mov_b32_e32 v1, v3
	v_mul_u64_e32 v[18:19], s[18:19], v[2:3]
	v_dual_add_nc_u32 v26, 16, v16 :: v_dual_ashrrev_i32 v17, 31, v16
	v_lshl_or_b32 v6, v6, 6, v7
	s_delay_alu instid0(VALU_DEP_4) | instskip(SKIP_1) | instid1(VALU_DEP_4)
	v_mul_u64_e32 v[20:21], s[26:27], v[0:1]
	v_dual_lshlrev_b32 v1, 3, v4 :: v_dual_add_nc_u32 v4, s2, v4
	v_ashrrev_i32_e32 v27, 31, v26
	s_cselect_b32 s0, -1, 0
	s_cmp_neq_f32 s11, 0
	s_mov_b32 s4, s22
	v_add_nc_u32_e32 v25, 0x800, v6
	v_mul_u64_e32 v[6:7], s[4:5], v[16:17]
	v_add_nc_u32_e32 v8, 16, v4
	v_mul_u64_e32 v[10:11], s[4:5], v[26:27]
	s_cselect_b32 s1, -1, 0
	v_cmp_le_i32_e64 s4, v4, v26
	s_or_b32 s22, s0, s1
	s_cmp_gt_i32 s9, 0
	v_cmp_le_i32_e64 s5, v8, v26
	s_cselect_b32 s38, -1, 0
	s_cmp_neq_f32 s6, 0
	v_cmp_gt_i32_e32 vcc_lo, s8, v16
	v_cmp_le_i32_e64 s2, v4, v16
	v_ashrrev_i32_e32 v13, 31, v12
	s_cselect_b32 s23, -1, 0
	s_xor_b32 s3, s3, -1
	v_cmp_gt_i32_e64 s0, s8, v12
	s_or_b32 s34, s23, s3
	v_cmp_gt_i32_e64 s3, s8, v26
	s_and_b32 s35, vcc_lo, s2
	v_cmp_le_i32_e64 s2, v8, v16
	v_cmp_gt_i32_e64 s1, s8, v14
	v_lshl_add_u32 v27, v5, 6, 0x800
	s_and_b32 s36, s3, s4
	s_and_b32 s37, s3, s5
	s_lshl_b64 s[4:5], s[12:13], 3
	v_ashrrev_i32_e32 v5, 31, v4
	v_lshl_add_u64 v[16:17], v[18:19], 3, s[4:5]
	s_lshl_b64 s[4:5], s[28:29], 3
	v_ashrrev_i32_e32 v9, 31, v8
	v_lshl_add_u64 v[18:19], v[20:21], 3, s[4:5]
	s_and_b32 s8, vcc_lo, s2
	v_lshl_add_u64 v[12:13], v[12:13], 3, v[16:17]
	s_mov_b32 s2, s6
	s_mov_b32 s3, s6
	v_lshl_add_u64 v[14:15], v[14:15], 3, v[18:19]
	s_mov_b32 s6, s7
	s_mov_b32 s4, s11
	;; [unrolled: 1-line block ×3, first 2 shown]
	s_and_b32 s28, s22, s38
	s_lshl_b64 s[12:13], s[18:19], 6
	s_lshl_b64 s[18:19], s[26:27], 6
	;; [unrolled: 1-line block ×3, first 2 shown]
	s_branch .LBB379_6
.LBB379_5:                              ;   in Loop: Header=BB379_6 Depth=1
	s_wait_xcnt 0x0
	s_or_b32 exec_lo, exec_lo, s26
	s_add_co_i32 s24, s24, 0x10000
	s_delay_alu instid0(SALU_CYCLE_1)
	s_cmp_lt_u32 s24, s33
	s_cbranch_scc0 .LBB379_33
.LBB379_6:                              ; =>This Loop Header: Depth=1
                                        ;     Child Loop BB379_9 Depth 2
	v_dual_mov_b32 v16, s24 :: v_dual_mov_b32 v34, 0
	v_dual_mov_b32 v36, 0 :: v_dual_mov_b32 v30, 0
	;; [unrolled: 1-line block ×3, first 2 shown]
	global_load_b64 v[16:17], v16, s[20:21] scale_offset
	v_dual_mov_b32 v28, 0 :: v_dual_mov_b32 v22, 0
	v_mov_b32_e32 v24, 0
	s_and_not1_b32 vcc_lo, exec_lo, s28
	s_cbranch_vccnz .LBB379_13
; %bb.7:                                ;   in Loop: Header=BB379_6 Depth=1
	s_lshl_b64 s[26:27], s[24:25], 3
	v_dual_mov_b32 v24, 0 :: v_dual_mov_b32 v22, 0
	s_add_nc_u64 s[30:31], s[16:17], s[26:27]
	s_add_nc_u64 s[26:27], s[14:15], s[26:27]
	s_clause 0x1
	global_load_b64 v[18:19], v3, s[30:31]
	global_load_b64 v[20:21], v3, s[26:27]
	v_dual_mov_b32 v28, 0 :: v_dual_mov_b32 v26, 0
	v_dual_mov_b32 v32, 0 :: v_dual_mov_b32 v30, 0
	;; [unrolled: 1-line block ×3, first 2 shown]
	s_wait_xcnt 0x0
	s_mov_b32 s26, 0
	s_wait_loadcnt 0x1
	v_add_nc_u64_e32 v[18:19], v[18:19], v[12:13]
	s_wait_loadcnt 0x0
	v_add_nc_u64_e32 v[20:21], v[20:21], v[14:15]
	s_branch .LBB379_9
.LBB379_8:                              ;   in Loop: Header=BB379_9 Depth=2
	s_wait_xcnt 0x0
	s_or_b32 exec_lo, exec_lo, s27
	s_wait_loadcnt_dscnt 0x0
	ds_store_b64 v25, v[40:41]
	s_wait_dscnt 0x0
	s_barrier_signal -1
	s_barrier_wait -1
	ds_load_b128 v[38:41], v27
	ds_load_2addr_b64 v[42:45], v1 offset1:16
	ds_load_b128 v[46:49], v27 offset:1024
	ds_load_b128 v[50:53], v27 offset:16
	ds_load_2addr_b64 v[54:57], v1 offset0:32 offset1:48
	ds_load_b128 v[58:61], v27 offset:32
	ds_load_b128 v[62:65], v27 offset:48
	;; [unrolled: 1-line block ×3, first 2 shown]
	v_add_nc_u64_e32 v[18:19], s[12:13], v[18:19]
	v_add_nc_u64_e32 v[20:21], s[18:19], v[20:21]
	s_add_co_i32 s26, s26, 8
	s_delay_alu instid0(SALU_CYCLE_1)
	s_cmp_lt_i32 s26, s9
	s_wait_dscnt 0x6
	v_dual_mul_f32 v29, v39, v43 :: v_dual_mul_f32 v31, v38, v43
	v_dual_mul_f32 v33, v39, v45 :: v_dual_mul_f32 v35, v38, v45
	s_wait_dscnt 0x5
	v_dual_mul_f32 v37, v47, v43 :: v_dual_mul_f32 v43, v46, v43
	v_dual_mul_f32 v70, v47, v45 :: v_dual_mul_f32 v45, v46, v45
	v_dual_fma_f32 v29, v38, v42, -v29 :: v_dual_fmac_f32 v31, v39, v42
	v_dual_fma_f32 v33, v38, v44, -v33 :: v_dual_fmac_f32 v35, v39, v44
	s_delay_alu instid0(VALU_DEP_4) | instskip(NEXT) | instid1(VALU_DEP_3)
	v_dual_fma_f32 v37, v46, v42, -v37 :: v_dual_fmac_f32 v43, v47, v42
	v_dual_fma_f32 v38, v46, v44, -v70 :: v_dual_add_f32 v36, v36, v31
	s_delay_alu instid0(VALU_DEP_3) | instskip(NEXT) | instid1(VALU_DEP_3)
	v_dual_add_f32 v34, v34, v29 :: v_dual_add_f32 v32, v32, v35
	v_dual_add_f32 v33, v30, v33 :: v_dual_add_f32 v35, v28, v43
	s_wait_dscnt 0x3
	v_dual_add_f32 v26, v26, v37 :: v_dual_mul_f32 v37, v41, v55
	ds_load_2addr_b64 v[28:31], v1 offset0:64 offset1:80
	v_dual_fmac_f32 v45, v47, v44 :: v_dual_add_f32 v22, v22, v38
	v_dual_mul_f32 v38, v40, v55 :: v_dual_fma_f32 v37, v40, v54, -v37
	v_mul_f32_e32 v39, v41, v57
	s_delay_alu instid0(VALU_DEP_2) | instskip(SKIP_1) | instid1(VALU_DEP_3)
	v_dual_add_f32 v24, v24, v45 :: v_dual_fmac_f32 v38, v41, v54
	v_mul_f32_e32 v42, v40, v57
	v_dual_add_f32 v37, v34, v37 :: v_dual_fma_f32 v34, v40, v56, -v39
	s_delay_alu instid0(VALU_DEP_3) | instskip(NEXT) | instid1(VALU_DEP_3)
	v_dual_mul_f32 v39, v49, v55 :: v_dual_add_f32 v36, v36, v38
	v_dual_fmac_f32 v42, v41, v56 :: v_dual_mul_f32 v38, v48, v55
	s_delay_alu instid0(VALU_DEP_3) | instskip(NEXT) | instid1(VALU_DEP_3)
	v_dual_add_f32 v40, v33, v34 :: v_dual_mul_f32 v41, v48, v57
	v_dual_fma_f32 v33, v48, v54, -v39 :: v_dual_mul_f32 v34, v49, v57
	s_delay_alu instid0(VALU_DEP_3) | instskip(NEXT) | instid1(VALU_DEP_3)
	v_add_f32_e32 v39, v32, v42
	v_dual_fmac_f32 v38, v49, v54 :: v_dual_fmac_f32 v41, v49, v56
	s_wait_dscnt 0x0
	v_mul_f32_e32 v42, v50, v29
	v_add_f32_e32 v26, v26, v33
	v_dual_mul_f32 v33, v51, v29 :: v_dual_fma_f32 v32, v48, v56, -v34
	v_add_f32_e32 v38, v35, v38
	s_delay_alu instid0(VALU_DEP_4) | instskip(NEXT) | instid1(VALU_DEP_3)
	v_dual_mul_f32 v44, v51, v31 :: v_dual_fmac_f32 v42, v51, v28
	v_fma_f32 v43, v50, v28, -v33
	s_delay_alu instid0(VALU_DEP_4) | instskip(SKIP_4) | instid1(VALU_DEP_3)
	v_add_f32_e32 v22, v22, v32
	ds_load_2addr_b64 v[32:35], v1 offset0:96 offset1:112
	v_dual_add_f32 v24, v24, v41 :: v_dual_mul_f32 v41, v50, v31
	v_dual_add_f32 v37, v37, v43 :: v_dual_fma_f32 v43, v50, v30, -v44
	v_dual_add_f32 v36, v36, v42 :: v_dual_mul_f32 v42, v67, v29
	v_dual_mul_f32 v29, v66, v29 :: v_dual_fmac_f32 v41, v51, v30
	s_delay_alu instid0(VALU_DEP_3) | instskip(NEXT) | instid1(VALU_DEP_3)
	v_add_f32_e32 v40, v40, v43
	v_dual_mul_f32 v43, v67, v31 :: v_dual_fma_f32 v42, v66, v28, -v42
	s_delay_alu instid0(VALU_DEP_3) | instskip(NEXT) | instid1(VALU_DEP_2)
	v_dual_fmac_f32 v29, v67, v28 :: v_dual_mul_f32 v44, v66, v31
	v_dual_add_f32 v41, v39, v41 :: v_dual_fma_f32 v28, v66, v30, -v43
	s_delay_alu instid0(VALU_DEP_3) | instskip(NEXT) | instid1(VALU_DEP_3)
	v_add_f32_e32 v26, v26, v42
	v_dual_add_f32 v42, v38, v29 :: v_dual_fmac_f32 v44, v67, v30
	s_wait_dscnt 0x0
	s_delay_alu instid0(VALU_DEP_3)
	v_dual_mul_f32 v38, v53, v33 :: v_dual_add_f32 v22, v22, v28
	v_mul_f32_e32 v39, v52, v33
	ds_load_2addr_b64 v[28:31], v1 offset0:128 offset1:144
	v_dual_mul_f32 v43, v53, v35 :: v_dual_fma_f32 v38, v52, v32, -v38
	v_fmac_f32_e32 v39, v53, v32
	v_add_f32_e32 v24, v24, v44
	s_delay_alu instid0(VALU_DEP_3) | instskip(NEXT) | instid1(VALU_DEP_4)
	v_dual_mul_f32 v44, v52, v35 :: v_dual_fma_f32 v43, v52, v34, -v43
	v_add_f32_e32 v45, v37, v38
	s_delay_alu instid0(VALU_DEP_4) | instskip(NEXT) | instid1(VALU_DEP_3)
	v_dual_mul_f32 v37, v69, v33 :: v_dual_add_f32 v46, v36, v39
	v_dual_fmac_f32 v44, v53, v34 :: v_dual_add_f32 v47, v40, v43
	s_delay_alu instid0(VALU_DEP_2)
	v_dual_mul_f32 v33, v68, v33 :: v_dual_fma_f32 v40, v68, v32, -v37
	v_mul_f32_e32 v43, v69, v35
	ds_load_b128 v[36:39], v27 offset:1056
	v_dual_add_f32 v44, v41, v44 :: v_dual_mul_f32 v41, v68, v35
	v_dual_fmac_f32 v33, v69, v32 :: v_dual_fma_f32 v32, v68, v34, -v43
	s_wait_dscnt 0x1
	v_dual_add_f32 v26, v26, v40 :: v_dual_mul_f32 v35, v59, v29
	s_delay_alu instid0(VALU_DEP_2) | instskip(NEXT) | instid1(VALU_DEP_3)
	v_dual_fmac_f32 v41, v69, v34 :: v_dual_add_f32 v48, v42, v33
	v_dual_mul_f32 v42, v59, v31 :: v_dual_add_f32 v22, v22, v32
	s_delay_alu instid0(VALU_DEP_3)
	v_dual_mul_f32 v49, v58, v29 :: v_dual_fma_f32 v40, v58, v28, -v35
	ds_load_2addr_b64 v[32:35], v1 offset0:160 offset1:176
	v_dual_add_f32 v24, v24, v41 :: v_dual_mul_f32 v50, v58, v31
	v_fmac_f32_e32 v49, v59, v28
	v_dual_add_f32 v45, v45, v40 :: v_dual_fma_f32 v51, v58, v30, -v42
	ds_load_b128 v[40:43], v27 offset:1072
	s_wait_dscnt 0x2
	v_dual_mul_f32 v52, v37, v29 :: v_dual_fmac_f32 v50, v59, v30
	v_dual_add_f32 v46, v46, v49 :: v_dual_add_f32 v47, v47, v51
	s_delay_alu instid0(VALU_DEP_2) | instskip(NEXT) | instid1(VALU_DEP_3)
	v_dual_mul_f32 v29, v36, v29 :: v_dual_fma_f32 v49, v36, v28, -v52
	v_dual_mul_f32 v51, v37, v31 :: v_dual_add_f32 v44, v44, v50
	s_delay_alu instid0(VALU_DEP_2) | instskip(NEXT) | instid1(VALU_DEP_2)
	v_dual_mul_f32 v50, v36, v31 :: v_dual_fmac_f32 v29, v37, v28
	v_dual_add_f32 v26, v26, v49 :: v_dual_fma_f32 v28, v36, v30, -v51
	s_wait_dscnt 0x1
	v_mul_f32_e32 v31, v61, v33
	s_delay_alu instid0(VALU_DEP_3) | instskip(NEXT) | instid1(VALU_DEP_3)
	v_dual_add_f32 v36, v48, v29 :: v_dual_fmac_f32 v50, v37, v30
	v_dual_mul_f32 v37, v60, v33 :: v_dual_add_f32 v22, v22, v28
	s_delay_alu instid0(VALU_DEP_3) | instskip(SKIP_3) | instid1(VALU_DEP_2)
	v_dual_mul_f32 v49, v61, v35 :: v_dual_fma_f32 v48, v60, v32, -v31
	ds_load_2addr_b64 v[28:31], v1 offset0:192 offset1:208
	v_dual_fmac_f32 v37, v61, v32 :: v_dual_add_f32 v24, v24, v50
	v_dual_fma_f32 v49, v60, v34, -v49 :: v_dual_add_f32 v48, v45, v48
	v_dual_mul_f32 v45, v60, v35 :: v_dual_add_f32 v37, v46, v37
	v_dual_mul_f32 v46, v39, v33 :: v_dual_mul_f32 v33, v38, v33
	s_delay_alu instid0(VALU_DEP_2) | instskip(NEXT) | instid1(VALU_DEP_2)
	v_dual_add_f32 v49, v47, v49 :: v_dual_fmac_f32 v45, v61, v34
	v_dual_mul_f32 v47, v39, v35 :: v_dual_fma_f32 v46, v38, v32, -v46
	s_delay_alu instid0(VALU_DEP_3) | instskip(NEXT) | instid1(VALU_DEP_2)
	v_dual_fmac_f32 v33, v39, v32 :: v_dual_mul_f32 v35, v38, v35
	v_dual_add_f32 v32, v44, v45 :: v_dual_fma_f32 v38, v38, v34, -v47
	s_delay_alu instid0(VALU_DEP_2)
	v_dual_add_f32 v26, v26, v46 :: v_dual_add_f32 v33, v36, v33
	ds_load_2addr_b64 v[44:47], v1 offset0:224 offset1:240
	s_wait_dscnt 0x1
	v_mul_f32_e32 v36, v63, v29
	v_dual_fmac_f32 v35, v39, v34 :: v_dual_mul_f32 v34, v62, v29
	v_add_f32_e32 v22, v22, v38
	s_delay_alu instid0(VALU_DEP_3) | instskip(NEXT) | instid1(VALU_DEP_3)
	v_dual_mul_f32 v38, v62, v31 :: v_dual_fma_f32 v36, v62, v28, -v36
	v_add_f32_e32 v24, v24, v35
	s_delay_alu instid0(VALU_DEP_4) | instskip(NEXT) | instid1(VALU_DEP_3)
	v_dual_mul_f32 v35, v63, v31 :: v_dual_fmac_f32 v34, v63, v28
	v_dual_mul_f32 v39, v41, v29 :: v_dual_add_f32 v36, v48, v36
	s_delay_alu instid0(VALU_DEP_2) | instskip(NEXT) | instid1(VALU_DEP_3)
	v_dual_fmac_f32 v38, v63, v30 :: v_dual_fma_f32 v35, v62, v30, -v35
	v_dual_add_f32 v37, v37, v34 :: v_dual_mul_f32 v29, v40, v29
	s_delay_alu instid0(VALU_DEP_3) | instskip(NEXT) | instid1(VALU_DEP_3)
	v_dual_fma_f32 v34, v40, v28, -v39 :: v_dual_mul_f32 v39, v41, v31
	v_dual_add_f32 v32, v32, v38 :: v_dual_add_f32 v35, v49, v35
	s_delay_alu instid0(VALU_DEP_2) | instskip(NEXT) | instid1(VALU_DEP_3)
	v_dual_fmac_f32 v29, v41, v28 :: v_dual_add_f32 v26, v26, v34
	v_dual_mul_f32 v28, v40, v31 :: v_dual_fma_f32 v31, v40, v30, -v39
	s_wait_dscnt 0x0
	v_dual_mul_f32 v34, v65, v45 :: v_dual_mul_f32 v38, v64, v45
	s_delay_alu instid0(VALU_DEP_3) | instskip(NEXT) | instid1(VALU_DEP_3)
	v_add_f32_e32 v29, v33, v29
	v_dual_fmac_f32 v28, v41, v30 :: v_dual_add_f32 v22, v22, v31
	s_delay_alu instid0(VALU_DEP_3) | instskip(NEXT) | instid1(VALU_DEP_4)
	v_fma_f32 v30, v64, v44, -v34
	v_dual_fmac_f32 v38, v65, v44 :: v_dual_mul_f32 v31, v65, v47
	v_dual_mul_f32 v33, v64, v47 :: v_dual_mul_f32 v39, v42, v47
	s_delay_alu instid0(VALU_DEP_3) | instskip(NEXT) | instid1(VALU_DEP_3)
	v_add_f32_e32 v34, v36, v30
	v_dual_add_f32 v36, v37, v38 :: v_dual_add_f32 v24, v24, v28
	s_delay_alu instid0(VALU_DEP_3) | instskip(SKIP_2) | instid1(VALU_DEP_3)
	v_dual_fmac_f32 v33, v65, v46 :: v_dual_fma_f32 v28, v64, v46, -v31
	v_dual_mul_f32 v37, v42, v45 :: v_dual_mul_f32 v31, v43, v45
	v_dual_mul_f32 v38, v43, v47 :: v_dual_fmac_f32 v39, v43, v46
	v_dual_add_f32 v32, v32, v33 :: v_dual_add_f32 v30, v35, v28
	s_delay_alu instid0(VALU_DEP_3) | instskip(NEXT) | instid1(VALU_DEP_3)
	v_dual_fma_f32 v28, v42, v44, -v31 :: v_dual_fmac_f32 v37, v43, v44
	v_dual_fma_f32 v31, v42, v46, -v38 :: v_dual_add_f32 v24, v24, v39
	s_delay_alu instid0(VALU_DEP_2) | instskip(NEXT) | instid1(VALU_DEP_2)
	v_dual_add_f32 v26, v26, v28 :: v_dual_add_f32 v28, v29, v37
	v_add_f32_e32 v22, v22, v31
	s_barrier_signal -1
	s_barrier_wait -1
	s_cbranch_scc0 .LBB379_13
.LBB379_9:                              ;   Parent Loop BB379_6 Depth=1
                                        ; =>  This Inner Loop Header: Depth=2
	v_dual_mov_b32 v38, 0 :: v_dual_add_nc_u32 v29, s26, v2
	v_mov_b32_e32 v39, 0
	s_delay_alu instid0(VALU_DEP_2) | instskip(SKIP_1) | instid1(SALU_CYCLE_1)
	v_cmp_gt_i32_e32 vcc_lo, s9, v29
	s_and_b32 s29, s0, vcc_lo
	s_and_saveexec_b32 s27, s29
	s_cbranch_execz .LBB379_11
; %bb.10:                               ;   in Loop: Header=BB379_9 Depth=2
	flat_load_b64 v[38:39], v[18:19]
.LBB379_11:                             ;   in Loop: Header=BB379_9 Depth=2
	s_wait_xcnt 0x0
	s_or_b32 exec_lo, exec_lo, s27
	v_dual_mov_b32 v40, 0 :: v_dual_add_nc_u32 v29, s26, v0
	v_mov_b32_e32 v41, 0
	s_wait_loadcnt_dscnt 0x0
	ds_store_b64 v23, v[38:39]
	v_cmp_gt_i32_e32 vcc_lo, s9, v29
	s_and_b32 s29, vcc_lo, s1
	s_delay_alu instid0(SALU_CYCLE_1)
	s_and_saveexec_b32 s27, s29
	s_cbranch_execz .LBB379_8
; %bb.12:                               ;   in Loop: Header=BB379_9 Depth=2
	flat_load_b64 v[40:41], v[20:21]
	s_branch .LBB379_8
.LBB379_13:                             ;   in Loop: Header=BB379_6 Depth=1
	s_wait_loadcnt 0x0
	s_wait_xcnt 0x0
	v_add_nc_u64_e32 v[16:17], s[22:23], v[16:17]
	s_delay_alu instid0(VALU_DEP_1)
	v_lshl_add_u64 v[18:19], v[6:7], 3, v[16:17]
	s_and_saveexec_b32 s26, s35
	s_cbranch_execz .LBB379_18
; %bb.14:                               ;   in Loop: Header=BB379_6 Depth=1
	v_mov_b64_e32 v[20:21], s[4:5]
	v_mov_b64_e32 v[38:39], s[10:11]
	s_and_b32 vcc_lo, exec_lo, s34
	s_mov_b32 s27, -1
	s_delay_alu instid0(VALU_DEP_2) | instskip(NEXT) | instid1(VALU_DEP_1)
	v_pk_mul_f32 v[20:21], v[36:37], v[20:21] op_sel_hi:[0,1]
	v_pk_fma_f32 v[36:37], v[34:35], v[38:39], v[20:21] op_sel_hi:[0,1,1]
	v_pk_fma_f32 v[20:21], v[34:35], v[38:39], v[20:21] neg_lo:[0,0,1] neg_hi:[0,0,1]
	v_lshl_add_u64 v[34:35], v[4:5], 3, v[18:19]
	s_delay_alu instid0(VALU_DEP_3)
	v_mov_b32_e32 v21, v37
	s_cbranch_vccz .LBB379_16
; %bb.15:                               ;   in Loop: Header=BB379_6 Depth=1
	flat_load_b64 v[36:37], v[34:35]
	v_mov_b64_e32 v[38:39], s[6:7]
	v_mov_b64_e32 v[40:41], s[2:3]
	s_mov_b32 s27, 0
	s_wait_loadcnt_dscnt 0x0
	s_delay_alu instid0(VALU_DEP_2) | instskip(NEXT) | instid1(VALU_DEP_1)
	v_pk_mul_f32 v[38:39], v[36:37], v[38:39]
	v_pk_fma_f32 v[42:43], v[36:37], v[40:41], v[38:39] op_sel:[0,0,1] op_sel_hi:[1,1,0]
	v_pk_fma_f32 v[36:37], v[36:37], v[40:41], v[38:39] op_sel:[0,0,1] op_sel_hi:[1,1,0] neg_lo:[0,0,1] neg_hi:[0,0,1]
	s_delay_alu instid0(VALU_DEP_2) | instskip(NEXT) | instid1(VALU_DEP_1)
	v_mov_b32_e32 v37, v43
	v_pk_add_f32 v[36:37], v[20:21], v[36:37]
	flat_store_b64 v[34:35], v[36:37]
.LBB379_16:                             ;   in Loop: Header=BB379_6 Depth=1
	s_and_not1_b32 vcc_lo, exec_lo, s27
	s_cbranch_vccnz .LBB379_18
; %bb.17:                               ;   in Loop: Header=BB379_6 Depth=1
	flat_store_b64 v[34:35], v[20:21]
.LBB379_18:                             ;   in Loop: Header=BB379_6 Depth=1
	s_wait_xcnt 0x0
	s_or_b32 exec_lo, exec_lo, s26
	s_and_saveexec_b32 s26, s8
	s_cbranch_execz .LBB379_23
; %bb.19:                               ;   in Loop: Header=BB379_6 Depth=1
	v_mov_b64_e32 v[20:21], s[4:5]
	v_mov_b64_e32 v[34:35], s[10:11]
	v_lshl_add_u64 v[18:19], v[8:9], 3, v[18:19]
	s_and_not1_b32 vcc_lo, exec_lo, s34
	s_mov_b32 s27, -1
	s_delay_alu instid0(VALU_DEP_3) | instskip(NEXT) | instid1(VALU_DEP_1)
	v_pk_mul_f32 v[20:21], v[32:33], v[20:21] op_sel_hi:[0,1]
	v_pk_fma_f32 v[32:33], v[30:31], v[34:35], v[20:21] op_sel_hi:[0,1,1]
	v_pk_fma_f32 v[20:21], v[30:31], v[34:35], v[20:21] neg_lo:[0,0,1] neg_hi:[0,0,1]
	s_delay_alu instid0(VALU_DEP_2)
	v_mov_b32_e32 v21, v33
	s_cbranch_vccnz .LBB379_21
; %bb.20:                               ;   in Loop: Header=BB379_6 Depth=1
	flat_load_b64 v[30:31], v[18:19]
	v_mov_b64_e32 v[32:33], s[6:7]
	v_mov_b64_e32 v[34:35], s[2:3]
	s_mov_b32 s27, 0
	s_wait_loadcnt_dscnt 0x0
	s_delay_alu instid0(VALU_DEP_2) | instskip(NEXT) | instid1(VALU_DEP_1)
	v_pk_mul_f32 v[32:33], v[30:31], v[32:33]
	v_pk_fma_f32 v[36:37], v[30:31], v[34:35], v[32:33] op_sel:[0,0,1] op_sel_hi:[1,1,0]
	v_pk_fma_f32 v[30:31], v[30:31], v[34:35], v[32:33] op_sel:[0,0,1] op_sel_hi:[1,1,0] neg_lo:[0,0,1] neg_hi:[0,0,1]
	s_delay_alu instid0(VALU_DEP_2) | instskip(NEXT) | instid1(VALU_DEP_1)
	v_mov_b32_e32 v31, v37
	v_pk_add_f32 v[30:31], v[20:21], v[30:31]
	flat_store_b64 v[18:19], v[30:31]
.LBB379_21:                             ;   in Loop: Header=BB379_6 Depth=1
	s_and_not1_b32 vcc_lo, exec_lo, s27
	s_cbranch_vccnz .LBB379_23
; %bb.22:                               ;   in Loop: Header=BB379_6 Depth=1
	flat_store_b64 v[18:19], v[20:21]
.LBB379_23:                             ;   in Loop: Header=BB379_6 Depth=1
	s_wait_xcnt 0x0
	s_or_b32 exec_lo, exec_lo, s26
	v_lshl_add_u64 v[16:17], v[10:11], 3, v[16:17]
	s_and_saveexec_b32 s26, s36
	s_cbranch_execz .LBB379_28
; %bb.24:                               ;   in Loop: Header=BB379_6 Depth=1
	v_mov_b64_e32 v[18:19], s[4:5]
	v_mov_b64_e32 v[20:21], s[10:11]
	s_and_not1_b32 vcc_lo, exec_lo, s34
	s_mov_b32 s27, -1
	s_delay_alu instid0(VALU_DEP_2) | instskip(NEXT) | instid1(VALU_DEP_1)
	v_pk_mul_f32 v[18:19], v[28:29], v[18:19] op_sel_hi:[0,1]
	v_pk_fma_f32 v[28:29], v[26:27], v[20:21], v[18:19] op_sel_hi:[0,1,1]
	v_pk_fma_f32 v[18:19], v[26:27], v[20:21], v[18:19] neg_lo:[0,0,1] neg_hi:[0,0,1]
	v_lshl_add_u64 v[20:21], v[4:5], 3, v[16:17]
	s_delay_alu instid0(VALU_DEP_3)
	v_mov_b32_e32 v19, v29
	s_cbranch_vccnz .LBB379_26
; %bb.25:                               ;   in Loop: Header=BB379_6 Depth=1
	flat_load_b64 v[28:29], v[20:21]
	v_mov_b64_e32 v[30:31], s[6:7]
	v_mov_b64_e32 v[32:33], s[2:3]
	s_mov_b32 s27, 0
	s_wait_loadcnt_dscnt 0x0
	s_delay_alu instid0(VALU_DEP_2) | instskip(NEXT) | instid1(VALU_DEP_1)
	v_pk_mul_f32 v[30:31], v[28:29], v[30:31]
	v_pk_fma_f32 v[34:35], v[28:29], v[32:33], v[30:31] op_sel:[0,0,1] op_sel_hi:[1,1,0]
	v_pk_fma_f32 v[28:29], v[28:29], v[32:33], v[30:31] op_sel:[0,0,1] op_sel_hi:[1,1,0] neg_lo:[0,0,1] neg_hi:[0,0,1]
	s_delay_alu instid0(VALU_DEP_2) | instskip(NEXT) | instid1(VALU_DEP_1)
	v_mov_b32_e32 v29, v35
	v_pk_add_f32 v[28:29], v[18:19], v[28:29]
	flat_store_b64 v[20:21], v[28:29]
.LBB379_26:                             ;   in Loop: Header=BB379_6 Depth=1
	s_and_not1_b32 vcc_lo, exec_lo, s27
	s_cbranch_vccnz .LBB379_28
; %bb.27:                               ;   in Loop: Header=BB379_6 Depth=1
	flat_store_b64 v[20:21], v[18:19]
.LBB379_28:                             ;   in Loop: Header=BB379_6 Depth=1
	s_wait_xcnt 0x0
	s_or_b32 exec_lo, exec_lo, s26
	s_and_saveexec_b32 s26, s37
	s_cbranch_execz .LBB379_5
; %bb.29:                               ;   in Loop: Header=BB379_6 Depth=1
	v_mov_b64_e32 v[18:19], s[4:5]
	v_mov_b64_e32 v[20:21], s[10:11]
	v_lshl_add_u64 v[16:17], v[8:9], 3, v[16:17]
	s_and_not1_b32 vcc_lo, exec_lo, s34
	s_mov_b32 s27, -1
	s_delay_alu instid0(VALU_DEP_3) | instskip(NEXT) | instid1(VALU_DEP_1)
	v_pk_mul_f32 v[18:19], v[24:25], v[18:19] op_sel_hi:[0,1]
	v_pk_fma_f32 v[28:29], v[22:23], v[20:21], v[18:19] op_sel_hi:[0,1,1]
	v_pk_fma_f32 v[18:19], v[22:23], v[20:21], v[18:19] neg_lo:[0,0,1] neg_hi:[0,0,1]
	s_delay_alu instid0(VALU_DEP_2)
	v_mov_b32_e32 v19, v29
	s_cbranch_vccnz .LBB379_31
; %bb.30:                               ;   in Loop: Header=BB379_6 Depth=1
	flat_load_b64 v[20:21], v[16:17]
	v_mov_b64_e32 v[28:29], s[6:7]
	v_mov_b64_e32 v[30:31], s[2:3]
	s_mov_b32 s27, 0
	s_wait_loadcnt_dscnt 0x0
	s_delay_alu instid0(VALU_DEP_2) | instskip(NEXT) | instid1(VALU_DEP_1)
	v_pk_mul_f32 v[28:29], v[20:21], v[28:29]
	v_pk_fma_f32 v[32:33], v[20:21], v[30:31], v[28:29] op_sel:[0,0,1] op_sel_hi:[1,1,0]
	v_pk_fma_f32 v[20:21], v[20:21], v[30:31], v[28:29] op_sel:[0,0,1] op_sel_hi:[1,1,0] neg_lo:[0,0,1] neg_hi:[0,0,1]
	s_delay_alu instid0(VALU_DEP_2) | instskip(NEXT) | instid1(VALU_DEP_1)
	v_mov_b32_e32 v21, v33
	v_pk_add_f32 v[20:21], v[18:19], v[20:21]
	flat_store_b64 v[16:17], v[20:21]
.LBB379_31:                             ;   in Loop: Header=BB379_6 Depth=1
	s_and_not1_b32 vcc_lo, exec_lo, s27
	s_cbranch_vccnz .LBB379_5
; %bb.32:                               ;   in Loop: Header=BB379_6 Depth=1
	flat_store_b64 v[16:17], v[18:19]
	s_branch .LBB379_5
.LBB379_33:
	s_sendmsg sendmsg(MSG_DEALLOC_VGPRS)
	s_endpgm
	.section	.rodata,"a",@progbits
	.p2align	6, 0x0
	.amdhsa_kernel _ZL29rocblas_internal_gemmt_kernelIiLi16ELi32ELi8ELc78ELc84ELc85ELb0ELb0E19rocblas_complex_numIfES1_PKPKS1_PKPS1_EviT_T9_T10_S9_lSB_S9_lSA_T11_S9_li
		.amdhsa_group_segment_fixed_size 4096
		.amdhsa_private_segment_fixed_size 0
		.amdhsa_kernarg_size 100
		.amdhsa_user_sgpr_count 2
		.amdhsa_user_sgpr_dispatch_ptr 0
		.amdhsa_user_sgpr_queue_ptr 0
		.amdhsa_user_sgpr_kernarg_segment_ptr 1
		.amdhsa_user_sgpr_dispatch_id 0
		.amdhsa_user_sgpr_kernarg_preload_length 0
		.amdhsa_user_sgpr_kernarg_preload_offset 0
		.amdhsa_user_sgpr_private_segment_size 0
		.amdhsa_wavefront_size32 1
		.amdhsa_uses_dynamic_stack 0
		.amdhsa_enable_private_segment 0
		.amdhsa_system_sgpr_workgroup_id_x 1
		.amdhsa_system_sgpr_workgroup_id_y 1
		.amdhsa_system_sgpr_workgroup_id_z 1
		.amdhsa_system_sgpr_workgroup_info 0
		.amdhsa_system_vgpr_workitem_id 1
		.amdhsa_next_free_vgpr 71
		.amdhsa_next_free_sgpr 39
		.amdhsa_named_barrier_count 0
		.amdhsa_reserve_vcc 1
		.amdhsa_float_round_mode_32 0
		.amdhsa_float_round_mode_16_64 0
		.amdhsa_float_denorm_mode_32 3
		.amdhsa_float_denorm_mode_16_64 3
		.amdhsa_fp16_overflow 0
		.amdhsa_memory_ordered 1
		.amdhsa_forward_progress 1
		.amdhsa_inst_pref_size 26
		.amdhsa_round_robin_scheduling 0
		.amdhsa_exception_fp_ieee_invalid_op 0
		.amdhsa_exception_fp_denorm_src 0
		.amdhsa_exception_fp_ieee_div_zero 0
		.amdhsa_exception_fp_ieee_overflow 0
		.amdhsa_exception_fp_ieee_underflow 0
		.amdhsa_exception_fp_ieee_inexact 0
		.amdhsa_exception_int_div_zero 0
	.end_amdhsa_kernel
	.section	.text._ZL29rocblas_internal_gemmt_kernelIiLi16ELi32ELi8ELc78ELc84ELc85ELb0ELb0E19rocblas_complex_numIfES1_PKPKS1_PKPS1_EviT_T9_T10_S9_lSB_S9_lSA_T11_S9_li,"axG",@progbits,_ZL29rocblas_internal_gemmt_kernelIiLi16ELi32ELi8ELc78ELc84ELc85ELb0ELb0E19rocblas_complex_numIfES1_PKPKS1_PKPS1_EviT_T9_T10_S9_lSB_S9_lSA_T11_S9_li,comdat
.Lfunc_end379:
	.size	_ZL29rocblas_internal_gemmt_kernelIiLi16ELi32ELi8ELc78ELc84ELc85ELb0ELb0E19rocblas_complex_numIfES1_PKPKS1_PKPS1_EviT_T9_T10_S9_lSB_S9_lSA_T11_S9_li, .Lfunc_end379-_ZL29rocblas_internal_gemmt_kernelIiLi16ELi32ELi8ELc78ELc84ELc85ELb0ELb0E19rocblas_complex_numIfES1_PKPKS1_PKPS1_EviT_T9_T10_S9_lSB_S9_lSA_T11_S9_li
                                        ; -- End function
	.set _ZL29rocblas_internal_gemmt_kernelIiLi16ELi32ELi8ELc78ELc84ELc85ELb0ELb0E19rocblas_complex_numIfES1_PKPKS1_PKPS1_EviT_T9_T10_S9_lSB_S9_lSA_T11_S9_li.num_vgpr, 71
	.set _ZL29rocblas_internal_gemmt_kernelIiLi16ELi32ELi8ELc78ELc84ELc85ELb0ELb0E19rocblas_complex_numIfES1_PKPKS1_PKPS1_EviT_T9_T10_S9_lSB_S9_lSA_T11_S9_li.num_agpr, 0
	.set _ZL29rocblas_internal_gemmt_kernelIiLi16ELi32ELi8ELc78ELc84ELc85ELb0ELb0E19rocblas_complex_numIfES1_PKPKS1_PKPS1_EviT_T9_T10_S9_lSB_S9_lSA_T11_S9_li.numbered_sgpr, 39
	.set _ZL29rocblas_internal_gemmt_kernelIiLi16ELi32ELi8ELc78ELc84ELc85ELb0ELb0E19rocblas_complex_numIfES1_PKPKS1_PKPS1_EviT_T9_T10_S9_lSB_S9_lSA_T11_S9_li.num_named_barrier, 0
	.set _ZL29rocblas_internal_gemmt_kernelIiLi16ELi32ELi8ELc78ELc84ELc85ELb0ELb0E19rocblas_complex_numIfES1_PKPKS1_PKPS1_EviT_T9_T10_S9_lSB_S9_lSA_T11_S9_li.private_seg_size, 0
	.set _ZL29rocblas_internal_gemmt_kernelIiLi16ELi32ELi8ELc78ELc84ELc85ELb0ELb0E19rocblas_complex_numIfES1_PKPKS1_PKPS1_EviT_T9_T10_S9_lSB_S9_lSA_T11_S9_li.uses_vcc, 1
	.set _ZL29rocblas_internal_gemmt_kernelIiLi16ELi32ELi8ELc78ELc84ELc85ELb0ELb0E19rocblas_complex_numIfES1_PKPKS1_PKPS1_EviT_T9_T10_S9_lSB_S9_lSA_T11_S9_li.uses_flat_scratch, 0
	.set _ZL29rocblas_internal_gemmt_kernelIiLi16ELi32ELi8ELc78ELc84ELc85ELb0ELb0E19rocblas_complex_numIfES1_PKPKS1_PKPS1_EviT_T9_T10_S9_lSB_S9_lSA_T11_S9_li.has_dyn_sized_stack, 0
	.set _ZL29rocblas_internal_gemmt_kernelIiLi16ELi32ELi8ELc78ELc84ELc85ELb0ELb0E19rocblas_complex_numIfES1_PKPKS1_PKPS1_EviT_T9_T10_S9_lSB_S9_lSA_T11_S9_li.has_recursion, 0
	.set _ZL29rocblas_internal_gemmt_kernelIiLi16ELi32ELi8ELc78ELc84ELc85ELb0ELb0E19rocblas_complex_numIfES1_PKPKS1_PKPS1_EviT_T9_T10_S9_lSB_S9_lSA_T11_S9_li.has_indirect_call, 0
	.section	.AMDGPU.csdata,"",@progbits
; Kernel info:
; codeLenInByte = 3224
; TotalNumSgprs: 41
; NumVgprs: 71
; ScratchSize: 0
; MemoryBound: 0
; FloatMode: 240
; IeeeMode: 1
; LDSByteSize: 4096 bytes/workgroup (compile time only)
; SGPRBlocks: 0
; VGPRBlocks: 4
; NumSGPRsForWavesPerEU: 41
; NumVGPRsForWavesPerEU: 71
; NamedBarCnt: 0
; Occupancy: 12
; WaveLimiterHint : 1
; COMPUTE_PGM_RSRC2:SCRATCH_EN: 0
; COMPUTE_PGM_RSRC2:USER_SGPR: 2
; COMPUTE_PGM_RSRC2:TRAP_HANDLER: 0
; COMPUTE_PGM_RSRC2:TGID_X_EN: 1
; COMPUTE_PGM_RSRC2:TGID_Y_EN: 1
; COMPUTE_PGM_RSRC2:TGID_Z_EN: 1
; COMPUTE_PGM_RSRC2:TIDIG_COMP_CNT: 1
	.section	.text._ZL29rocblas_internal_gemmt_kernelIiLi16ELi32ELi8ELc78ELc67ELc85ELb0ELb1E19rocblas_complex_numIfES1_PKPKS1_PKPS1_EviT_T9_T10_S9_lSB_S9_lSA_T11_S9_li,"axG",@progbits,_ZL29rocblas_internal_gemmt_kernelIiLi16ELi32ELi8ELc78ELc67ELc85ELb0ELb1E19rocblas_complex_numIfES1_PKPKS1_PKPS1_EviT_T9_T10_S9_lSB_S9_lSA_T11_S9_li,comdat
	.globl	_ZL29rocblas_internal_gemmt_kernelIiLi16ELi32ELi8ELc78ELc67ELc85ELb0ELb1E19rocblas_complex_numIfES1_PKPKS1_PKPS1_EviT_T9_T10_S9_lSB_S9_lSA_T11_S9_li ; -- Begin function _ZL29rocblas_internal_gemmt_kernelIiLi16ELi32ELi8ELc78ELc67ELc85ELb0ELb1E19rocblas_complex_numIfES1_PKPKS1_PKPS1_EviT_T9_T10_S9_lSB_S9_lSA_T11_S9_li
	.p2align	8
	.type	_ZL29rocblas_internal_gemmt_kernelIiLi16ELi32ELi8ELc78ELc67ELc85ELb0ELb1E19rocblas_complex_numIfES1_PKPKS1_PKPS1_EviT_T9_T10_S9_lSB_S9_lSA_T11_S9_li,@function
_ZL29rocblas_internal_gemmt_kernelIiLi16ELi32ELi8ELc78ELc67ELc85ELb0ELb1E19rocblas_complex_numIfES1_PKPKS1_PKPS1_EviT_T9_T10_S9_lSB_S9_lSA_T11_S9_li: ; @_ZL29rocblas_internal_gemmt_kernelIiLi16ELi32ELi8ELc78ELc67ELc85ELb0ELb1E19rocblas_complex_numIfES1_PKPKS1_PKPS1_EviT_T9_T10_S9_lSB_S9_lSA_T11_S9_li
; %bb.0:
	s_clause 0x1
	s_load_b64 s[6:7], s[0:1], 0x40
	s_load_b128 s[8:11], s[0:1], 0x0
	s_wait_kmcnt 0x0
	s_cmp_neq_f32 s6, 1.0
	s_cselect_b32 s3, -1, 0
	s_and_b32 s4, s7, 0x7fffffff
	s_delay_alu instid0(SALU_CYCLE_1) | instskip(SKIP_3) | instid1(SALU_CYCLE_1)
	s_cmp_eq_u32 s4, 0
	s_cselect_b32 s2, -1, 0
	s_cmp_lg_u32 s4, 0
	s_cselect_b32 s4, -1, 0
	s_or_b32 s3, s3, s4
	s_delay_alu instid0(SALU_CYCLE_1)
	s_and_b32 vcc_lo, exec_lo, s3
	s_cbranch_vccnz .LBB380_2
; %bb.1:
	s_cmp_lg_u32 s9, 0
	s_cselect_b32 s3, -1, 0
	s_cmp_neq_f32 s10, 0
	s_cselect_b32 s4, -1, 0
	s_cmp_neq_f32 s11, 0
	s_cselect_b32 s5, -1, 0
	s_delay_alu instid0(SALU_CYCLE_1) | instskip(NEXT) | instid1(SALU_CYCLE_1)
	s_or_b32 s4, s4, s5
	s_and_b32 s3, s3, s4
.LBB380_2:
	s_delay_alu instid0(SALU_CYCLE_1)
	s_and_not1_b32 vcc_lo, exec_lo, s3
	s_cbranch_vccnz .LBB380_35
; %bb.3:
	s_load_b32 s33, s[0:1], 0x60
	s_bfe_u32 s3, ttmp6, 0x40014
	s_lshr_b32 s4, ttmp7, 16
	s_add_co_i32 s3, s3, 1
	s_bfe_u32 s12, ttmp6, 0x40008
	s_mul_i32 s5, s4, s3
	s_getreg_b32 s3, hwreg(HW_REG_IB_STS2, 6, 4)
	s_add_co_i32 s12, s12, s5
	s_cmp_eq_u32 s3, 0
	s_mov_b32 s25, 0
	s_cselect_b32 s24, s4, s12
	s_wait_kmcnt 0x0
	s_cmp_ge_u32 s24, s33
	s_cbranch_scc1 .LBB380_35
; %bb.4:
	s_clause 0x2
	s_load_b96 s[16:18], s[0:1], 0x10
	s_load_b32 s26, s[0:1], 0x30
	s_load_b96 s[20:22], s[0:1], 0x48
	v_and_b32_e32 v4, 0x3ff, v0
	v_bfe_u32 v5, v0, 10, 10
	s_clause 0x2
	s_load_b128 s[12:15], s[0:1], 0x20
	s_load_b64 s[30:31], s[0:1], 0x38
	s_load_b64 s[28:29], s[0:1], 0x58
	s_wait_xcnt 0x0
	s_bfe_u32 s1, ttmp6, 0x4000c
	s_bfe_u32 s5, ttmp6, 0x40010
	s_and_b32 s4, ttmp7, 0xffff
	v_lshl_add_u32 v1, v5, 4, v4
	s_add_co_i32 s1, s1, 1
	s_add_co_i32 s5, s5, 1
	v_and_b32_e32 v0, 7, v0
	s_and_b32 s0, ttmp6, 15
	v_lshrrev_b32_e32 v2, 5, v1
	s_bfe_u32 s23, ttmp6, 0x40004
	s_mul_i32 s1, ttmp9, s1
	s_mul_i32 s34, s4, s5
	s_add_co_i32 s0, s0, s1
	s_add_co_i32 s23, s23, s34
	s_wait_kmcnt 0x0
	s_ashr_i32 s19, s18, 31
	s_ashr_i32 s27, s26, 31
	;; [unrolled: 1-line block ×3, first 2 shown]
	s_cmp_eq_u32 s3, 0
	v_dual_lshrrev_b32 v6, 3, v1 :: v_dual_bitop2_b32 v1, 31, v1 bitop3:0x40
	v_dual_lshlrev_b32 v7, 3, v0 :: v_dual_mov_b32 v3, 0
	s_cselect_b32 s0, ttmp9, s0
	s_cselect_b32 s1, s4, s23
	s_lshl_b32 s3, s0, 5
	s_lshl_b32 s1, s1, 5
	s_delay_alu instid0(SALU_CYCLE_1)
	v_dual_add_nc_u32 v12, s1, v6 :: v_dual_bitop2_b32 v14, s3, v1 bitop3:0x54
	v_dual_mov_b32 v1, v3 :: v_dual_lshlrev_b32 v8, 3, v1
	v_add_nc_u32_e32 v18, s1, v5
	v_lshl_or_b32 v6, v6, 6, v7
	v_mul_u64_e32 v[20:21], s[18:19], v[2:3]
	v_ashrrev_i32_e32 v13, 31, v12
	v_mul_u64_e32 v[16:17], s[26:27], v[0:1]
	v_dual_lshlrev_b32 v1, 3, v4 :: v_dual_add_nc_u32 v28, 16, v18
	v_dual_add_nc_u32 v4, s3, v4 :: v_dual_ashrrev_i32 v19, 31, v18
	s_cmp_neq_f32 s10, 0
	v_add_nc_u32_e32 v25, 0x800, v6
	v_lshl_add_u32 v27, v5, 6, 0x800
	s_delay_alu instid0(VALU_DEP_3) | instskip(SKIP_2) | instid1(VALU_DEP_1)
	v_dual_add_nc_u32 v6, 16, v4 :: v_dual_ashrrev_i32 v5, 31, v4
	s_cselect_b32 s0, -1, 0
	s_cmp_neq_f32 s11, 0
	v_dual_ashrrev_i32 v29, 31, v28 :: v_dual_ashrrev_i32 v7, 31, v6
	s_mov_b32 s4, s22
	s_cselect_b32 s22, -1, 0
	v_lshl_or_b32 v23, v2, 8, v8
	v_mul_u64_e32 v[8:9], s[4:5], v[18:19]
	v_mul_u64_e32 v[10:11], s[4:5], v[28:29]
	s_or_b32 s22, s0, s22
	s_cmp_gt_i32 s9, 0
	v_cmp_le_i32_e64 s4, v4, v28
	s_cselect_b32 s23, -1, 0
	s_cmp_neq_f32 s6, 0
	v_cmp_le_i32_e64 s5, v6, v28
	v_cmp_gt_i32_e64 s0, s8, v14
	v_cmp_gt_i32_e32 vcc_lo, s8, v12
	s_cselect_b32 s3, -1, 0
	s_xor_b32 s34, s2, -1
	v_cmp_gt_i32_e64 s1, s8, v18
	s_or_b32 s34, s3, s34
	v_cmp_gt_i32_e64 s3, s8, v28
	v_cmp_le_i32_e64 s2, v4, v18
	s_lshl_b64 s[12:13], s[12:13], 3
	s_and_b32 s8, s3, s4
	s_and_b32 s36, s3, s5
	s_lshl_b64 s[4:5], s[30:31], 3
	s_and_b32 s35, s1, s2
	v_lshl_add_u64 v[16:17], v[16:17], 3, s[4:5]
	v_cmp_le_i32_e64 s2, v6, v18
	v_lshl_add_u64 v[18:19], v[20:21], 3, s[12:13]
	s_mov_b32 s3, s6
	s_mov_b32 s4, s11
	v_lshl_add_u64 v[12:13], v[12:13], 3, v[16:17]
	v_ashrrev_i32_e32 v15, 31, v14
	s_and_b32 s1, s1, s2
	s_mov_b32 s2, s6
	s_mov_b32 s6, s7
	v_or_b32_e32 v12, 4, v12
	v_lshl_add_u64 v[14:15], v[14:15], 3, v[18:19]
	s_mov_b32 s5, s10
	s_lshl_b64 s[12:13], s[18:19], 6
	s_and_b32 s30, s22, s23
	s_lshl_b64 s[18:19], s[26:27], 6
	s_xor_b32 s26, vcc_lo, -1
	s_lshl_b64 s[22:23], s[28:29], 3
	s_branch .LBB380_6
.LBB380_5:                              ;   in Loop: Header=BB380_6 Depth=1
	s_wait_xcnt 0x0
	s_or_b32 exec_lo, exec_lo, s27
	s_add_co_i32 s24, s24, 0x10000
	s_delay_alu instid0(SALU_CYCLE_1)
	s_cmp_lt_u32 s24, s33
	s_cbranch_scc0 .LBB380_35
.LBB380_6:                              ; =>This Loop Header: Depth=1
                                        ;     Child Loop BB380_9 Depth 2
	v_dual_mov_b32 v16, s24 :: v_dual_mov_b32 v34, 0
	v_dual_mov_b32 v36, 0 :: v_dual_mov_b32 v30, 0
	;; [unrolled: 1-line block ×3, first 2 shown]
	global_load_b64 v[16:17], v16, s[20:21] scale_offset
	v_dual_mov_b32 v28, 0 :: v_dual_mov_b32 v22, 0
	v_mov_b32_e32 v24, 0
	s_and_not1_b32 vcc_lo, exec_lo, s30
	s_cbranch_vccnz .LBB380_15
; %bb.7:                                ;   in Loop: Header=BB380_6 Depth=1
	s_lshl_b64 s[28:29], s[24:25], 3
	v_dual_mov_b32 v24, 0 :: v_dual_mov_b32 v22, 0
	s_add_nc_u64 s[38:39], s[16:17], s[28:29]
	s_add_nc_u64 s[28:29], s[14:15], s[28:29]
	s_clause 0x1
	global_load_b64 v[18:19], v3, s[38:39]
	global_load_b64 v[20:21], v3, s[28:29]
	v_dual_mov_b32 v28, 0 :: v_dual_mov_b32 v26, 0
	v_dual_mov_b32 v32, 0 :: v_dual_mov_b32 v30, 0
	;; [unrolled: 1-line block ×3, first 2 shown]
	s_mov_b32 s27, 0
	s_wait_loadcnt 0x1
	v_add_nc_u64_e32 v[18:19], v[18:19], v[14:15]
	s_wait_loadcnt 0x0
	v_add_nc_u64_e32 v[20:21], v[20:21], v[12:13]
	s_branch .LBB380_9
.LBB380_8:                              ;   in Loop: Header=BB380_9 Depth=2
	s_wait_xcnt 0x0
	s_or_b32 exec_lo, exec_lo, s28
	ds_store_b32 v25, v29 offset:4
	s_wait_dscnt 0x0
	s_barrier_signal -1
	s_barrier_wait -1
	ds_load_b128 v[38:41], v27
	ds_load_2addr_b64 v[42:45], v1 offset1:16
	ds_load_b128 v[46:49], v27 offset:1024
	ds_load_b128 v[50:53], v27 offset:16
	ds_load_2addr_b64 v[54:57], v1 offset0:32 offset1:48
	ds_load_b128 v[58:61], v27 offset:32
	ds_load_b128 v[62:65], v27 offset:48
	ds_load_b128 v[66:69], v27 offset:1040
	v_add_nc_u64_e32 v[18:19], s[12:13], v[18:19]
	v_add_nc_u64_e32 v[20:21], s[18:19], v[20:21]
	s_add_co_i32 s27, s27, 8
	s_delay_alu instid0(SALU_CYCLE_1)
	s_cmp_lt_i32 s27, s9
	s_wait_dscnt 0x6
	v_dual_mul_f32 v29, v39, v43 :: v_dual_mul_f32 v31, v38, v43
	v_dual_mul_f32 v33, v39, v45 :: v_dual_mul_f32 v35, v38, v45
	s_wait_dscnt 0x5
	v_dual_mul_f32 v37, v47, v43 :: v_dual_mul_f32 v43, v46, v43
	v_dual_mul_f32 v70, v47, v45 :: v_dual_mul_f32 v45, v46, v45
	v_dual_fma_f32 v29, v38, v42, -v29 :: v_dual_fmac_f32 v31, v39, v42
	v_dual_fma_f32 v33, v38, v44, -v33 :: v_dual_fmac_f32 v35, v39, v44
	s_delay_alu instid0(VALU_DEP_4) | instskip(NEXT) | instid1(VALU_DEP_3)
	v_dual_fma_f32 v37, v46, v42, -v37 :: v_dual_fmac_f32 v43, v47, v42
	v_dual_fma_f32 v38, v46, v44, -v70 :: v_dual_add_f32 v36, v36, v31
	s_delay_alu instid0(VALU_DEP_3) | instskip(NEXT) | instid1(VALU_DEP_3)
	v_dual_add_f32 v34, v34, v29 :: v_dual_add_f32 v32, v32, v35
	v_dual_add_f32 v33, v30, v33 :: v_dual_add_f32 v35, v28, v43
	s_wait_dscnt 0x3
	v_dual_add_f32 v26, v26, v37 :: v_dual_mul_f32 v37, v41, v55
	ds_load_2addr_b64 v[28:31], v1 offset0:64 offset1:80
	v_dual_fmac_f32 v45, v47, v44 :: v_dual_add_f32 v22, v22, v38
	v_dual_mul_f32 v38, v40, v55 :: v_dual_fma_f32 v37, v40, v54, -v37
	v_mul_f32_e32 v39, v41, v57
	s_delay_alu instid0(VALU_DEP_2) | instskip(SKIP_1) | instid1(VALU_DEP_3)
	v_dual_add_f32 v24, v24, v45 :: v_dual_fmac_f32 v38, v41, v54
	v_mul_f32_e32 v42, v40, v57
	v_dual_add_f32 v37, v34, v37 :: v_dual_fma_f32 v34, v40, v56, -v39
	s_delay_alu instid0(VALU_DEP_3) | instskip(NEXT) | instid1(VALU_DEP_3)
	v_dual_mul_f32 v39, v49, v55 :: v_dual_add_f32 v36, v36, v38
	v_dual_fmac_f32 v42, v41, v56 :: v_dual_mul_f32 v38, v48, v55
	s_delay_alu instid0(VALU_DEP_3) | instskip(NEXT) | instid1(VALU_DEP_3)
	v_dual_add_f32 v40, v33, v34 :: v_dual_mul_f32 v41, v48, v57
	v_dual_fma_f32 v33, v48, v54, -v39 :: v_dual_mul_f32 v34, v49, v57
	s_delay_alu instid0(VALU_DEP_3) | instskip(NEXT) | instid1(VALU_DEP_3)
	v_add_f32_e32 v39, v32, v42
	v_dual_fmac_f32 v38, v49, v54 :: v_dual_fmac_f32 v41, v49, v56
	s_wait_dscnt 0x0
	v_mul_f32_e32 v42, v50, v29
	v_add_f32_e32 v26, v26, v33
	v_dual_mul_f32 v33, v51, v29 :: v_dual_fma_f32 v32, v48, v56, -v34
	v_add_f32_e32 v38, v35, v38
	s_delay_alu instid0(VALU_DEP_4) | instskip(NEXT) | instid1(VALU_DEP_3)
	v_dual_mul_f32 v44, v51, v31 :: v_dual_fmac_f32 v42, v51, v28
	v_fma_f32 v43, v50, v28, -v33
	s_delay_alu instid0(VALU_DEP_4) | instskip(SKIP_4) | instid1(VALU_DEP_3)
	v_add_f32_e32 v22, v22, v32
	ds_load_2addr_b64 v[32:35], v1 offset0:96 offset1:112
	v_dual_add_f32 v24, v24, v41 :: v_dual_mul_f32 v41, v50, v31
	v_dual_add_f32 v37, v37, v43 :: v_dual_fma_f32 v43, v50, v30, -v44
	v_dual_add_f32 v36, v36, v42 :: v_dual_mul_f32 v42, v67, v29
	v_dual_mul_f32 v29, v66, v29 :: v_dual_fmac_f32 v41, v51, v30
	s_delay_alu instid0(VALU_DEP_3) | instskip(NEXT) | instid1(VALU_DEP_3)
	v_add_f32_e32 v40, v40, v43
	v_dual_mul_f32 v43, v67, v31 :: v_dual_fma_f32 v42, v66, v28, -v42
	s_delay_alu instid0(VALU_DEP_3) | instskip(NEXT) | instid1(VALU_DEP_2)
	v_dual_fmac_f32 v29, v67, v28 :: v_dual_mul_f32 v44, v66, v31
	v_dual_add_f32 v41, v39, v41 :: v_dual_fma_f32 v28, v66, v30, -v43
	s_delay_alu instid0(VALU_DEP_3) | instskip(NEXT) | instid1(VALU_DEP_3)
	v_add_f32_e32 v26, v26, v42
	v_dual_add_f32 v42, v38, v29 :: v_dual_fmac_f32 v44, v67, v30
	s_wait_dscnt 0x0
	s_delay_alu instid0(VALU_DEP_3)
	v_dual_mul_f32 v38, v53, v33 :: v_dual_add_f32 v22, v22, v28
	v_mul_f32_e32 v39, v52, v33
	ds_load_2addr_b64 v[28:31], v1 offset0:128 offset1:144
	v_dual_mul_f32 v43, v53, v35 :: v_dual_fma_f32 v38, v52, v32, -v38
	v_fmac_f32_e32 v39, v53, v32
	v_add_f32_e32 v24, v24, v44
	s_delay_alu instid0(VALU_DEP_3) | instskip(NEXT) | instid1(VALU_DEP_4)
	v_dual_mul_f32 v44, v52, v35 :: v_dual_fma_f32 v43, v52, v34, -v43
	v_add_f32_e32 v45, v37, v38
	s_delay_alu instid0(VALU_DEP_4) | instskip(NEXT) | instid1(VALU_DEP_3)
	v_dual_mul_f32 v37, v69, v33 :: v_dual_add_f32 v46, v36, v39
	v_dual_fmac_f32 v44, v53, v34 :: v_dual_add_f32 v47, v40, v43
	s_delay_alu instid0(VALU_DEP_2)
	v_dual_mul_f32 v33, v68, v33 :: v_dual_fma_f32 v40, v68, v32, -v37
	v_mul_f32_e32 v43, v69, v35
	ds_load_b128 v[36:39], v27 offset:1056
	v_dual_add_f32 v44, v41, v44 :: v_dual_mul_f32 v41, v68, v35
	v_dual_fmac_f32 v33, v69, v32 :: v_dual_fma_f32 v32, v68, v34, -v43
	s_wait_dscnt 0x1
	v_dual_add_f32 v26, v26, v40 :: v_dual_mul_f32 v35, v59, v29
	s_delay_alu instid0(VALU_DEP_2) | instskip(NEXT) | instid1(VALU_DEP_3)
	v_dual_fmac_f32 v41, v69, v34 :: v_dual_add_f32 v48, v42, v33
	v_dual_mul_f32 v42, v59, v31 :: v_dual_add_f32 v22, v22, v32
	s_delay_alu instid0(VALU_DEP_3)
	v_dual_mul_f32 v49, v58, v29 :: v_dual_fma_f32 v40, v58, v28, -v35
	ds_load_2addr_b64 v[32:35], v1 offset0:160 offset1:176
	v_dual_add_f32 v24, v24, v41 :: v_dual_mul_f32 v50, v58, v31
	v_fmac_f32_e32 v49, v59, v28
	v_dual_add_f32 v45, v45, v40 :: v_dual_fma_f32 v51, v58, v30, -v42
	ds_load_b128 v[40:43], v27 offset:1072
	s_wait_dscnt 0x2
	v_dual_mul_f32 v52, v37, v29 :: v_dual_fmac_f32 v50, v59, v30
	v_dual_add_f32 v46, v46, v49 :: v_dual_add_f32 v47, v47, v51
	s_delay_alu instid0(VALU_DEP_2) | instskip(NEXT) | instid1(VALU_DEP_3)
	v_dual_mul_f32 v29, v36, v29 :: v_dual_fma_f32 v49, v36, v28, -v52
	v_dual_mul_f32 v51, v37, v31 :: v_dual_add_f32 v44, v44, v50
	s_delay_alu instid0(VALU_DEP_2) | instskip(NEXT) | instid1(VALU_DEP_2)
	v_dual_mul_f32 v50, v36, v31 :: v_dual_fmac_f32 v29, v37, v28
	v_dual_add_f32 v26, v26, v49 :: v_dual_fma_f32 v28, v36, v30, -v51
	s_wait_dscnt 0x1
	v_mul_f32_e32 v31, v61, v33
	s_delay_alu instid0(VALU_DEP_3) | instskip(NEXT) | instid1(VALU_DEP_3)
	v_dual_add_f32 v36, v48, v29 :: v_dual_fmac_f32 v50, v37, v30
	v_dual_mul_f32 v37, v60, v33 :: v_dual_add_f32 v22, v22, v28
	s_delay_alu instid0(VALU_DEP_3) | instskip(SKIP_3) | instid1(VALU_DEP_2)
	v_dual_mul_f32 v49, v61, v35 :: v_dual_fma_f32 v48, v60, v32, -v31
	ds_load_2addr_b64 v[28:31], v1 offset0:192 offset1:208
	v_dual_fmac_f32 v37, v61, v32 :: v_dual_add_f32 v24, v24, v50
	v_dual_fma_f32 v49, v60, v34, -v49 :: v_dual_add_f32 v48, v45, v48
	v_dual_mul_f32 v45, v60, v35 :: v_dual_add_f32 v37, v46, v37
	v_dual_mul_f32 v46, v39, v33 :: v_dual_mul_f32 v33, v38, v33
	s_delay_alu instid0(VALU_DEP_2) | instskip(NEXT) | instid1(VALU_DEP_2)
	v_dual_add_f32 v49, v47, v49 :: v_dual_fmac_f32 v45, v61, v34
	v_dual_mul_f32 v47, v39, v35 :: v_dual_fma_f32 v46, v38, v32, -v46
	s_delay_alu instid0(VALU_DEP_3) | instskip(NEXT) | instid1(VALU_DEP_2)
	v_dual_fmac_f32 v33, v39, v32 :: v_dual_mul_f32 v35, v38, v35
	v_dual_add_f32 v32, v44, v45 :: v_dual_fma_f32 v38, v38, v34, -v47
	s_delay_alu instid0(VALU_DEP_2)
	v_dual_add_f32 v26, v26, v46 :: v_dual_add_f32 v33, v36, v33
	ds_load_2addr_b64 v[44:47], v1 offset0:224 offset1:240
	s_wait_dscnt 0x1
	v_mul_f32_e32 v36, v63, v29
	v_dual_fmac_f32 v35, v39, v34 :: v_dual_mul_f32 v34, v62, v29
	v_add_f32_e32 v22, v22, v38
	s_delay_alu instid0(VALU_DEP_3) | instskip(NEXT) | instid1(VALU_DEP_3)
	v_dual_mul_f32 v38, v62, v31 :: v_dual_fma_f32 v36, v62, v28, -v36
	v_add_f32_e32 v24, v24, v35
	s_delay_alu instid0(VALU_DEP_4) | instskip(NEXT) | instid1(VALU_DEP_3)
	v_dual_mul_f32 v35, v63, v31 :: v_dual_fmac_f32 v34, v63, v28
	v_dual_mul_f32 v39, v41, v29 :: v_dual_add_f32 v36, v48, v36
	s_delay_alu instid0(VALU_DEP_2) | instskip(NEXT) | instid1(VALU_DEP_3)
	v_dual_fmac_f32 v38, v63, v30 :: v_dual_fma_f32 v35, v62, v30, -v35
	v_dual_add_f32 v37, v37, v34 :: v_dual_mul_f32 v29, v40, v29
	s_delay_alu instid0(VALU_DEP_3) | instskip(NEXT) | instid1(VALU_DEP_3)
	v_dual_fma_f32 v34, v40, v28, -v39 :: v_dual_mul_f32 v39, v41, v31
	v_dual_add_f32 v32, v32, v38 :: v_dual_add_f32 v35, v49, v35
	s_delay_alu instid0(VALU_DEP_2) | instskip(NEXT) | instid1(VALU_DEP_3)
	v_dual_fmac_f32 v29, v41, v28 :: v_dual_add_f32 v26, v26, v34
	v_dual_mul_f32 v28, v40, v31 :: v_dual_fma_f32 v31, v40, v30, -v39
	s_wait_dscnt 0x0
	v_dual_mul_f32 v34, v65, v45 :: v_dual_mul_f32 v38, v64, v45
	s_delay_alu instid0(VALU_DEP_3) | instskip(NEXT) | instid1(VALU_DEP_3)
	v_add_f32_e32 v29, v33, v29
	v_dual_fmac_f32 v28, v41, v30 :: v_dual_add_f32 v22, v22, v31
	s_delay_alu instid0(VALU_DEP_3) | instskip(NEXT) | instid1(VALU_DEP_4)
	v_fma_f32 v30, v64, v44, -v34
	v_dual_fmac_f32 v38, v65, v44 :: v_dual_mul_f32 v31, v65, v47
	v_dual_mul_f32 v33, v64, v47 :: v_dual_mul_f32 v39, v42, v47
	s_delay_alu instid0(VALU_DEP_3) | instskip(NEXT) | instid1(VALU_DEP_3)
	v_add_f32_e32 v34, v36, v30
	v_dual_add_f32 v36, v37, v38 :: v_dual_add_f32 v24, v24, v28
	s_delay_alu instid0(VALU_DEP_3) | instskip(SKIP_2) | instid1(VALU_DEP_3)
	v_dual_fmac_f32 v33, v65, v46 :: v_dual_fma_f32 v28, v64, v46, -v31
	v_dual_mul_f32 v37, v42, v45 :: v_dual_mul_f32 v31, v43, v45
	v_dual_mul_f32 v38, v43, v47 :: v_dual_fmac_f32 v39, v43, v46
	v_dual_add_f32 v32, v32, v33 :: v_dual_add_f32 v30, v35, v28
	s_delay_alu instid0(VALU_DEP_3) | instskip(NEXT) | instid1(VALU_DEP_3)
	v_dual_fma_f32 v28, v42, v44, -v31 :: v_dual_fmac_f32 v37, v43, v44
	v_dual_fma_f32 v31, v42, v46, -v38 :: v_dual_add_f32 v24, v24, v39
	s_delay_alu instid0(VALU_DEP_2) | instskip(NEXT) | instid1(VALU_DEP_2)
	v_dual_add_f32 v26, v26, v28 :: v_dual_add_f32 v28, v29, v37
	v_add_f32_e32 v22, v22, v31
	s_barrier_signal -1
	s_barrier_wait -1
	s_cbranch_scc0 .LBB380_15
.LBB380_9:                              ;   Parent Loop BB380_6 Depth=1
                                        ; =>  This Inner Loop Header: Depth=2
	v_dual_mov_b32 v38, 0 :: v_dual_add_nc_u32 v29, s27, v2
	v_mov_b32_e32 v39, 0
	s_delay_alu instid0(VALU_DEP_2) | instskip(SKIP_2) | instid1(SALU_CYCLE_1)
	v_cmp_gt_i32_e32 vcc_lo, s9, v29
	s_wait_xcnt 0x0
	s_and_b32 s29, s0, vcc_lo
	s_and_saveexec_b32 s28, s29
	s_cbranch_execz .LBB380_11
; %bb.10:                               ;   in Loop: Header=BB380_9 Depth=2
	flat_load_b64 v[38:39], v[18:19]
.LBB380_11:                             ;   in Loop: Header=BB380_9 Depth=2
	s_wait_xcnt 0x0
	s_or_b32 exec_lo, exec_lo, s28
	v_add_nc_u32_e32 v29, s27, v0
	s_wait_loadcnt_dscnt 0x0
	ds_store_b64 v23, v[38:39]
	v_cmp_le_i32_e32 vcc_lo, s9, v29
	s_or_b32 s28, vcc_lo, s26
	s_delay_alu instid0(SALU_CYCLE_1) | instskip(NEXT) | instid1(SALU_CYCLE_1)
	s_and_saveexec_b32 s29, s28
	s_xor_b32 s28, exec_lo, s29
; %bb.12:                               ;   in Loop: Header=BB380_9 Depth=2
	ds_store_b32 v25, v3
; %bb.13:                               ;   in Loop: Header=BB380_9 Depth=2
	s_or_saveexec_b32 s28, s28
	v_mov_b32_e32 v29, 0
	s_xor_b32 exec_lo, exec_lo, s28
	s_cbranch_execz .LBB380_8
; %bb.14:                               ;   in Loop: Header=BB380_9 Depth=2
	flat_load_b64 v[38:39], v[20:21] offset:-4
	s_wait_loadcnt_dscnt 0x0
	v_xor_b32_e32 v29, 0x80000000, v39
	ds_store_b32 v25, v38
	s_branch .LBB380_8
.LBB380_15:                             ;   in Loop: Header=BB380_6 Depth=1
	s_wait_loadcnt 0x0
	s_wait_xcnt 0x0
	v_add_nc_u64_e32 v[16:17], s[22:23], v[16:17]
	s_delay_alu instid0(VALU_DEP_1)
	v_lshl_add_u64 v[18:19], v[8:9], 3, v[16:17]
	s_and_saveexec_b32 s27, s35
	s_cbranch_execz .LBB380_20
; %bb.16:                               ;   in Loop: Header=BB380_6 Depth=1
	v_mov_b64_e32 v[20:21], s[4:5]
	v_mov_b64_e32 v[38:39], s[10:11]
	s_and_b32 vcc_lo, exec_lo, s34
	s_mov_b32 s28, -1
	s_delay_alu instid0(VALU_DEP_2) | instskip(NEXT) | instid1(VALU_DEP_1)
	v_pk_mul_f32 v[20:21], v[36:37], v[20:21] op_sel_hi:[0,1]
	v_pk_fma_f32 v[36:37], v[34:35], v[38:39], v[20:21] op_sel_hi:[0,1,1]
	v_pk_fma_f32 v[20:21], v[34:35], v[38:39], v[20:21] neg_lo:[0,0,1] neg_hi:[0,0,1]
	v_lshl_add_u64 v[34:35], v[4:5], 3, v[18:19]
	s_delay_alu instid0(VALU_DEP_3)
	v_mov_b32_e32 v21, v37
	s_cbranch_vccz .LBB380_18
; %bb.17:                               ;   in Loop: Header=BB380_6 Depth=1
	flat_load_b64 v[36:37], v[34:35]
	v_mov_b64_e32 v[38:39], s[6:7]
	v_mov_b64_e32 v[40:41], s[2:3]
	s_mov_b32 s28, 0
	s_wait_loadcnt_dscnt 0x0
	s_delay_alu instid0(VALU_DEP_2) | instskip(NEXT) | instid1(VALU_DEP_1)
	v_pk_mul_f32 v[38:39], v[36:37], v[38:39]
	v_pk_fma_f32 v[42:43], v[36:37], v[40:41], v[38:39] op_sel:[0,0,1] op_sel_hi:[1,1,0]
	v_pk_fma_f32 v[36:37], v[36:37], v[40:41], v[38:39] op_sel:[0,0,1] op_sel_hi:[1,1,0] neg_lo:[0,0,1] neg_hi:[0,0,1]
	s_delay_alu instid0(VALU_DEP_2) | instskip(NEXT) | instid1(VALU_DEP_1)
	v_mov_b32_e32 v37, v43
	v_pk_add_f32 v[36:37], v[20:21], v[36:37]
	flat_store_b64 v[34:35], v[36:37]
.LBB380_18:                             ;   in Loop: Header=BB380_6 Depth=1
	s_and_not1_b32 vcc_lo, exec_lo, s28
	s_cbranch_vccnz .LBB380_20
; %bb.19:                               ;   in Loop: Header=BB380_6 Depth=1
	flat_store_b64 v[34:35], v[20:21]
.LBB380_20:                             ;   in Loop: Header=BB380_6 Depth=1
	s_wait_xcnt 0x0
	s_or_b32 exec_lo, exec_lo, s27
	s_and_saveexec_b32 s27, s1
	s_cbranch_execz .LBB380_25
; %bb.21:                               ;   in Loop: Header=BB380_6 Depth=1
	v_mov_b64_e32 v[20:21], s[4:5]
	v_mov_b64_e32 v[34:35], s[10:11]
	v_lshl_add_u64 v[18:19], v[6:7], 3, v[18:19]
	s_and_not1_b32 vcc_lo, exec_lo, s34
	s_mov_b32 s28, -1
	s_delay_alu instid0(VALU_DEP_3) | instskip(NEXT) | instid1(VALU_DEP_1)
	v_pk_mul_f32 v[20:21], v[32:33], v[20:21] op_sel_hi:[0,1]
	v_pk_fma_f32 v[32:33], v[30:31], v[34:35], v[20:21] op_sel_hi:[0,1,1]
	v_pk_fma_f32 v[20:21], v[30:31], v[34:35], v[20:21] neg_lo:[0,0,1] neg_hi:[0,0,1]
	s_delay_alu instid0(VALU_DEP_2)
	v_mov_b32_e32 v21, v33
	s_cbranch_vccnz .LBB380_23
; %bb.22:                               ;   in Loop: Header=BB380_6 Depth=1
	flat_load_b64 v[30:31], v[18:19]
	v_mov_b64_e32 v[32:33], s[6:7]
	v_mov_b64_e32 v[34:35], s[2:3]
	s_mov_b32 s28, 0
	s_wait_loadcnt_dscnt 0x0
	s_delay_alu instid0(VALU_DEP_2) | instskip(NEXT) | instid1(VALU_DEP_1)
	v_pk_mul_f32 v[32:33], v[30:31], v[32:33]
	v_pk_fma_f32 v[36:37], v[30:31], v[34:35], v[32:33] op_sel:[0,0,1] op_sel_hi:[1,1,0]
	v_pk_fma_f32 v[30:31], v[30:31], v[34:35], v[32:33] op_sel:[0,0,1] op_sel_hi:[1,1,0] neg_lo:[0,0,1] neg_hi:[0,0,1]
	s_delay_alu instid0(VALU_DEP_2) | instskip(NEXT) | instid1(VALU_DEP_1)
	v_mov_b32_e32 v31, v37
	v_pk_add_f32 v[30:31], v[20:21], v[30:31]
	flat_store_b64 v[18:19], v[30:31]
.LBB380_23:                             ;   in Loop: Header=BB380_6 Depth=1
	s_and_not1_b32 vcc_lo, exec_lo, s28
	s_cbranch_vccnz .LBB380_25
; %bb.24:                               ;   in Loop: Header=BB380_6 Depth=1
	flat_store_b64 v[18:19], v[20:21]
.LBB380_25:                             ;   in Loop: Header=BB380_6 Depth=1
	s_wait_xcnt 0x0
	s_or_b32 exec_lo, exec_lo, s27
	v_lshl_add_u64 v[16:17], v[10:11], 3, v[16:17]
	s_and_saveexec_b32 s27, s8
	s_cbranch_execz .LBB380_30
; %bb.26:                               ;   in Loop: Header=BB380_6 Depth=1
	v_mov_b64_e32 v[18:19], s[4:5]
	v_mov_b64_e32 v[20:21], s[10:11]
	s_and_not1_b32 vcc_lo, exec_lo, s34
	s_mov_b32 s28, -1
	s_delay_alu instid0(VALU_DEP_2) | instskip(NEXT) | instid1(VALU_DEP_1)
	v_pk_mul_f32 v[18:19], v[28:29], v[18:19] op_sel_hi:[0,1]
	v_pk_fma_f32 v[28:29], v[26:27], v[20:21], v[18:19] op_sel_hi:[0,1,1]
	v_pk_fma_f32 v[18:19], v[26:27], v[20:21], v[18:19] neg_lo:[0,0,1] neg_hi:[0,0,1]
	v_lshl_add_u64 v[20:21], v[4:5], 3, v[16:17]
	s_delay_alu instid0(VALU_DEP_3)
	v_mov_b32_e32 v19, v29
	s_cbranch_vccnz .LBB380_28
; %bb.27:                               ;   in Loop: Header=BB380_6 Depth=1
	flat_load_b64 v[28:29], v[20:21]
	v_mov_b64_e32 v[30:31], s[6:7]
	v_mov_b64_e32 v[32:33], s[2:3]
	s_mov_b32 s28, 0
	s_wait_loadcnt_dscnt 0x0
	s_delay_alu instid0(VALU_DEP_2) | instskip(NEXT) | instid1(VALU_DEP_1)
	v_pk_mul_f32 v[30:31], v[28:29], v[30:31]
	v_pk_fma_f32 v[34:35], v[28:29], v[32:33], v[30:31] op_sel:[0,0,1] op_sel_hi:[1,1,0]
	v_pk_fma_f32 v[28:29], v[28:29], v[32:33], v[30:31] op_sel:[0,0,1] op_sel_hi:[1,1,0] neg_lo:[0,0,1] neg_hi:[0,0,1]
	s_delay_alu instid0(VALU_DEP_2) | instskip(NEXT) | instid1(VALU_DEP_1)
	v_mov_b32_e32 v29, v35
	v_pk_add_f32 v[28:29], v[18:19], v[28:29]
	flat_store_b64 v[20:21], v[28:29]
.LBB380_28:                             ;   in Loop: Header=BB380_6 Depth=1
	s_and_not1_b32 vcc_lo, exec_lo, s28
	s_cbranch_vccnz .LBB380_30
; %bb.29:                               ;   in Loop: Header=BB380_6 Depth=1
	flat_store_b64 v[20:21], v[18:19]
.LBB380_30:                             ;   in Loop: Header=BB380_6 Depth=1
	s_wait_xcnt 0x0
	s_or_b32 exec_lo, exec_lo, s27
	s_and_saveexec_b32 s27, s36
	s_cbranch_execz .LBB380_5
; %bb.31:                               ;   in Loop: Header=BB380_6 Depth=1
	v_mov_b64_e32 v[18:19], s[4:5]
	v_mov_b64_e32 v[20:21], s[10:11]
	v_lshl_add_u64 v[16:17], v[6:7], 3, v[16:17]
	s_and_not1_b32 vcc_lo, exec_lo, s34
	s_mov_b32 s28, -1
	s_delay_alu instid0(VALU_DEP_3) | instskip(NEXT) | instid1(VALU_DEP_1)
	v_pk_mul_f32 v[18:19], v[24:25], v[18:19] op_sel_hi:[0,1]
	v_pk_fma_f32 v[28:29], v[22:23], v[20:21], v[18:19] op_sel_hi:[0,1,1]
	v_pk_fma_f32 v[18:19], v[22:23], v[20:21], v[18:19] neg_lo:[0,0,1] neg_hi:[0,0,1]
	s_delay_alu instid0(VALU_DEP_2)
	v_mov_b32_e32 v19, v29
	s_cbranch_vccnz .LBB380_33
; %bb.32:                               ;   in Loop: Header=BB380_6 Depth=1
	flat_load_b64 v[20:21], v[16:17]
	v_mov_b64_e32 v[28:29], s[6:7]
	v_mov_b64_e32 v[30:31], s[2:3]
	s_mov_b32 s28, 0
	s_wait_loadcnt_dscnt 0x0
	s_delay_alu instid0(VALU_DEP_2) | instskip(NEXT) | instid1(VALU_DEP_1)
	v_pk_mul_f32 v[28:29], v[20:21], v[28:29]
	v_pk_fma_f32 v[32:33], v[20:21], v[30:31], v[28:29] op_sel:[0,0,1] op_sel_hi:[1,1,0]
	v_pk_fma_f32 v[20:21], v[20:21], v[30:31], v[28:29] op_sel:[0,0,1] op_sel_hi:[1,1,0] neg_lo:[0,0,1] neg_hi:[0,0,1]
	s_delay_alu instid0(VALU_DEP_2) | instskip(NEXT) | instid1(VALU_DEP_1)
	v_mov_b32_e32 v21, v33
	v_pk_add_f32 v[20:21], v[18:19], v[20:21]
	flat_store_b64 v[16:17], v[20:21]
.LBB380_33:                             ;   in Loop: Header=BB380_6 Depth=1
	s_and_not1_b32 vcc_lo, exec_lo, s28
	s_cbranch_vccnz .LBB380_5
; %bb.34:                               ;   in Loop: Header=BB380_6 Depth=1
	flat_store_b64 v[16:17], v[18:19]
	s_branch .LBB380_5
.LBB380_35:
	s_sendmsg sendmsg(MSG_DEALLOC_VGPRS)
	s_endpgm
	.section	.rodata,"a",@progbits
	.p2align	6, 0x0
	.amdhsa_kernel _ZL29rocblas_internal_gemmt_kernelIiLi16ELi32ELi8ELc78ELc67ELc85ELb0ELb1E19rocblas_complex_numIfES1_PKPKS1_PKPS1_EviT_T9_T10_S9_lSB_S9_lSA_T11_S9_li
		.amdhsa_group_segment_fixed_size 4096
		.amdhsa_private_segment_fixed_size 0
		.amdhsa_kernarg_size 100
		.amdhsa_user_sgpr_count 2
		.amdhsa_user_sgpr_dispatch_ptr 0
		.amdhsa_user_sgpr_queue_ptr 0
		.amdhsa_user_sgpr_kernarg_segment_ptr 1
		.amdhsa_user_sgpr_dispatch_id 0
		.amdhsa_user_sgpr_kernarg_preload_length 0
		.amdhsa_user_sgpr_kernarg_preload_offset 0
		.amdhsa_user_sgpr_private_segment_size 0
		.amdhsa_wavefront_size32 1
		.amdhsa_uses_dynamic_stack 0
		.amdhsa_enable_private_segment 0
		.amdhsa_system_sgpr_workgroup_id_x 1
		.amdhsa_system_sgpr_workgroup_id_y 1
		.amdhsa_system_sgpr_workgroup_id_z 1
		.amdhsa_system_sgpr_workgroup_info 0
		.amdhsa_system_vgpr_workitem_id 1
		.amdhsa_next_free_vgpr 71
		.amdhsa_next_free_sgpr 40
		.amdhsa_named_barrier_count 0
		.amdhsa_reserve_vcc 1
		.amdhsa_float_round_mode_32 0
		.amdhsa_float_round_mode_16_64 0
		.amdhsa_float_denorm_mode_32 3
		.amdhsa_float_denorm_mode_16_64 3
		.amdhsa_fp16_overflow 0
		.amdhsa_memory_ordered 1
		.amdhsa_forward_progress 1
		.amdhsa_inst_pref_size 26
		.amdhsa_round_robin_scheduling 0
		.amdhsa_exception_fp_ieee_invalid_op 0
		.amdhsa_exception_fp_denorm_src 0
		.amdhsa_exception_fp_ieee_div_zero 0
		.amdhsa_exception_fp_ieee_overflow 0
		.amdhsa_exception_fp_ieee_underflow 0
		.amdhsa_exception_fp_ieee_inexact 0
		.amdhsa_exception_int_div_zero 0
	.end_amdhsa_kernel
	.section	.text._ZL29rocblas_internal_gemmt_kernelIiLi16ELi32ELi8ELc78ELc67ELc85ELb0ELb1E19rocblas_complex_numIfES1_PKPKS1_PKPS1_EviT_T9_T10_S9_lSB_S9_lSA_T11_S9_li,"axG",@progbits,_ZL29rocblas_internal_gemmt_kernelIiLi16ELi32ELi8ELc78ELc67ELc85ELb0ELb1E19rocblas_complex_numIfES1_PKPKS1_PKPS1_EviT_T9_T10_S9_lSB_S9_lSA_T11_S9_li,comdat
.Lfunc_end380:
	.size	_ZL29rocblas_internal_gemmt_kernelIiLi16ELi32ELi8ELc78ELc67ELc85ELb0ELb1E19rocblas_complex_numIfES1_PKPKS1_PKPS1_EviT_T9_T10_S9_lSB_S9_lSA_T11_S9_li, .Lfunc_end380-_ZL29rocblas_internal_gemmt_kernelIiLi16ELi32ELi8ELc78ELc67ELc85ELb0ELb1E19rocblas_complex_numIfES1_PKPKS1_PKPS1_EviT_T9_T10_S9_lSB_S9_lSA_T11_S9_li
                                        ; -- End function
	.set _ZL29rocblas_internal_gemmt_kernelIiLi16ELi32ELi8ELc78ELc67ELc85ELb0ELb1E19rocblas_complex_numIfES1_PKPKS1_PKPS1_EviT_T9_T10_S9_lSB_S9_lSA_T11_S9_li.num_vgpr, 71
	.set _ZL29rocblas_internal_gemmt_kernelIiLi16ELi32ELi8ELc78ELc67ELc85ELb0ELb1E19rocblas_complex_numIfES1_PKPKS1_PKPS1_EviT_T9_T10_S9_lSB_S9_lSA_T11_S9_li.num_agpr, 0
	.set _ZL29rocblas_internal_gemmt_kernelIiLi16ELi32ELi8ELc78ELc67ELc85ELb0ELb1E19rocblas_complex_numIfES1_PKPKS1_PKPS1_EviT_T9_T10_S9_lSB_S9_lSA_T11_S9_li.numbered_sgpr, 40
	.set _ZL29rocblas_internal_gemmt_kernelIiLi16ELi32ELi8ELc78ELc67ELc85ELb0ELb1E19rocblas_complex_numIfES1_PKPKS1_PKPS1_EviT_T9_T10_S9_lSB_S9_lSA_T11_S9_li.num_named_barrier, 0
	.set _ZL29rocblas_internal_gemmt_kernelIiLi16ELi32ELi8ELc78ELc67ELc85ELb0ELb1E19rocblas_complex_numIfES1_PKPKS1_PKPS1_EviT_T9_T10_S9_lSB_S9_lSA_T11_S9_li.private_seg_size, 0
	.set _ZL29rocblas_internal_gemmt_kernelIiLi16ELi32ELi8ELc78ELc67ELc85ELb0ELb1E19rocblas_complex_numIfES1_PKPKS1_PKPS1_EviT_T9_T10_S9_lSB_S9_lSA_T11_S9_li.uses_vcc, 1
	.set _ZL29rocblas_internal_gemmt_kernelIiLi16ELi32ELi8ELc78ELc67ELc85ELb0ELb1E19rocblas_complex_numIfES1_PKPKS1_PKPS1_EviT_T9_T10_S9_lSB_S9_lSA_T11_S9_li.uses_flat_scratch, 0
	.set _ZL29rocblas_internal_gemmt_kernelIiLi16ELi32ELi8ELc78ELc67ELc85ELb0ELb1E19rocblas_complex_numIfES1_PKPKS1_PKPS1_EviT_T9_T10_S9_lSB_S9_lSA_T11_S9_li.has_dyn_sized_stack, 0
	.set _ZL29rocblas_internal_gemmt_kernelIiLi16ELi32ELi8ELc78ELc67ELc85ELb0ELb1E19rocblas_complex_numIfES1_PKPKS1_PKPS1_EviT_T9_T10_S9_lSB_S9_lSA_T11_S9_li.has_recursion, 0
	.set _ZL29rocblas_internal_gemmt_kernelIiLi16ELi32ELi8ELc78ELc67ELc85ELb0ELb1E19rocblas_complex_numIfES1_PKPKS1_PKPS1_EviT_T9_T10_S9_lSB_S9_lSA_T11_S9_li.has_indirect_call, 0
	.section	.AMDGPU.csdata,"",@progbits
; Kernel info:
; codeLenInByte = 3264
; TotalNumSgprs: 42
; NumVgprs: 71
; ScratchSize: 0
; MemoryBound: 0
; FloatMode: 240
; IeeeMode: 1
; LDSByteSize: 4096 bytes/workgroup (compile time only)
; SGPRBlocks: 0
; VGPRBlocks: 4
; NumSGPRsForWavesPerEU: 42
; NumVGPRsForWavesPerEU: 71
; NamedBarCnt: 0
; Occupancy: 12
; WaveLimiterHint : 1
; COMPUTE_PGM_RSRC2:SCRATCH_EN: 0
; COMPUTE_PGM_RSRC2:USER_SGPR: 2
; COMPUTE_PGM_RSRC2:TRAP_HANDLER: 0
; COMPUTE_PGM_RSRC2:TGID_X_EN: 1
; COMPUTE_PGM_RSRC2:TGID_Y_EN: 1
; COMPUTE_PGM_RSRC2:TGID_Z_EN: 1
; COMPUTE_PGM_RSRC2:TIDIG_COMP_CNT: 1
	.section	.text._ZL29rocblas_internal_gemmt_kernelIiLi16ELi32ELi8ELc84ELc78ELc85ELb0ELb0E19rocblas_complex_numIfES1_PKPKS1_PKPS1_EviT_T9_T10_S9_lSB_S9_lSA_T11_S9_li,"axG",@progbits,_ZL29rocblas_internal_gemmt_kernelIiLi16ELi32ELi8ELc84ELc78ELc85ELb0ELb0E19rocblas_complex_numIfES1_PKPKS1_PKPS1_EviT_T9_T10_S9_lSB_S9_lSA_T11_S9_li,comdat
	.globl	_ZL29rocblas_internal_gemmt_kernelIiLi16ELi32ELi8ELc84ELc78ELc85ELb0ELb0E19rocblas_complex_numIfES1_PKPKS1_PKPS1_EviT_T9_T10_S9_lSB_S9_lSA_T11_S9_li ; -- Begin function _ZL29rocblas_internal_gemmt_kernelIiLi16ELi32ELi8ELc84ELc78ELc85ELb0ELb0E19rocblas_complex_numIfES1_PKPKS1_PKPS1_EviT_T9_T10_S9_lSB_S9_lSA_T11_S9_li
	.p2align	8
	.type	_ZL29rocblas_internal_gemmt_kernelIiLi16ELi32ELi8ELc84ELc78ELc85ELb0ELb0E19rocblas_complex_numIfES1_PKPKS1_PKPS1_EviT_T9_T10_S9_lSB_S9_lSA_T11_S9_li,@function
_ZL29rocblas_internal_gemmt_kernelIiLi16ELi32ELi8ELc84ELc78ELc85ELb0ELb0E19rocblas_complex_numIfES1_PKPKS1_PKPS1_EviT_T9_T10_S9_lSB_S9_lSA_T11_S9_li: ; @_ZL29rocblas_internal_gemmt_kernelIiLi16ELi32ELi8ELc84ELc78ELc85ELb0ELb0E19rocblas_complex_numIfES1_PKPKS1_PKPS1_EviT_T9_T10_S9_lSB_S9_lSA_T11_S9_li
; %bb.0:
	s_clause 0x1
	s_load_b64 s[6:7], s[0:1], 0x40
	s_load_b128 s[8:11], s[0:1], 0x0
	s_wait_kmcnt 0x0
	s_cmp_neq_f32 s6, 1.0
	s_cselect_b32 s2, -1, 0
	s_and_b32 s3, s7, 0x7fffffff
	s_delay_alu instid0(SALU_CYCLE_1) | instskip(SKIP_3) | instid1(SALU_CYCLE_1)
	s_cmp_eq_u32 s3, 0
	s_cselect_b32 s23, -1, 0
	s_cmp_lg_u32 s3, 0
	s_cselect_b32 s3, -1, 0
	s_or_b32 s2, s2, s3
	s_delay_alu instid0(SALU_CYCLE_1)
	s_and_b32 vcc_lo, exec_lo, s2
	s_cbranch_vccnz .LBB381_2
; %bb.1:
	s_cmp_lg_u32 s9, 0
	s_cselect_b32 s2, -1, 0
	s_cmp_neq_f32 s10, 0
	s_cselect_b32 s3, -1, 0
	s_cmp_neq_f32 s11, 0
	s_cselect_b32 s4, -1, 0
	s_delay_alu instid0(SALU_CYCLE_1) | instskip(NEXT) | instid1(SALU_CYCLE_1)
	s_or_b32 s3, s3, s4
	s_and_b32 s2, s2, s3
.LBB381_2:
	s_delay_alu instid0(SALU_CYCLE_1)
	s_and_not1_b32 vcc_lo, exec_lo, s2
	s_cbranch_vccnz .LBB381_33
; %bb.3:
	s_load_b32 s19, s[0:1], 0x60
	s_bfe_u32 s2, ttmp6, 0x40014
	s_lshr_b32 s3, ttmp7, 16
	s_add_co_i32 s2, s2, 1
	s_bfe_u32 s5, ttmp6, 0x40008
	s_mul_i32 s2, s3, s2
	s_getreg_b32 s4, hwreg(HW_REG_IB_STS2, 6, 4)
	s_add_co_i32 s5, s5, s2
	s_cmp_eq_u32 s4, 0
	s_mov_b32 s25, 0
	s_cselect_b32 s24, s3, s5
	s_wait_kmcnt 0x0
	s_cmp_ge_u32 s24, s19
	s_cbranch_scc1 .LBB381_33
; %bb.4:
	s_clause 0x2
	s_load_b96 s[16:18], s[0:1], 0x10
	s_load_b32 s2, s[0:1], 0x30
	s_load_b96 s[20:22], s[0:1], 0x48
	v_and_b32_e32 v4, 0x3ff, v0
	v_bfe_u32 v5, v0, 10, 10
	s_clause 0x2
	s_load_b128 s[12:15], s[0:1], 0x20
	s_load_b64 s[26:27], s[0:1], 0x38
	s_load_b64 s[28:29], s[0:1], 0x58
	s_wait_xcnt 0x0
	s_bfe_u32 s1, ttmp6, 0x4000c
	s_bfe_u32 s3, ttmp6, 0x40010
	s_and_b32 s30, ttmp7, 0xffff
	s_add_co_i32 s1, s1, 1
	s_add_co_i32 s3, s3, 1
	v_lshl_add_u32 v1, v5, 4, v4
	s_and_b32 s0, ttmp6, 15
	s_bfe_u32 s33, ttmp6, 0x40004
	s_mul_i32 s1, ttmp9, s1
	s_mul_i32 s34, s30, s3
	s_add_co_i32 s0, s0, s1
	s_add_co_i32 s33, s33, s34
	v_dual_lshrrev_b32 v21, 5, v1 :: v_dual_bitop2_b32 v23, 7, v0 bitop3:0x40
	s_wait_kmcnt 0x0
	s_ashr_i32 s31, s18, 31
	s_ashr_i32 s3, s2, 31
	;; [unrolled: 1-line block ×3, first 2 shown]
	s_cmp_eq_u32 s4, 0
	v_dual_lshrrev_b32 v6, 3, v1 :: v_dual_bitop2_b32 v1, 31, v1 bitop3:0x40
	s_cselect_b32 s0, ttmp9, s0
	s_cselect_b32 s1, s30, s33
	s_lshl_b32 s33, s0, 5
	s_lshl_b32 s1, s1, 5
	s_delay_alu instid0(SALU_CYCLE_1) | instskip(SKIP_2) | instid1(VALU_DEP_2)
	v_dual_add_nc_u32 v2, s1, v6 :: v_dual_bitop2_b32 v0, s33, v1 bitop3:0x54
	v_dual_lshlrev_b32 v3, 3, v1 :: v_dual_lshlrev_b32 v12, 3, v23
	s_mov_b32 s30, s18
	v_dual_ashrrev_i32 v1, 31, v0 :: v_dual_add_nc_u32 v8, s1, v5
	v_lshlrev_b32_e32 v29, 3, v4
	s_delay_alu instid0(VALU_DEP_3) | instskip(SKIP_4) | instid1(VALU_DEP_3)
	v_lshl_or_b32 v25, v21, 8, v3
	v_ashrrev_i32_e32 v3, 31, v2
	s_cmp_neq_f32 s10, 0
	v_mul_u64_e32 v[10:11], s[30:31], v[0:1]
	v_dual_add_nc_u32 v16, 16, v8 :: v_dual_ashrrev_i32 v9, 31, v8
	v_mul_u64_e32 v[14:15], s[2:3], v[2:3]
	s_cselect_b32 s0, -1, 0
	s_cmp_neq_f32 s11, 0
	v_lshl_or_b32 v6, v6, 6, v12
	v_ashrrev_i32_e32 v17, 31, v16
	s_mov_b32 s4, s22
	s_cselect_b32 s18, -1, 0
	v_cmp_gt_i32_e64 s1, s8, v2
	s_or_b32 s34, s0, s18
	v_cmp_gt_i32_e64 s0, s8, v0
	v_add_nc_u32_e32 v0, s33, v4
	v_add_nc_u32_e32 v27, 0x800, v6
	v_mul_u64_e32 v[2:3], s[4:5], v[8:9]
	v_mov_b32_e32 v9, 0
	v_mul_u64_e32 v[6:7], s[4:5], v[16:17]
	v_add_nc_u32_e32 v4, 16, v0
	s_cmp_gt_i32 s9, 0
	v_cmp_gt_i32_e32 vcc_lo, s8, v8
	s_cselect_b32 s35, -1, 0
	s_cmp_neq_f32 s6, 0
	v_lshl_add_u32 v33, v5, 6, 0x800
	v_ashrrev_i32_e32 v5, 31, v4
	v_cmp_le_i32_e64 s2, v0, v8
	s_cselect_b32 s3, -1, 0
	s_xor_b32 s4, s23, -1
	v_ashrrev_i32_e32 v1, 31, v0
	s_or_b32 s18, s3, s4
	s_and_b32 s22, vcc_lo, s2
	v_cmp_le_i32_e64 s2, v4, v8
	v_cmp_gt_i32_e64 s3, s8, v16
	v_cmp_le_i32_e64 s4, v0, v16
	v_cmp_le_i32_e64 s5, v4, v16
	v_dual_mov_b32 v13, v9 :: v_dual_lshlrev_b32 v8, 3, v21
	s_and_b32 s8, vcc_lo, s2
	s_and_b32 s23, s3, s4
	s_and_b32 s30, s3, s5
	s_lshl_b64 s[2:3], s[12:13], 3
	s_mov_b32 s4, s11
	v_lshl_add_u64 v[10:11], v[10:11], 3, s[2:3]
	s_lshl_b64 s[2:3], s[26:27], 3
	s_and_b32 s26, s34, s35
	v_lshl_add_u64 v[14:15], v[14:15], 3, s[2:3]
	s_mov_b32 s2, s6
	v_add_nc_u64_e32 v[10:11], v[10:11], v[8:9]
	s_mov_b32 s3, s6
	s_mov_b32 s6, s7
	v_add_nc_u64_e32 v[12:13], v[14:15], v[12:13]
	s_mov_b32 s5, s10
	s_lshl_b64 s[12:13], s[28:29], 3
	s_branch .LBB381_6
.LBB381_5:                              ;   in Loop: Header=BB381_6 Depth=1
	s_wait_xcnt 0x0
	s_or_b32 exec_lo, exec_lo, s27
	s_add_co_i32 s24, s24, 0x10000
	s_delay_alu instid0(SALU_CYCLE_1)
	s_cmp_lt_u32 s24, s19
	s_cbranch_scc0 .LBB381_33
.LBB381_6:                              ; =>This Loop Header: Depth=1
                                        ;     Child Loop BB381_9 Depth 2
	v_dual_mov_b32 v8, s24 :: v_dual_mov_b32 v30, 0
	v_dual_mov_b32 v32, 0 :: v_dual_mov_b32 v26, 0
	;; [unrolled: 1-line block ×3, first 2 shown]
	global_load_b64 v[14:15], v8, s[20:21] scale_offset
	s_wait_xcnt 0x0
	v_dual_mov_b32 v24, 0 :: v_dual_mov_b32 v8, 0
	v_mov_b32_e32 v20, 0
	s_and_not1_b32 vcc_lo, exec_lo, s26
	s_cbranch_vccnz .LBB381_13
; %bb.7:                                ;   in Loop: Header=BB381_6 Depth=1
	s_lshl_b64 s[28:29], s[24:25], 3
	v_dual_mov_b32 v20, 0 :: v_dual_mov_b32 v8, 0
	s_add_nc_u64 s[34:35], s[16:17], s[28:29]
	s_add_nc_u64 s[28:29], s[14:15], s[28:29]
	s_clause 0x1
	global_load_b64 v[16:17], v9, s[34:35]
	global_load_b64 v[18:19], v9, s[28:29]
	v_dual_mov_b32 v24, 0 :: v_dual_mov_b32 v22, 0
	v_dual_mov_b32 v28, 0 :: v_dual_mov_b32 v26, 0
	;; [unrolled: 1-line block ×3, first 2 shown]
	s_mov_b32 s27, 0
	s_wait_loadcnt 0x1
	v_add_nc_u64_e32 v[16:17], v[16:17], v[10:11]
	s_wait_loadcnt 0x0
	v_add_nc_u64_e32 v[18:19], v[18:19], v[12:13]
	s_branch .LBB381_9
.LBB381_8:                              ;   in Loop: Header=BB381_9 Depth=2
	s_wait_xcnt 0x0
	s_or_b32 exec_lo, exec_lo, s28
	s_wait_loadcnt_dscnt 0x0
	ds_store_b64 v27, v[36:37]
	s_wait_dscnt 0x0
	s_barrier_signal -1
	s_barrier_wait -1
	ds_load_b128 v[34:37], v33
	ds_load_2addr_b64 v[38:41], v29 offset1:16
	ds_load_b128 v[42:45], v33 offset:1024
	ds_load_b128 v[46:49], v33 offset:16
	ds_load_2addr_b64 v[50:53], v29 offset0:32 offset1:48
	ds_load_b128 v[54:57], v33 offset:32
	ds_load_b128 v[58:61], v33 offset:48
	;; [unrolled: 1-line block ×3, first 2 shown]
	v_add_nc_u64_e32 v[16:17], 64, v[16:17]
	v_add_nc_u64_e32 v[18:19], 64, v[18:19]
	s_add_co_i32 s27, s27, 8
	s_delay_alu instid0(SALU_CYCLE_1)
	s_cmp_lt_i32 s27, s9
	s_wait_dscnt 0x6
	v_dual_mul_f32 v31, v35, v39 :: v_dual_mul_f32 v66, v34, v39
	v_dual_mul_f32 v67, v35, v41 :: v_dual_mul_f32 v68, v34, v41
	s_wait_dscnt 0x5
	v_dual_mul_f32 v69, v43, v39 :: v_dual_mul_f32 v39, v42, v39
	v_dual_mul_f32 v70, v43, v41 :: v_dual_mul_f32 v71, v42, v41
	v_dual_fma_f32 v31, v34, v38, -v31 :: v_dual_fmac_f32 v66, v35, v38
	v_dual_fma_f32 v34, v34, v40, -v67 :: v_dual_fmac_f32 v68, v35, v40
	s_delay_alu instid0(VALU_DEP_4) | instskip(NEXT) | instid1(VALU_DEP_4)
	v_dual_fma_f32 v35, v42, v38, -v69 :: v_dual_fmac_f32 v39, v43, v38
	v_fma_f32 v38, v42, v40, -v70
	s_delay_alu instid0(VALU_DEP_3) | instskip(SKIP_1) | instid1(VALU_DEP_4)
	v_dual_add_f32 v30, v30, v31 :: v_dual_add_f32 v28, v28, v68
	v_add_f32_e32 v31, v32, v66
	v_dual_add_f32 v26, v26, v34 :: v_dual_add_f32 v24, v24, v39
	v_dual_add_f32 v22, v22, v35 :: v_dual_fmac_f32 v71, v43, v40
	s_wait_dscnt 0x3
	v_dual_mul_f32 v32, v37, v51 :: v_dual_add_f32 v8, v8, v38
	ds_load_2addr_b64 v[38:41], v29 offset0:64 offset1:80
	v_dual_mul_f32 v34, v36, v51 :: v_dual_mul_f32 v35, v37, v53
	v_add_f32_e32 v20, v20, v71
	v_dual_fma_f32 v32, v36, v50, -v32 :: v_dual_mul_f32 v42, v36, v53
	s_delay_alu instid0(VALU_DEP_1) | instskip(NEXT) | instid1(VALU_DEP_1)
	v_dual_fmac_f32 v34, v37, v50 :: v_dual_add_f32 v30, v30, v32
	v_dual_fma_f32 v32, v36, v52, -v35 :: v_dual_add_f32 v31, v31, v34
	v_mul_f32_e32 v35, v45, v51
	s_delay_alu instid0(VALU_DEP_4) | instskip(NEXT) | instid1(VALU_DEP_2)
	v_dual_fmac_f32 v42, v37, v52 :: v_dual_mul_f32 v34, v44, v51
	v_dual_add_f32 v26, v26, v32 :: v_dual_fma_f32 v32, v44, v50, -v35
	s_delay_alu instid0(VALU_DEP_2) | instskip(NEXT) | instid1(VALU_DEP_3)
	v_dual_mul_f32 v35, v45, v53 :: v_dual_add_f32 v28, v28, v42
	v_dual_fmac_f32 v34, v45, v50 :: v_dual_mul_f32 v42, v44, v53
	s_delay_alu instid0(VALU_DEP_3) | instskip(SKIP_1) | instid1(VALU_DEP_3)
	v_add_f32_e32 v22, v22, v32
	s_wait_dscnt 0x0
	v_dual_fma_f32 v32, v44, v52, -v35 :: v_dual_mul_f32 v35, v47, v39
	s_delay_alu instid0(VALU_DEP_3) | instskip(SKIP_1) | instid1(VALU_DEP_3)
	v_dual_add_f32 v24, v24, v34 :: v_dual_mul_f32 v43, v46, v39
	v_fmac_f32_e32 v42, v45, v52
	v_dual_add_f32 v8, v8, v32 :: v_dual_fma_f32 v32, v46, v38, -v35
	ds_load_2addr_b64 v[34:37], v29 offset0:96 offset1:112
	v_dual_mul_f32 v44, v47, v41 :: v_dual_fmac_f32 v43, v47, v38
	v_dual_add_f32 v20, v20, v42 :: v_dual_add_f32 v30, v30, v32
	s_delay_alu instid0(VALU_DEP_2) | instskip(NEXT) | instid1(VALU_DEP_3)
	v_dual_mul_f32 v32, v46, v41 :: v_dual_fma_f32 v42, v46, v40, -v44
	v_add_f32_e32 v31, v31, v43
	v_dual_mul_f32 v43, v63, v39 :: v_dual_mul_f32 v39, v62, v39
	s_delay_alu instid0(VALU_DEP_3) | instskip(NEXT) | instid1(VALU_DEP_2)
	v_dual_fmac_f32 v32, v47, v40 :: v_dual_add_f32 v26, v26, v42
	v_dual_mul_f32 v42, v63, v41 :: v_dual_fma_f32 v43, v62, v38, -v43
	s_delay_alu instid0(VALU_DEP_3) | instskip(NEXT) | instid1(VALU_DEP_3)
	v_dual_fmac_f32 v39, v63, v38 :: v_dual_mul_f32 v44, v62, v41
	v_add_f32_e32 v28, v28, v32
	s_delay_alu instid0(VALU_DEP_3) | instskip(NEXT) | instid1(VALU_DEP_4)
	v_fma_f32 v32, v62, v40, -v42
	v_add_f32_e32 v22, v22, v43
	s_delay_alu instid0(VALU_DEP_4) | instskip(SKIP_1) | instid1(VALU_DEP_3)
	v_dual_add_f32 v24, v24, v39 :: v_dual_fmac_f32 v44, v63, v40
	s_wait_dscnt 0x0
	v_dual_mul_f32 v42, v49, v35 :: v_dual_add_f32 v8, v8, v32
	ds_load_2addr_b64 v[38:41], v29 offset0:128 offset1:144
	v_dual_mul_f32 v32, v48, v35 :: v_dual_mul_f32 v43, v49, v37
	v_dual_fma_f32 v42, v48, v34, -v42 :: v_dual_mul_f32 v46, v48, v37
	s_delay_alu instid0(VALU_DEP_2) | instskip(NEXT) | instid1(VALU_DEP_2)
	v_dual_fmac_f32 v32, v49, v34 :: v_dual_add_f32 v20, v20, v44
	v_dual_add_f32 v30, v30, v42 :: v_dual_fma_f32 v43, v48, v36, -v43
	s_delay_alu instid0(VALU_DEP_2) | instskip(NEXT) | instid1(VALU_DEP_4)
	v_dual_mul_f32 v42, v65, v35 :: v_dual_add_f32 v31, v31, v32
	v_dual_fmac_f32 v46, v49, v36 :: v_dual_mul_f32 v32, v64, v35
	s_delay_alu instid0(VALU_DEP_2) | instskip(NEXT) | instid1(VALU_DEP_2)
	v_dual_add_f32 v26, v26, v43 :: v_dual_fma_f32 v35, v64, v34, -v42
	v_dual_mul_f32 v47, v65, v37 :: v_dual_add_f32 v28, v28, v46
	ds_load_b128 v[42:45], v33 offset:1056
	v_dual_fmac_f32 v32, v65, v34 :: v_dual_mul_f32 v46, v64, v37
	v_dual_fma_f32 v34, v64, v36, -v47 :: v_dual_add_f32 v22, v22, v35
	s_wait_dscnt 0x1
	s_delay_alu instid0(VALU_DEP_2) | instskip(NEXT) | instid1(VALU_DEP_2)
	v_dual_mul_f32 v35, v55, v39 :: v_dual_add_f32 v24, v24, v32
	v_dual_fmac_f32 v46, v65, v36 :: v_dual_add_f32 v8, v8, v34
	s_delay_alu instid0(VALU_DEP_2) | instskip(SKIP_3) | instid1(VALU_DEP_2)
	v_dual_mul_f32 v32, v54, v39 :: v_dual_fma_f32 v47, v54, v38, -v35
	ds_load_2addr_b64 v[34:37], v29 offset0:160 offset1:176
	v_dual_mul_f32 v48, v55, v41 :: v_dual_add_f32 v20, v20, v46
	v_dual_fmac_f32 v32, v55, v38 :: v_dual_add_f32 v30, v30, v47
	v_dual_mul_f32 v50, v54, v41 :: v_dual_fma_f32 v51, v54, v40, -v48
	ds_load_b128 v[46:49], v33 offset:1072
	v_add_f32_e32 v31, v31, v32
	s_wait_dscnt 0x2
	v_dual_mul_f32 v52, v43, v39 :: v_dual_mul_f32 v32, v42, v39
	v_dual_fmac_f32 v50, v55, v40 :: v_dual_add_f32 v26, v26, v51
	s_delay_alu instid0(VALU_DEP_2) | instskip(NEXT) | instid1(VALU_DEP_2)
	v_dual_fma_f32 v39, v42, v38, -v52 :: v_dual_mul_f32 v51, v43, v41
	v_add_f32_e32 v28, v28, v50
	s_delay_alu instid0(VALU_DEP_4) | instskip(NEXT) | instid1(VALU_DEP_3)
	v_dual_fmac_f32 v32, v43, v38 :: v_dual_mul_f32 v50, v42, v41
	v_add_f32_e32 v22, v22, v39
	s_wait_dscnt 0x1
	v_dual_fma_f32 v38, v42, v40, -v51 :: v_dual_mul_f32 v39, v57, v35
	s_delay_alu instid0(VALU_DEP_3) | instskip(SKIP_1) | instid1(VALU_DEP_3)
	v_add_f32_e32 v24, v24, v32
	v_dual_fmac_f32 v50, v43, v40 :: v_dual_mul_f32 v32, v56, v35
	v_dual_add_f32 v8, v8, v38 :: v_dual_mul_f32 v43, v57, v37
	s_delay_alu instid0(VALU_DEP_4) | instskip(SKIP_4) | instid1(VALU_DEP_3)
	v_fma_f32 v42, v56, v34, -v39
	ds_load_2addr_b64 v[38:41], v29 offset0:192 offset1:208
	v_fmac_f32_e32 v32, v57, v34
	v_add_f32_e32 v20, v20, v50
	v_dual_fma_f32 v43, v56, v36, -v43 :: v_dual_add_f32 v30, v30, v42
	v_dual_mul_f32 v42, v56, v37 :: v_dual_add_f32 v31, v31, v32
	v_dual_mul_f32 v32, v45, v35 :: v_dual_mul_f32 v35, v44, v35
	s_delay_alu instid0(VALU_DEP_3) | instskip(NEXT) | instid1(VALU_DEP_2)
	v_dual_add_f32 v26, v26, v43 :: v_dual_mul_f32 v43, v45, v37
	v_dual_fmac_f32 v42, v57, v36 :: v_dual_fma_f32 v32, v44, v34, -v32
	s_delay_alu instid0(VALU_DEP_3) | instskip(NEXT) | instid1(VALU_DEP_3)
	v_fmac_f32_e32 v35, v45, v34
	v_fma_f32 v34, v44, v36, -v43
	s_delay_alu instid0(VALU_DEP_3) | instskip(SKIP_1) | instid1(VALU_DEP_4)
	v_dual_add_f32 v28, v28, v42 :: v_dual_add_f32 v22, v22, v32
	v_mul_f32_e32 v42, v44, v37
	v_add_f32_e32 v24, v24, v35
	s_wait_dscnt 0x0
	v_dual_mul_f32 v32, v59, v39 :: v_dual_add_f32 v8, v8, v34
	s_delay_alu instid0(VALU_DEP_3) | instskip(SKIP_4) | instid1(VALU_DEP_3)
	v_dual_mul_f32 v43, v58, v39 :: v_dual_fmac_f32 v42, v45, v36
	ds_load_2addr_b64 v[34:37], v29 offset0:224 offset1:240
	v_dual_fma_f32 v32, v58, v38, -v32 :: v_dual_mul_f32 v44, v58, v41
	v_fmac_f32_e32 v43, v59, v38
	v_dual_add_f32 v20, v20, v42 :: v_dual_mul_f32 v42, v59, v41
	v_dual_add_f32 v30, v30, v32 :: v_dual_mul_f32 v32, v47, v39
	s_delay_alu instid0(VALU_DEP_3) | instskip(SKIP_1) | instid1(VALU_DEP_4)
	v_add_f32_e32 v31, v31, v43
	v_dual_fmac_f32 v44, v59, v40 :: v_dual_mul_f32 v39, v46, v39
	v_fma_f32 v42, v58, v40, -v42
	s_delay_alu instid0(VALU_DEP_4) | instskip(SKIP_1) | instid1(VALU_DEP_3)
	v_fma_f32 v32, v46, v38, -v32
	s_wait_dscnt 0x0
	v_add_f32_e32 v28, v28, v44
	s_barrier_signal -1
	v_dual_add_f32 v26, v26, v42 :: v_dual_mul_f32 v42, v47, v41
	v_dual_fmac_f32 v39, v47, v38 :: v_dual_add_f32 v22, v22, v32
	v_dual_mul_f32 v32, v46, v41 :: v_dual_mul_f32 v41, v61, v35
	s_delay_alu instid0(VALU_DEP_3) | instskip(NEXT) | instid1(VALU_DEP_2)
	v_dual_fma_f32 v38, v46, v40, -v42 :: v_dual_mul_f32 v42, v60, v35
	v_dual_add_f32 v24, v24, v39 :: v_dual_fmac_f32 v32, v47, v40
	s_delay_alu instid0(VALU_DEP_2) | instskip(NEXT) | instid1(VALU_DEP_3)
	v_dual_mul_f32 v39, v61, v37 :: v_dual_add_f32 v8, v8, v38
	v_dual_fma_f32 v38, v60, v34, -v41 :: v_dual_fmac_f32 v42, v61, v34
	v_mul_f32_e32 v40, v60, v37
	s_delay_alu instid0(VALU_DEP_4) | instskip(SKIP_1) | instid1(VALU_DEP_3)
	v_add_f32_e32 v20, v20, v32
	s_barrier_wait -1
	v_add_f32_e32 v30, v30, v38
	v_dual_add_f32 v32, v31, v42 :: v_dual_fma_f32 v31, v60, v36, -v39
	v_fmac_f32_e32 v40, v61, v36
	v_dual_mul_f32 v38, v49, v35 :: v_dual_mul_f32 v35, v48, v35
	v_dual_mul_f32 v39, v49, v37 :: v_dual_mul_f32 v37, v48, v37
	s_delay_alu instid0(VALU_DEP_2) | instskip(NEXT) | instid1(VALU_DEP_3)
	v_dual_add_f32 v26, v26, v31 :: v_dual_fma_f32 v31, v48, v34, -v38
	v_fmac_f32_e32 v35, v49, v34
	s_delay_alu instid0(VALU_DEP_3) | instskip(NEXT) | instid1(VALU_DEP_3)
	v_dual_fma_f32 v34, v48, v36, -v39 :: v_dual_fmac_f32 v37, v49, v36
	v_dual_add_f32 v28, v28, v40 :: v_dual_add_f32 v22, v22, v31
	s_delay_alu instid0(VALU_DEP_3) | instskip(NEXT) | instid1(VALU_DEP_3)
	v_add_f32_e32 v24, v24, v35
	v_add_f32_e32 v8, v8, v34
	s_delay_alu instid0(VALU_DEP_4)
	v_add_f32_e32 v20, v20, v37
	s_cbranch_scc0 .LBB381_13
.LBB381_9:                              ;   Parent Loop BB381_6 Depth=1
                                        ; =>  This Inner Loop Header: Depth=2
	v_dual_mov_b32 v34, 0 :: v_dual_add_nc_u32 v31, s27, v21
	v_mov_b32_e32 v35, 0
	s_delay_alu instid0(VALU_DEP_2) | instskip(SKIP_2) | instid1(SALU_CYCLE_1)
	v_cmp_gt_i32_e32 vcc_lo, s9, v31
	s_wait_xcnt 0x0
	s_and_b32 s29, s0, vcc_lo
	s_and_saveexec_b32 s28, s29
	s_cbranch_execz .LBB381_11
; %bb.10:                               ;   in Loop: Header=BB381_9 Depth=2
	flat_load_b64 v[34:35], v[16:17]
.LBB381_11:                             ;   in Loop: Header=BB381_9 Depth=2
	s_wait_xcnt 0x0
	s_or_b32 exec_lo, exec_lo, s28
	v_dual_mov_b32 v36, 0 :: v_dual_add_nc_u32 v31, s27, v23
	v_mov_b32_e32 v37, 0
	s_wait_loadcnt_dscnt 0x0
	ds_store_b64 v25, v[34:35]
	v_cmp_gt_i32_e32 vcc_lo, s9, v31
	s_and_b32 s29, vcc_lo, s1
	s_delay_alu instid0(SALU_CYCLE_1)
	s_and_saveexec_b32 s28, s29
	s_cbranch_execz .LBB381_8
; %bb.12:                               ;   in Loop: Header=BB381_9 Depth=2
	flat_load_b64 v[36:37], v[18:19]
	s_branch .LBB381_8
.LBB381_13:                             ;   in Loop: Header=BB381_6 Depth=1
	s_wait_loadcnt 0x0
	v_add_nc_u64_e32 v[14:15], s[12:13], v[14:15]
	s_delay_alu instid0(VALU_DEP_1)
	v_lshl_add_u64 v[16:17], v[2:3], 3, v[14:15]
	s_and_saveexec_b32 s27, s22
	s_cbranch_execz .LBB381_18
; %bb.14:                               ;   in Loop: Header=BB381_6 Depth=1
	v_mov_b64_e32 v[18:19], s[4:5]
	v_mov_b64_e32 v[34:35], s[10:11]
	s_and_b32 vcc_lo, exec_lo, s18
	s_mov_b32 s28, -1
	s_delay_alu instid0(VALU_DEP_2) | instskip(NEXT) | instid1(VALU_DEP_1)
	v_pk_mul_f32 v[18:19], v[32:33], v[18:19] op_sel_hi:[0,1]
	v_pk_fma_f32 v[36:37], v[30:31], v[34:35], v[18:19] op_sel_hi:[0,1,1]
	v_pk_fma_f32 v[18:19], v[30:31], v[34:35], v[18:19] neg_lo:[0,0,1] neg_hi:[0,0,1]
	v_lshl_add_u64 v[30:31], v[0:1], 3, v[16:17]
	s_delay_alu instid0(VALU_DEP_3)
	v_mov_b32_e32 v19, v37
	s_cbranch_vccz .LBB381_16
; %bb.15:                               ;   in Loop: Header=BB381_6 Depth=1
	flat_load_b64 v[34:35], v[30:31]
	v_mov_b64_e32 v[36:37], s[6:7]
	v_mov_b64_e32 v[38:39], s[2:3]
	s_mov_b32 s28, 0
	s_wait_loadcnt_dscnt 0x0
	s_delay_alu instid0(VALU_DEP_2) | instskip(NEXT) | instid1(VALU_DEP_1)
	v_pk_mul_f32 v[36:37], v[34:35], v[36:37]
	v_pk_fma_f32 v[40:41], v[34:35], v[38:39], v[36:37] op_sel:[0,0,1] op_sel_hi:[1,1,0]
	v_pk_fma_f32 v[34:35], v[34:35], v[38:39], v[36:37] op_sel:[0,0,1] op_sel_hi:[1,1,0] neg_lo:[0,0,1] neg_hi:[0,0,1]
	s_delay_alu instid0(VALU_DEP_2) | instskip(NEXT) | instid1(VALU_DEP_1)
	v_mov_b32_e32 v35, v41
	v_pk_add_f32 v[34:35], v[18:19], v[34:35]
	flat_store_b64 v[30:31], v[34:35]
.LBB381_16:                             ;   in Loop: Header=BB381_6 Depth=1
	s_and_not1_b32 vcc_lo, exec_lo, s28
	s_cbranch_vccnz .LBB381_18
; %bb.17:                               ;   in Loop: Header=BB381_6 Depth=1
	flat_store_b64 v[30:31], v[18:19]
.LBB381_18:                             ;   in Loop: Header=BB381_6 Depth=1
	s_wait_xcnt 0x0
	s_or_b32 exec_lo, exec_lo, s27
	s_and_saveexec_b32 s27, s8
	s_cbranch_execz .LBB381_23
; %bb.19:                               ;   in Loop: Header=BB381_6 Depth=1
	v_mov_b64_e32 v[18:19], s[4:5]
	v_mov_b64_e32 v[30:31], s[10:11]
	v_lshl_add_u64 v[16:17], v[4:5], 3, v[16:17]
	s_and_not1_b32 vcc_lo, exec_lo, s18
	s_mov_b32 s28, -1
	s_delay_alu instid0(VALU_DEP_3) | instskip(NEXT) | instid1(VALU_DEP_1)
	v_pk_mul_f32 v[18:19], v[28:29], v[18:19] op_sel_hi:[0,1]
	v_pk_fma_f32 v[34:35], v[26:27], v[30:31], v[18:19] op_sel_hi:[0,1,1]
	v_pk_fma_f32 v[18:19], v[26:27], v[30:31], v[18:19] neg_lo:[0,0,1] neg_hi:[0,0,1]
	s_delay_alu instid0(VALU_DEP_2)
	v_mov_b32_e32 v19, v35
	s_cbranch_vccnz .LBB381_21
; %bb.20:                               ;   in Loop: Header=BB381_6 Depth=1
	flat_load_b64 v[30:31], v[16:17]
	v_mov_b64_e32 v[34:35], s[6:7]
	v_mov_b64_e32 v[36:37], s[2:3]
	s_mov_b32 s28, 0
	s_wait_loadcnt_dscnt 0x0
	s_delay_alu instid0(VALU_DEP_2) | instskip(NEXT) | instid1(VALU_DEP_1)
	v_pk_mul_f32 v[34:35], v[30:31], v[34:35]
	v_pk_fma_f32 v[38:39], v[30:31], v[36:37], v[34:35] op_sel:[0,0,1] op_sel_hi:[1,1,0]
	v_pk_fma_f32 v[30:31], v[30:31], v[36:37], v[34:35] op_sel:[0,0,1] op_sel_hi:[1,1,0] neg_lo:[0,0,1] neg_hi:[0,0,1]
	s_delay_alu instid0(VALU_DEP_2) | instskip(NEXT) | instid1(VALU_DEP_1)
	v_mov_b32_e32 v31, v39
	v_pk_add_f32 v[30:31], v[18:19], v[30:31]
	flat_store_b64 v[16:17], v[30:31]
.LBB381_21:                             ;   in Loop: Header=BB381_6 Depth=1
	s_and_not1_b32 vcc_lo, exec_lo, s28
	s_cbranch_vccnz .LBB381_23
; %bb.22:                               ;   in Loop: Header=BB381_6 Depth=1
	flat_store_b64 v[16:17], v[18:19]
.LBB381_23:                             ;   in Loop: Header=BB381_6 Depth=1
	s_wait_xcnt 0x0
	s_or_b32 exec_lo, exec_lo, s27
	v_lshl_add_u64 v[14:15], v[6:7], 3, v[14:15]
	s_and_saveexec_b32 s27, s23
	s_cbranch_execz .LBB381_28
; %bb.24:                               ;   in Loop: Header=BB381_6 Depth=1
	v_mov_b64_e32 v[16:17], s[4:5]
	v_mov_b64_e32 v[18:19], s[10:11]
	s_and_not1_b32 vcc_lo, exec_lo, s18
	s_mov_b32 s28, -1
	s_delay_alu instid0(VALU_DEP_2) | instskip(NEXT) | instid1(VALU_DEP_1)
	v_pk_mul_f32 v[16:17], v[24:25], v[16:17] op_sel_hi:[0,1]
	v_pk_fma_f32 v[30:31], v[22:23], v[18:19], v[16:17] op_sel_hi:[0,1,1]
	v_pk_fma_f32 v[16:17], v[22:23], v[18:19], v[16:17] neg_lo:[0,0,1] neg_hi:[0,0,1]
	v_lshl_add_u64 v[18:19], v[0:1], 3, v[14:15]
	s_delay_alu instid0(VALU_DEP_3)
	v_mov_b32_e32 v17, v31
	s_cbranch_vccnz .LBB381_26
; %bb.25:                               ;   in Loop: Header=BB381_6 Depth=1
	flat_load_b64 v[30:31], v[18:19]
	v_mov_b64_e32 v[34:35], s[6:7]
	v_mov_b64_e32 v[36:37], s[2:3]
	s_mov_b32 s28, 0
	s_wait_loadcnt_dscnt 0x0
	s_delay_alu instid0(VALU_DEP_2) | instskip(NEXT) | instid1(VALU_DEP_1)
	v_pk_mul_f32 v[34:35], v[30:31], v[34:35]
	v_pk_fma_f32 v[38:39], v[30:31], v[36:37], v[34:35] op_sel:[0,0,1] op_sel_hi:[1,1,0]
	v_pk_fma_f32 v[30:31], v[30:31], v[36:37], v[34:35] op_sel:[0,0,1] op_sel_hi:[1,1,0] neg_lo:[0,0,1] neg_hi:[0,0,1]
	s_delay_alu instid0(VALU_DEP_2) | instskip(NEXT) | instid1(VALU_DEP_1)
	v_mov_b32_e32 v31, v39
	v_pk_add_f32 v[30:31], v[16:17], v[30:31]
	flat_store_b64 v[18:19], v[30:31]
.LBB381_26:                             ;   in Loop: Header=BB381_6 Depth=1
	s_and_not1_b32 vcc_lo, exec_lo, s28
	s_cbranch_vccnz .LBB381_28
; %bb.27:                               ;   in Loop: Header=BB381_6 Depth=1
	flat_store_b64 v[18:19], v[16:17]
.LBB381_28:                             ;   in Loop: Header=BB381_6 Depth=1
	s_wait_xcnt 0x0
	s_or_b32 exec_lo, exec_lo, s27
	s_and_saveexec_b32 s27, s30
	s_cbranch_execz .LBB381_5
; %bb.29:                               ;   in Loop: Header=BB381_6 Depth=1
	v_mov_b64_e32 v[16:17], s[4:5]
	v_mov_b64_e32 v[18:19], s[10:11]
	v_lshl_add_u64 v[14:15], v[4:5], 3, v[14:15]
	s_and_not1_b32 vcc_lo, exec_lo, s18
	s_mov_b32 s28, -1
	s_delay_alu instid0(VALU_DEP_3) | instskip(NEXT) | instid1(VALU_DEP_1)
	v_pk_mul_f32 v[16:17], v[20:21], v[16:17] op_sel_hi:[0,1]
	v_pk_fma_f32 v[30:31], v[8:9], v[18:19], v[16:17] op_sel_hi:[0,1,1]
	v_pk_fma_f32 v[16:17], v[8:9], v[18:19], v[16:17] neg_lo:[0,0,1] neg_hi:[0,0,1]
	s_delay_alu instid0(VALU_DEP_2)
	v_mov_b32_e32 v17, v31
	s_cbranch_vccnz .LBB381_31
; %bb.30:                               ;   in Loop: Header=BB381_6 Depth=1
	flat_load_b64 v[18:19], v[14:15]
	v_mov_b64_e32 v[30:31], s[6:7]
	v_mov_b64_e32 v[34:35], s[2:3]
	s_mov_b32 s28, 0
	s_wait_loadcnt_dscnt 0x0
	s_delay_alu instid0(VALU_DEP_2) | instskip(NEXT) | instid1(VALU_DEP_1)
	v_pk_mul_f32 v[30:31], v[18:19], v[30:31]
	v_pk_fma_f32 v[36:37], v[18:19], v[34:35], v[30:31] op_sel:[0,0,1] op_sel_hi:[1,1,0]
	v_pk_fma_f32 v[18:19], v[18:19], v[34:35], v[30:31] op_sel:[0,0,1] op_sel_hi:[1,1,0] neg_lo:[0,0,1] neg_hi:[0,0,1]
	s_delay_alu instid0(VALU_DEP_2) | instskip(NEXT) | instid1(VALU_DEP_1)
	v_mov_b32_e32 v19, v37
	v_pk_add_f32 v[18:19], v[16:17], v[18:19]
	flat_store_b64 v[14:15], v[18:19]
.LBB381_31:                             ;   in Loop: Header=BB381_6 Depth=1
	s_and_not1_b32 vcc_lo, exec_lo, s28
	s_cbranch_vccnz .LBB381_5
; %bb.32:                               ;   in Loop: Header=BB381_6 Depth=1
	flat_store_b64 v[14:15], v[16:17]
	s_branch .LBB381_5
.LBB381_33:
	s_sendmsg sendmsg(MSG_DEALLOC_VGPRS)
	s_endpgm
	.section	.rodata,"a",@progbits
	.p2align	6, 0x0
	.amdhsa_kernel _ZL29rocblas_internal_gemmt_kernelIiLi16ELi32ELi8ELc84ELc78ELc85ELb0ELb0E19rocblas_complex_numIfES1_PKPKS1_PKPS1_EviT_T9_T10_S9_lSB_S9_lSA_T11_S9_li
		.amdhsa_group_segment_fixed_size 4096
		.amdhsa_private_segment_fixed_size 0
		.amdhsa_kernarg_size 100
		.amdhsa_user_sgpr_count 2
		.amdhsa_user_sgpr_dispatch_ptr 0
		.amdhsa_user_sgpr_queue_ptr 0
		.amdhsa_user_sgpr_kernarg_segment_ptr 1
		.amdhsa_user_sgpr_dispatch_id 0
		.amdhsa_user_sgpr_kernarg_preload_length 0
		.amdhsa_user_sgpr_kernarg_preload_offset 0
		.amdhsa_user_sgpr_private_segment_size 0
		.amdhsa_wavefront_size32 1
		.amdhsa_uses_dynamic_stack 0
		.amdhsa_enable_private_segment 0
		.amdhsa_system_sgpr_workgroup_id_x 1
		.amdhsa_system_sgpr_workgroup_id_y 1
		.amdhsa_system_sgpr_workgroup_id_z 1
		.amdhsa_system_sgpr_workgroup_info 0
		.amdhsa_system_vgpr_workitem_id 1
		.amdhsa_next_free_vgpr 72
		.amdhsa_next_free_sgpr 36
		.amdhsa_named_barrier_count 0
		.amdhsa_reserve_vcc 1
		.amdhsa_float_round_mode_32 0
		.amdhsa_float_round_mode_16_64 0
		.amdhsa_float_denorm_mode_32 3
		.amdhsa_float_denorm_mode_16_64 3
		.amdhsa_fp16_overflow 0
		.amdhsa_memory_ordered 1
		.amdhsa_forward_progress 1
		.amdhsa_inst_pref_size 26
		.amdhsa_round_robin_scheduling 0
		.amdhsa_exception_fp_ieee_invalid_op 0
		.amdhsa_exception_fp_denorm_src 0
		.amdhsa_exception_fp_ieee_div_zero 0
		.amdhsa_exception_fp_ieee_overflow 0
		.amdhsa_exception_fp_ieee_underflow 0
		.amdhsa_exception_fp_ieee_inexact 0
		.amdhsa_exception_int_div_zero 0
	.end_amdhsa_kernel
	.section	.text._ZL29rocblas_internal_gemmt_kernelIiLi16ELi32ELi8ELc84ELc78ELc85ELb0ELb0E19rocblas_complex_numIfES1_PKPKS1_PKPS1_EviT_T9_T10_S9_lSB_S9_lSA_T11_S9_li,"axG",@progbits,_ZL29rocblas_internal_gemmt_kernelIiLi16ELi32ELi8ELc84ELc78ELc85ELb0ELb0E19rocblas_complex_numIfES1_PKPKS1_PKPS1_EviT_T9_T10_S9_lSB_S9_lSA_T11_S9_li,comdat
.Lfunc_end381:
	.size	_ZL29rocblas_internal_gemmt_kernelIiLi16ELi32ELi8ELc84ELc78ELc85ELb0ELb0E19rocblas_complex_numIfES1_PKPKS1_PKPS1_EviT_T9_T10_S9_lSB_S9_lSA_T11_S9_li, .Lfunc_end381-_ZL29rocblas_internal_gemmt_kernelIiLi16ELi32ELi8ELc84ELc78ELc85ELb0ELb0E19rocblas_complex_numIfES1_PKPKS1_PKPS1_EviT_T9_T10_S9_lSB_S9_lSA_T11_S9_li
                                        ; -- End function
	.set _ZL29rocblas_internal_gemmt_kernelIiLi16ELi32ELi8ELc84ELc78ELc85ELb0ELb0E19rocblas_complex_numIfES1_PKPKS1_PKPS1_EviT_T9_T10_S9_lSB_S9_lSA_T11_S9_li.num_vgpr, 72
	.set _ZL29rocblas_internal_gemmt_kernelIiLi16ELi32ELi8ELc84ELc78ELc85ELb0ELb0E19rocblas_complex_numIfES1_PKPKS1_PKPS1_EviT_T9_T10_S9_lSB_S9_lSA_T11_S9_li.num_agpr, 0
	.set _ZL29rocblas_internal_gemmt_kernelIiLi16ELi32ELi8ELc84ELc78ELc85ELb0ELb0E19rocblas_complex_numIfES1_PKPKS1_PKPS1_EviT_T9_T10_S9_lSB_S9_lSA_T11_S9_li.numbered_sgpr, 36
	.set _ZL29rocblas_internal_gemmt_kernelIiLi16ELi32ELi8ELc84ELc78ELc85ELb0ELb0E19rocblas_complex_numIfES1_PKPKS1_PKPS1_EviT_T9_T10_S9_lSB_S9_lSA_T11_S9_li.num_named_barrier, 0
	.set _ZL29rocblas_internal_gemmt_kernelIiLi16ELi32ELi8ELc84ELc78ELc85ELb0ELb0E19rocblas_complex_numIfES1_PKPKS1_PKPS1_EviT_T9_T10_S9_lSB_S9_lSA_T11_S9_li.private_seg_size, 0
	.set _ZL29rocblas_internal_gemmt_kernelIiLi16ELi32ELi8ELc84ELc78ELc85ELb0ELb0E19rocblas_complex_numIfES1_PKPKS1_PKPS1_EviT_T9_T10_S9_lSB_S9_lSA_T11_S9_li.uses_vcc, 1
	.set _ZL29rocblas_internal_gemmt_kernelIiLi16ELi32ELi8ELc84ELc78ELc85ELb0ELb0E19rocblas_complex_numIfES1_PKPKS1_PKPS1_EviT_T9_T10_S9_lSB_S9_lSA_T11_S9_li.uses_flat_scratch, 0
	.set _ZL29rocblas_internal_gemmt_kernelIiLi16ELi32ELi8ELc84ELc78ELc85ELb0ELb0E19rocblas_complex_numIfES1_PKPKS1_PKPS1_EviT_T9_T10_S9_lSB_S9_lSA_T11_S9_li.has_dyn_sized_stack, 0
	.set _ZL29rocblas_internal_gemmt_kernelIiLi16ELi32ELi8ELc84ELc78ELc85ELb0ELb0E19rocblas_complex_numIfES1_PKPKS1_PKPS1_EviT_T9_T10_S9_lSB_S9_lSA_T11_S9_li.has_recursion, 0
	.set _ZL29rocblas_internal_gemmt_kernelIiLi16ELi32ELi8ELc84ELc78ELc85ELb0ELb0E19rocblas_complex_numIfES1_PKPKS1_PKPS1_EviT_T9_T10_S9_lSB_S9_lSA_T11_S9_li.has_indirect_call, 0
	.section	.AMDGPU.csdata,"",@progbits
; Kernel info:
; codeLenInByte = 3220
; TotalNumSgprs: 38
; NumVgprs: 72
; ScratchSize: 0
; MemoryBound: 0
; FloatMode: 240
; IeeeMode: 1
; LDSByteSize: 4096 bytes/workgroup (compile time only)
; SGPRBlocks: 0
; VGPRBlocks: 4
; NumSGPRsForWavesPerEU: 38
; NumVGPRsForWavesPerEU: 72
; NamedBarCnt: 0
; Occupancy: 12
; WaveLimiterHint : 1
; COMPUTE_PGM_RSRC2:SCRATCH_EN: 0
; COMPUTE_PGM_RSRC2:USER_SGPR: 2
; COMPUTE_PGM_RSRC2:TRAP_HANDLER: 0
; COMPUTE_PGM_RSRC2:TGID_X_EN: 1
; COMPUTE_PGM_RSRC2:TGID_Y_EN: 1
; COMPUTE_PGM_RSRC2:TGID_Z_EN: 1
; COMPUTE_PGM_RSRC2:TIDIG_COMP_CNT: 1
	.section	.text._ZL29rocblas_internal_gemmt_kernelIiLi16ELi32ELi8ELc84ELc84ELc85ELb0ELb0E19rocblas_complex_numIfES1_PKPKS1_PKPS1_EviT_T9_T10_S9_lSB_S9_lSA_T11_S9_li,"axG",@progbits,_ZL29rocblas_internal_gemmt_kernelIiLi16ELi32ELi8ELc84ELc84ELc85ELb0ELb0E19rocblas_complex_numIfES1_PKPKS1_PKPS1_EviT_T9_T10_S9_lSB_S9_lSA_T11_S9_li,comdat
	.globl	_ZL29rocblas_internal_gemmt_kernelIiLi16ELi32ELi8ELc84ELc84ELc85ELb0ELb0E19rocblas_complex_numIfES1_PKPKS1_PKPS1_EviT_T9_T10_S9_lSB_S9_lSA_T11_S9_li ; -- Begin function _ZL29rocblas_internal_gemmt_kernelIiLi16ELi32ELi8ELc84ELc84ELc85ELb0ELb0E19rocblas_complex_numIfES1_PKPKS1_PKPS1_EviT_T9_T10_S9_lSB_S9_lSA_T11_S9_li
	.p2align	8
	.type	_ZL29rocblas_internal_gemmt_kernelIiLi16ELi32ELi8ELc84ELc84ELc85ELb0ELb0E19rocblas_complex_numIfES1_PKPKS1_PKPS1_EviT_T9_T10_S9_lSB_S9_lSA_T11_S9_li,@function
_ZL29rocblas_internal_gemmt_kernelIiLi16ELi32ELi8ELc84ELc84ELc85ELb0ELb0E19rocblas_complex_numIfES1_PKPKS1_PKPS1_EviT_T9_T10_S9_lSB_S9_lSA_T11_S9_li: ; @_ZL29rocblas_internal_gemmt_kernelIiLi16ELi32ELi8ELc84ELc84ELc85ELb0ELb0E19rocblas_complex_numIfES1_PKPKS1_PKPS1_EviT_T9_T10_S9_lSB_S9_lSA_T11_S9_li
; %bb.0:
	s_clause 0x1
	s_load_b64 s[6:7], s[0:1], 0x40
	s_load_b128 s[8:11], s[0:1], 0x0
	s_wait_kmcnt 0x0
	s_cmp_neq_f32 s6, 1.0
	s_cselect_b32 s2, -1, 0
	s_and_b32 s4, s7, 0x7fffffff
	s_delay_alu instid0(SALU_CYCLE_1) | instskip(SKIP_3) | instid1(SALU_CYCLE_1)
	s_cmp_eq_u32 s4, 0
	s_cselect_b32 s3, -1, 0
	s_cmp_lg_u32 s4, 0
	s_cselect_b32 s4, -1, 0
	s_or_b32 s2, s2, s4
	s_delay_alu instid0(SALU_CYCLE_1)
	s_and_b32 vcc_lo, exec_lo, s2
	s_cbranch_vccnz .LBB382_2
; %bb.1:
	s_cmp_lg_u32 s9, 0
	s_cselect_b32 s2, -1, 0
	s_cmp_neq_f32 s10, 0
	s_cselect_b32 s4, -1, 0
	s_cmp_neq_f32 s11, 0
	s_cselect_b32 s5, -1, 0
	s_delay_alu instid0(SALU_CYCLE_1) | instskip(NEXT) | instid1(SALU_CYCLE_1)
	s_or_b32 s4, s4, s5
	s_and_b32 s2, s2, s4
.LBB382_2:
	s_delay_alu instid0(SALU_CYCLE_1)
	s_and_not1_b32 vcc_lo, exec_lo, s2
	s_cbranch_vccnz .LBB382_33
; %bb.3:
	s_load_b32 s23, s[0:1], 0x60
	s_bfe_u32 s2, ttmp6, 0x40014
	s_lshr_b32 s4, ttmp7, 16
	s_add_co_i32 s2, s2, 1
	s_bfe_u32 s12, ttmp6, 0x40008
	s_mul_i32 s5, s4, s2
	s_getreg_b32 s2, hwreg(HW_REG_IB_STS2, 6, 4)
	s_add_co_i32 s12, s12, s5
	s_cmp_eq_u32 s2, 0
	s_mov_b32 s25, 0
	s_cselect_b32 s24, s4, s12
	s_wait_kmcnt 0x0
	s_cmp_ge_u32 s24, s23
	s_cbranch_scc1 .LBB382_33
; %bb.4:
	s_clause 0x2
	s_load_b96 s[16:18], s[0:1], 0x10
	s_load_b32 s26, s[0:1], 0x30
	s_load_b96 s[20:22], s[0:1], 0x48
	v_and_b32_e32 v2, 0x3ff, v0
	v_bfe_u32 v11, v0, 10, 10
	s_clause 0x2
	s_load_b128 s[12:15], s[0:1], 0x20
	s_load_b64 s[28:29], s[0:1], 0x38
	s_load_b64 s[30:31], s[0:1], 0x58
	s_wait_xcnt 0x0
	s_bfe_u32 s1, ttmp6, 0x4000c
	s_bfe_u32 s5, ttmp6, 0x40010
	s_and_b32 s4, ttmp7, 0xffff
	s_add_co_i32 s1, s1, 1
	s_add_co_i32 s5, s5, 1
	v_lshl_add_u32 v1, v11, 4, v2
	s_and_b32 s0, ttmp6, 15
	s_bfe_u32 s33, ttmp6, 0x40004
	s_mul_i32 s1, ttmp9, s1
	s_mul_i32 s34, s4, s5
	s_add_co_i32 s0, s0, s1
	s_add_co_i32 s33, s33, s34
	v_dual_lshrrev_b32 v23, 5, v1 :: v_dual_bitop2_b32 v3, 31, v1 bitop3:0x40
	v_and_b32_e32 v0, 7, v0
	s_wait_kmcnt 0x0
	s_ashr_i32 s19, s18, 31
	s_ashr_i32 s27, s26, 31
	;; [unrolled: 1-line block ×3, first 2 shown]
	s_cmp_eq_u32 s2, 0
	v_lshrrev_b32_e32 v1, 3, v1
	s_cselect_b32 s0, ttmp9, s0
	s_cselect_b32 s1, s4, s33
	s_lshl_b32 s2, s0, 5
	s_lshl_b32 s1, s1, 5
	s_delay_alu instid0(SALU_CYCLE_1) | instskip(SKIP_1) | instid1(VALU_DEP_2)
	v_dual_add_nc_u32 v14, s1, v1 :: v_dual_bitop2_b32 v4, s2, v3 bitop3:0x54
	v_dual_lshlrev_b32 v6, 3, v3 :: v_dual_lshlrev_b32 v7, 3, v0
	v_dual_mov_b32 v3, 0 :: v_dual_ashrrev_i32 v5, 31, v4
	s_cmp_neq_f32 s10, 0
	s_delay_alu instid0(VALU_DEP_2) | instskip(NEXT) | instid1(VALU_DEP_3)
	v_lshl_or_b32 v25, v23, 8, v6
	v_lshl_or_b32 v6, v1, 6, v7
	s_delay_alu instid0(VALU_DEP_3) | instskip(SKIP_3) | instid1(VALU_DEP_2)
	v_dual_mov_b32 v1, v3 :: v_dual_add_nc_u32 v12, s1, v11
	v_mul_u64_e32 v[16:17], s[18:19], v[4:5]
	s_cselect_b32 s0, -1, 0
	s_cmp_neq_f32 s11, 0
	v_mul_u64_e32 v[18:19], s[26:27], v[0:1]
	v_dual_ashrrev_i32 v15, 31, v14 :: v_dual_add_nc_u32 v20, 16, v12
	s_mov_b32 s4, s22
	s_cselect_b32 s22, -1, 0
	v_dual_lshlrev_b32 v1, 3, v2 :: v_dual_ashrrev_i32 v13, 31, v12
	s_or_b32 s36, s0, s22
	v_cmp_gt_i32_e64 s0, s8, v4
	v_dual_add_nc_u32 v4, s2, v2 :: v_dual_ashrrev_i32 v21, 31, v20
	v_add_nc_u32_e32 v27, 0x800, v6
	v_mul_u64_e32 v[6:7], s[4:5], v[12:13]
	s_cmp_gt_i32 s9, 0
	s_delay_alu instid0(VALU_DEP_3)
	v_dual_add_nc_u32 v10, 16, v4 :: v_dual_ashrrev_i32 v5, 31, v4
	v_mul_u64_e32 v[8:9], s[4:5], v[20:21]
	s_cselect_b32 s37, -1, 0
	s_cmp_neq_f32 s6, 0
	v_cmp_le_i32_e64 s4, v4, v20
	v_cmp_le_i32_e64 s5, v10, v20
	v_cmp_gt_i32_e32 vcc_lo, s8, v12
	s_cselect_b32 s18, -1, 0
	s_xor_b32 s3, s3, -1
	v_cmp_le_i32_e64 s2, v4, v12
	s_or_b32 s22, s18, s3
	v_cmp_gt_i32_e64 s3, s8, v20
	v_lshl_add_u32 v29, v11, 6, 0x800
	v_dual_ashrrev_i32 v11, 31, v10 :: v_dual_lshlrev_b32 v2, 3, v23
	s_and_b32 s33, vcc_lo, s2
	s_and_b32 s34, s3, s4
	s_and_b32 s35, s3, s5
	s_lshl_b64 s[4:5], s[12:13], 3
	v_cmp_le_i32_e64 s2, v10, v12
	v_lshl_add_u64 v[12:13], v[16:17], 3, s[4:5]
	s_lshl_b64 s[4:5], s[28:29], 3
	v_cmp_gt_i32_e64 s1, s8, v14
	v_lshl_add_u64 v[16:17], v[18:19], 3, s[4:5]
	s_and_b32 s8, vcc_lo, s2
	v_add_nc_u64_e32 v[12:13], v[12:13], v[2:3]
	s_mov_b32 s2, s6
	s_mov_b32 s3, s6
	v_lshl_add_u64 v[14:15], v[14:15], 3, v[16:17]
	s_mov_b32 s6, s7
	s_mov_b32 s4, s11
	s_and_b32 s28, s36, s37
	s_mov_b32 s5, s10
	s_lshl_b64 s[12:13], s[26:27], 6
	s_lshl_b64 s[18:19], s[30:31], 3
	s_branch .LBB382_6
.LBB382_5:                              ;   in Loop: Header=BB382_6 Depth=1
	s_wait_xcnt 0x0
	s_or_b32 exec_lo, exec_lo, s26
	s_add_co_i32 s24, s24, 0x10000
	s_delay_alu instid0(SALU_CYCLE_1)
	s_cmp_lt_u32 s24, s23
	s_cbranch_scc0 .LBB382_33
.LBB382_6:                              ; =>This Loop Header: Depth=1
                                        ;     Child Loop BB382_9 Depth 2
	v_dual_mov_b32 v2, s24 :: v_dual_mov_b32 v32, 0
	v_dual_mov_b32 v34, 0 :: v_dual_mov_b32 v28, 0
	;; [unrolled: 1-line block ×3, first 2 shown]
	global_load_b64 v[16:17], v2, s[20:21] scale_offset
	s_wait_xcnt 0x0
	v_dual_mov_b32 v26, 0 :: v_dual_mov_b32 v2, 0
	v_mov_b32_e32 v22, 0
	s_and_not1_b32 vcc_lo, exec_lo, s28
	s_cbranch_vccnz .LBB382_13
; %bb.7:                                ;   in Loop: Header=BB382_6 Depth=1
	s_lshl_b64 s[26:27], s[24:25], 3
	v_dual_mov_b32 v22, 0 :: v_dual_mov_b32 v2, 0
	s_add_nc_u64 s[30:31], s[16:17], s[26:27]
	s_add_nc_u64 s[26:27], s[14:15], s[26:27]
	s_clause 0x1
	global_load_b64 v[18:19], v3, s[30:31]
	global_load_b64 v[20:21], v3, s[26:27]
	v_dual_mov_b32 v26, 0 :: v_dual_mov_b32 v24, 0
	v_dual_mov_b32 v30, 0 :: v_dual_mov_b32 v28, 0
	;; [unrolled: 1-line block ×3, first 2 shown]
	s_wait_xcnt 0x0
	s_mov_b32 s26, 0
	s_wait_loadcnt 0x1
	v_add_nc_u64_e32 v[18:19], v[18:19], v[12:13]
	s_wait_loadcnt 0x0
	v_add_nc_u64_e32 v[20:21], v[20:21], v[14:15]
	s_branch .LBB382_9
.LBB382_8:                              ;   in Loop: Header=BB382_9 Depth=2
	s_wait_xcnt 0x0
	s_or_b32 exec_lo, exec_lo, s27
	s_wait_loadcnt_dscnt 0x0
	ds_store_b64 v27, v[38:39]
	s_wait_dscnt 0x0
	s_barrier_signal -1
	s_barrier_wait -1
	ds_load_b128 v[36:39], v29
	ds_load_2addr_b64 v[40:43], v1 offset1:16
	ds_load_b128 v[44:47], v29 offset:1024
	ds_load_b128 v[48:51], v29 offset:16
	ds_load_2addr_b64 v[52:55], v1 offset0:32 offset1:48
	ds_load_b128 v[56:59], v29 offset:32
	ds_load_b128 v[60:63], v29 offset:48
	;; [unrolled: 1-line block ×3, first 2 shown]
	v_add_nc_u64_e32 v[18:19], 64, v[18:19]
	v_add_nc_u64_e32 v[20:21], s[12:13], v[20:21]
	s_add_co_i32 s26, s26, 8
	s_delay_alu instid0(SALU_CYCLE_1)
	s_cmp_lt_i32 s26, s9
	s_wait_dscnt 0x6
	v_dual_mul_f32 v31, v37, v41 :: v_dual_mul_f32 v33, v36, v41
	v_dual_mul_f32 v35, v37, v43 :: v_dual_mul_f32 v68, v36, v43
	s_wait_dscnt 0x5
	v_dual_mul_f32 v69, v45, v41 :: v_dual_mul_f32 v41, v44, v41
	v_dual_mul_f32 v70, v45, v43 :: v_dual_mul_f32 v43, v44, v43
	v_dual_fma_f32 v31, v36, v40, -v31 :: v_dual_fmac_f32 v33, v37, v40
	v_dual_fma_f32 v35, v36, v42, -v35 :: v_dual_fmac_f32 v68, v37, v42
	s_delay_alu instid0(VALU_DEP_3) | instskip(NEXT) | instid1(VALU_DEP_3)
	v_dual_fma_f32 v36, v44, v40, -v69 :: v_dual_fma_f32 v37, v44, v42, -v70
	v_dual_fmac_f32 v41, v45, v40 :: v_dual_add_f32 v40, v32, v31
	s_delay_alu instid0(VALU_DEP_3) | instskip(NEXT) | instid1(VALU_DEP_4)
	v_dual_add_f32 v34, v34, v33 :: v_dual_add_f32 v28, v28, v35
	v_add_f32_e32 v35, v30, v68
	s_delay_alu instid0(VALU_DEP_3)
	v_dual_add_f32 v24, v24, v36 :: v_dual_add_f32 v26, v26, v41
	s_wait_dscnt 0x3
	v_mul_f32_e32 v36, v39, v53
	ds_load_2addr_b64 v[30:33], v1 offset0:64 offset1:80
	v_dual_fmac_f32 v43, v45, v42 :: v_dual_add_f32 v2, v2, v37
	v_dual_mul_f32 v37, v38, v53 :: v_dual_fma_f32 v36, v38, v52, -v36
	v_mul_f32_e32 v41, v39, v55
	s_delay_alu instid0(VALU_DEP_2) | instskip(NEXT) | instid1(VALU_DEP_3)
	v_dual_add_f32 v22, v22, v43 :: v_dual_fmac_f32 v37, v39, v52
	v_dual_mul_f32 v42, v38, v55 :: v_dual_add_f32 v40, v40, v36
	s_delay_alu instid0(VALU_DEP_3) | instskip(NEXT) | instid1(VALU_DEP_2)
	v_dual_fma_f32 v36, v38, v54, -v41 :: v_dual_mul_f32 v38, v47, v53
	v_dual_add_f32 v41, v34, v37 :: v_dual_fmac_f32 v42, v39, v54
	s_delay_alu instid0(VALU_DEP_2) | instskip(NEXT) | instid1(VALU_DEP_3)
	v_dual_mul_f32 v34, v46, v53 :: v_dual_add_f32 v28, v28, v36
	v_dual_mul_f32 v37, v47, v55 :: v_dual_fma_f32 v36, v46, v52, -v38
	s_delay_alu instid0(VALU_DEP_3) | instskip(NEXT) | instid1(VALU_DEP_3)
	v_add_f32_e32 v38, v35, v42
	v_dual_fmac_f32 v34, v47, v52 :: v_dual_mul_f32 v39, v46, v55
	s_delay_alu instid0(VALU_DEP_3) | instskip(SKIP_1) | instid1(VALU_DEP_2)
	v_dual_fma_f32 v35, v46, v54, -v37 :: v_dual_add_f32 v24, v24, v36
	s_wait_dscnt 0x0
	v_dual_mul_f32 v36, v49, v31 :: v_dual_add_f32 v26, v26, v34
	s_delay_alu instid0(VALU_DEP_3) | instskip(NEXT) | instid1(VALU_DEP_2)
	v_dual_fmac_f32 v39, v47, v54 :: v_dual_mul_f32 v42, v48, v31
	v_dual_add_f32 v2, v2, v35 :: v_dual_fma_f32 v43, v48, v30, -v36
	v_mul_f32_e32 v44, v49, v33
	ds_load_2addr_b64 v[34:37], v1 offset0:96 offset1:112
	v_dual_fmac_f32 v42, v49, v30 :: v_dual_add_f32 v22, v22, v39
	v_add_f32_e32 v39, v40, v43
	v_dual_fma_f32 v43, v48, v32, -v44 :: v_dual_mul_f32 v40, v48, v33
	s_delay_alu instid0(VALU_DEP_3) | instskip(SKIP_1) | instid1(VALU_DEP_3)
	v_add_f32_e32 v41, v41, v42
	v_dual_mul_f32 v42, v65, v31 :: v_dual_mul_f32 v31, v64, v31
	v_dual_add_f32 v28, v28, v43 :: v_dual_mul_f32 v43, v65, v33
	s_delay_alu instid0(VALU_DEP_2) | instskip(NEXT) | instid1(VALU_DEP_3)
	v_dual_fmac_f32 v40, v49, v32 :: v_dual_fma_f32 v42, v64, v30, -v42
	v_dual_fmac_f32 v31, v65, v30 :: v_dual_mul_f32 v44, v64, v33
	s_delay_alu instid0(VALU_DEP_3) | instskip(NEXT) | instid1(VALU_DEP_3)
	v_fma_f32 v30, v64, v32, -v43
	v_dual_add_f32 v45, v38, v40 :: v_dual_add_f32 v24, v24, v42
	s_delay_alu instid0(VALU_DEP_3) | instskip(SKIP_1) | instid1(VALU_DEP_3)
	v_dual_add_f32 v26, v26, v31 :: v_dual_fmac_f32 v44, v65, v32
	s_wait_dscnt 0x0
	v_dual_mul_f32 v38, v51, v35 :: v_dual_add_f32 v2, v2, v30
	ds_load_2addr_b64 v[30:33], v1 offset0:128 offset1:144
	v_dual_mul_f32 v40, v50, v35 :: v_dual_mul_f32 v42, v51, v37
	v_dual_fma_f32 v38, v50, v34, -v38 :: v_dual_mul_f32 v43, v50, v37
	s_delay_alu instid0(VALU_DEP_2) | instskip(NEXT) | instid1(VALU_DEP_2)
	v_dual_fmac_f32 v40, v51, v34 :: v_dual_add_f32 v22, v22, v44
	v_dual_add_f32 v44, v39, v38 :: v_dual_fma_f32 v42, v50, v36, -v42
	s_delay_alu instid0(VALU_DEP_2) | instskip(NEXT) | instid1(VALU_DEP_4)
	v_dual_mul_f32 v38, v67, v35 :: v_dual_add_f32 v46, v41, v40
	v_dual_fmac_f32 v43, v51, v36 :: v_dual_mul_f32 v35, v66, v35
	s_delay_alu instid0(VALU_DEP_3) | instskip(NEXT) | instid1(VALU_DEP_3)
	v_add_f32_e32 v28, v28, v42
	v_dual_fma_f32 v42, v66, v34, -v38 :: v_dual_mul_f32 v47, v67, v37
	s_delay_alu instid0(VALU_DEP_3)
	v_add_f32_e32 v48, v45, v43
	ds_load_b128 v[38:41], v29 offset:1056
	v_dual_fmac_f32 v35, v67, v34 :: v_dual_mul_f32 v43, v66, v37
	v_dual_fma_f32 v34, v66, v36, -v47 :: v_dual_add_f32 v24, v24, v42
	s_wait_dscnt 0x1
	v_dual_mul_f32 v37, v57, v31 :: v_dual_mul_f32 v47, v56, v31
	s_delay_alu instid0(VALU_DEP_3) | instskip(NEXT) | instid1(VALU_DEP_3)
	v_dual_fmac_f32 v43, v67, v36 :: v_dual_add_f32 v26, v26, v35
	v_add_f32_e32 v2, v2, v34
	s_delay_alu instid0(VALU_DEP_3) | instskip(SKIP_4) | instid1(VALU_DEP_3)
	v_fma_f32 v42, v56, v30, -v37
	ds_load_2addr_b64 v[34:37], v1 offset0:160 offset1:176
	v_dual_mul_f32 v45, v57, v33 :: v_dual_add_f32 v22, v22, v43
	v_dual_fmac_f32 v47, v57, v30 :: v_dual_mul_f32 v50, v56, v33
	v_add_f32_e32 v49, v44, v42
	v_fma_f32 v51, v56, v32, -v45
	ds_load_b128 v[42:45], v29 offset:1072
	v_add_f32_e32 v46, v46, v47
	s_wait_dscnt 0x2
	v_dual_mul_f32 v52, v39, v31 :: v_dual_fmac_f32 v50, v57, v32
	v_mul_f32_e32 v31, v38, v31
	v_dual_add_f32 v28, v28, v51 :: v_dual_mul_f32 v51, v39, v33
	s_delay_alu instid0(VALU_DEP_3) | instskip(NEXT) | instid1(VALU_DEP_4)
	v_fma_f32 v47, v38, v30, -v52
	v_add_f32_e32 v48, v48, v50
	s_delay_alu instid0(VALU_DEP_4) | instskip(NEXT) | instid1(VALU_DEP_3)
	v_dual_fmac_f32 v31, v39, v30 :: v_dual_mul_f32 v50, v38, v33
	v_dual_fma_f32 v30, v38, v32, -v51 :: v_dual_add_f32 v24, v24, v47
	s_wait_dscnt 0x1
	v_dual_mul_f32 v33, v59, v35 :: v_dual_mul_f32 v38, v58, v35
	s_delay_alu instid0(VALU_DEP_3) | instskip(NEXT) | instid1(VALU_DEP_3)
	v_dual_add_f32 v26, v26, v31 :: v_dual_fmac_f32 v50, v39, v32
	v_dual_add_f32 v2, v2, v30 :: v_dual_mul_f32 v47, v59, v37
	s_delay_alu instid0(VALU_DEP_3)
	v_dual_fma_f32 v39, v58, v34, -v33 :: v_dual_fmac_f32 v38, v59, v34
	ds_load_2addr_b64 v[30:33], v1 offset0:192 offset1:208
	v_add_f32_e32 v22, v22, v50
	v_dual_fma_f32 v47, v58, v36, -v47 :: v_dual_add_f32 v49, v49, v39
	v_mul_f32_e32 v39, v58, v37
	v_dual_add_f32 v46, v46, v38 :: v_dual_mul_f32 v38, v41, v35
	v_mul_f32_e32 v35, v40, v35
	s_delay_alu instid0(VALU_DEP_4) | instskip(NEXT) | instid1(VALU_DEP_3)
	v_dual_add_f32 v28, v28, v47 :: v_dual_mul_f32 v47, v41, v37
	v_dual_fmac_f32 v39, v59, v36 :: v_dual_fma_f32 v38, v40, v34, -v38
	s_delay_alu instid0(VALU_DEP_1) | instskip(NEXT) | instid1(VALU_DEP_3)
	v_dual_fmac_f32 v35, v41, v34 :: v_dual_add_f32 v34, v48, v39
	v_dual_mul_f32 v48, v40, v37 :: v_dual_fma_f32 v37, v40, v36, -v47
	s_delay_alu instid0(VALU_DEP_2) | instskip(SKIP_2) | instid1(VALU_DEP_3)
	v_dual_add_f32 v24, v24, v38 :: v_dual_add_f32 v26, v26, v35
	s_wait_dscnt 0x0
	v_mul_f32_e32 v35, v61, v31
	v_dual_fmac_f32 v48, v41, v36 :: v_dual_add_f32 v2, v2, v37
	ds_load_2addr_b64 v[36:39], v1 offset0:224 offset1:240
	v_dual_mul_f32 v40, v60, v31 :: v_dual_fma_f32 v35, v60, v30, -v35
	v_dual_add_f32 v22, v22, v48 :: v_dual_mul_f32 v41, v61, v33
	s_delay_alu instid0(VALU_DEP_2) | instskip(NEXT) | instid1(VALU_DEP_3)
	v_dual_mul_f32 v47, v60, v33 :: v_dual_fmac_f32 v40, v61, v30
	v_add_f32_e32 v35, v49, v35
	s_delay_alu instid0(VALU_DEP_3) | instskip(NEXT) | instid1(VALU_DEP_3)
	v_dual_mul_f32 v48, v43, v31 :: v_dual_fma_f32 v41, v60, v32, -v41
	v_dual_fmac_f32 v47, v61, v32 :: v_dual_mul_f32 v31, v42, v31
	s_delay_alu instid0(VALU_DEP_4) | instskip(NEXT) | instid1(VALU_DEP_3)
	v_add_f32_e32 v40, v46, v40
	v_dual_fma_f32 v46, v42, v30, -v48 :: v_dual_add_f32 v28, v28, v41
	s_delay_alu instid0(VALU_DEP_3) | instskip(NEXT) | instid1(VALU_DEP_4)
	v_dual_mul_f32 v41, v43, v33 :: v_dual_add_f32 v47, v34, v47
	v_dual_fmac_f32 v31, v43, v30 :: v_dual_mul_f32 v30, v42, v33
	s_delay_alu instid0(VALU_DEP_2) | instskip(SKIP_2) | instid1(VALU_DEP_3)
	v_dual_add_f32 v24, v24, v46 :: v_dual_fma_f32 v33, v42, v32, -v41
	s_wait_dscnt 0x0
	v_dual_mul_f32 v34, v63, v37 :: v_dual_mul_f32 v41, v62, v37
	v_dual_add_f32 v26, v26, v31 :: v_dual_fmac_f32 v30, v43, v32
	s_delay_alu instid0(VALU_DEP_3) | instskip(NEXT) | instid1(VALU_DEP_3)
	v_add_f32_e32 v2, v2, v33
	v_dual_fma_f32 v31, v62, v36, -v34 :: v_dual_mul_f32 v33, v63, v39
	s_delay_alu instid0(VALU_DEP_4) | instskip(NEXT) | instid1(VALU_DEP_2)
	v_dual_fmac_f32 v41, v63, v36 :: v_dual_mul_f32 v42, v62, v39
	v_dual_add_f32 v22, v22, v30 :: v_dual_add_f32 v32, v35, v31
	v_mul_f32_e32 v31, v45, v37
	s_delay_alu instid0(VALU_DEP_3) | instskip(NEXT) | instid1(VALU_DEP_4)
	v_dual_add_f32 v34, v40, v41 :: v_dual_fma_f32 v30, v62, v38, -v33
	v_dual_fmac_f32 v42, v63, v38 :: v_dual_mul_f32 v33, v44, v37
	v_dual_mul_f32 v35, v45, v39 :: v_dual_mul_f32 v37, v44, v39
	s_delay_alu instid0(VALU_DEP_3) | instskip(NEXT) | instid1(VALU_DEP_3)
	v_add_f32_e32 v28, v28, v30
	v_dual_fma_f32 v31, v44, v36, -v31 :: v_dual_fmac_f32 v33, v45, v36
	s_delay_alu instid0(VALU_DEP_3) | instskip(NEXT) | instid1(VALU_DEP_2)
	v_dual_fma_f32 v35, v44, v38, -v35 :: v_dual_fmac_f32 v37, v45, v38
	v_dual_add_f32 v30, v47, v42 :: v_dual_add_f32 v24, v24, v31
	s_delay_alu instid0(VALU_DEP_3) | instskip(NEXT) | instid1(VALU_DEP_3)
	v_add_f32_e32 v26, v26, v33
	v_add_f32_e32 v2, v2, v35
	s_delay_alu instid0(VALU_DEP_4)
	v_add_f32_e32 v22, v22, v37
	s_barrier_signal -1
	s_barrier_wait -1
	s_cbranch_scc0 .LBB382_13
.LBB382_9:                              ;   Parent Loop BB382_6 Depth=1
                                        ; =>  This Inner Loop Header: Depth=2
	v_dual_mov_b32 v36, 0 :: v_dual_add_nc_u32 v31, s26, v23
	v_mov_b32_e32 v37, 0
	s_delay_alu instid0(VALU_DEP_2) | instskip(SKIP_1) | instid1(SALU_CYCLE_1)
	v_cmp_gt_i32_e32 vcc_lo, s9, v31
	s_and_b32 s29, s0, vcc_lo
	s_and_saveexec_b32 s27, s29
	s_cbranch_execz .LBB382_11
; %bb.10:                               ;   in Loop: Header=BB382_9 Depth=2
	flat_load_b64 v[36:37], v[18:19]
.LBB382_11:                             ;   in Loop: Header=BB382_9 Depth=2
	s_wait_xcnt 0x0
	s_or_b32 exec_lo, exec_lo, s27
	v_dual_mov_b32 v38, 0 :: v_dual_add_nc_u32 v31, s26, v0
	v_mov_b32_e32 v39, 0
	s_wait_loadcnt_dscnt 0x0
	ds_store_b64 v25, v[36:37]
	v_cmp_gt_i32_e32 vcc_lo, s9, v31
	s_and_b32 s29, vcc_lo, s1
	s_delay_alu instid0(SALU_CYCLE_1)
	s_and_saveexec_b32 s27, s29
	s_cbranch_execz .LBB382_8
; %bb.12:                               ;   in Loop: Header=BB382_9 Depth=2
	flat_load_b64 v[38:39], v[20:21]
	s_branch .LBB382_8
.LBB382_13:                             ;   in Loop: Header=BB382_6 Depth=1
	s_wait_loadcnt 0x0
	v_add_nc_u64_e32 v[16:17], s[18:19], v[16:17]
	s_delay_alu instid0(VALU_DEP_1)
	v_lshl_add_u64 v[18:19], v[6:7], 3, v[16:17]
	s_and_saveexec_b32 s26, s33
	s_cbranch_execz .LBB382_18
; %bb.14:                               ;   in Loop: Header=BB382_6 Depth=1
	v_mov_b64_e32 v[20:21], s[4:5]
	v_mov_b64_e32 v[36:37], s[10:11]
	s_and_b32 vcc_lo, exec_lo, s22
	s_mov_b32 s27, -1
	s_delay_alu instid0(VALU_DEP_2) | instskip(NEXT) | instid1(VALU_DEP_1)
	v_pk_mul_f32 v[20:21], v[34:35], v[20:21] op_sel_hi:[0,1]
	v_pk_fma_f32 v[34:35], v[32:33], v[36:37], v[20:21] op_sel_hi:[0,1,1]
	v_pk_fma_f32 v[20:21], v[32:33], v[36:37], v[20:21] neg_lo:[0,0,1] neg_hi:[0,0,1]
	v_lshl_add_u64 v[32:33], v[4:5], 3, v[18:19]
	s_delay_alu instid0(VALU_DEP_3)
	v_mov_b32_e32 v21, v35
	s_cbranch_vccz .LBB382_16
; %bb.15:                               ;   in Loop: Header=BB382_6 Depth=1
	flat_load_b64 v[34:35], v[32:33]
	v_mov_b64_e32 v[36:37], s[6:7]
	v_mov_b64_e32 v[38:39], s[2:3]
	s_mov_b32 s27, 0
	s_wait_loadcnt_dscnt 0x0
	s_delay_alu instid0(VALU_DEP_2) | instskip(NEXT) | instid1(VALU_DEP_1)
	v_pk_mul_f32 v[36:37], v[34:35], v[36:37]
	v_pk_fma_f32 v[40:41], v[34:35], v[38:39], v[36:37] op_sel:[0,0,1] op_sel_hi:[1,1,0]
	v_pk_fma_f32 v[34:35], v[34:35], v[38:39], v[36:37] op_sel:[0,0,1] op_sel_hi:[1,1,0] neg_lo:[0,0,1] neg_hi:[0,0,1]
	s_delay_alu instid0(VALU_DEP_2) | instskip(NEXT) | instid1(VALU_DEP_1)
	v_mov_b32_e32 v35, v41
	v_pk_add_f32 v[34:35], v[20:21], v[34:35]
	flat_store_b64 v[32:33], v[34:35]
.LBB382_16:                             ;   in Loop: Header=BB382_6 Depth=1
	s_and_not1_b32 vcc_lo, exec_lo, s27
	s_cbranch_vccnz .LBB382_18
; %bb.17:                               ;   in Loop: Header=BB382_6 Depth=1
	flat_store_b64 v[32:33], v[20:21]
.LBB382_18:                             ;   in Loop: Header=BB382_6 Depth=1
	s_wait_xcnt 0x0
	s_or_b32 exec_lo, exec_lo, s26
	s_and_saveexec_b32 s26, s8
	s_cbranch_execz .LBB382_23
; %bb.19:                               ;   in Loop: Header=BB382_6 Depth=1
	v_mov_b64_e32 v[20:21], s[4:5]
	v_mov_b64_e32 v[32:33], s[10:11]
	v_lshl_add_u64 v[18:19], v[10:11], 3, v[18:19]
	s_and_not1_b32 vcc_lo, exec_lo, s22
	s_mov_b32 s27, -1
	s_delay_alu instid0(VALU_DEP_3) | instskip(NEXT) | instid1(VALU_DEP_1)
	v_pk_mul_f32 v[20:21], v[30:31], v[20:21] op_sel_hi:[0,1]
	v_pk_fma_f32 v[30:31], v[28:29], v[32:33], v[20:21] op_sel_hi:[0,1,1]
	v_pk_fma_f32 v[20:21], v[28:29], v[32:33], v[20:21] neg_lo:[0,0,1] neg_hi:[0,0,1]
	s_delay_alu instid0(VALU_DEP_2)
	v_mov_b32_e32 v21, v31
	s_cbranch_vccnz .LBB382_21
; %bb.20:                               ;   in Loop: Header=BB382_6 Depth=1
	flat_load_b64 v[30:31], v[18:19]
	v_mov_b64_e32 v[32:33], s[6:7]
	v_mov_b64_e32 v[34:35], s[2:3]
	s_mov_b32 s27, 0
	s_wait_loadcnt_dscnt 0x0
	s_delay_alu instid0(VALU_DEP_2) | instskip(NEXT) | instid1(VALU_DEP_1)
	v_pk_mul_f32 v[32:33], v[30:31], v[32:33]
	v_pk_fma_f32 v[36:37], v[30:31], v[34:35], v[32:33] op_sel:[0,0,1] op_sel_hi:[1,1,0]
	v_pk_fma_f32 v[30:31], v[30:31], v[34:35], v[32:33] op_sel:[0,0,1] op_sel_hi:[1,1,0] neg_lo:[0,0,1] neg_hi:[0,0,1]
	s_delay_alu instid0(VALU_DEP_2) | instskip(NEXT) | instid1(VALU_DEP_1)
	v_mov_b32_e32 v31, v37
	v_pk_add_f32 v[30:31], v[20:21], v[30:31]
	flat_store_b64 v[18:19], v[30:31]
.LBB382_21:                             ;   in Loop: Header=BB382_6 Depth=1
	s_and_not1_b32 vcc_lo, exec_lo, s27
	s_cbranch_vccnz .LBB382_23
; %bb.22:                               ;   in Loop: Header=BB382_6 Depth=1
	flat_store_b64 v[18:19], v[20:21]
.LBB382_23:                             ;   in Loop: Header=BB382_6 Depth=1
	s_wait_xcnt 0x0
	s_or_b32 exec_lo, exec_lo, s26
	v_lshl_add_u64 v[16:17], v[8:9], 3, v[16:17]
	s_and_saveexec_b32 s26, s34
	s_cbranch_execz .LBB382_28
; %bb.24:                               ;   in Loop: Header=BB382_6 Depth=1
	v_mov_b64_e32 v[18:19], s[4:5]
	v_mov_b64_e32 v[20:21], s[10:11]
	s_and_not1_b32 vcc_lo, exec_lo, s22
	s_mov_b32 s27, -1
	s_delay_alu instid0(VALU_DEP_2) | instskip(NEXT) | instid1(VALU_DEP_1)
	v_pk_mul_f32 v[18:19], v[26:27], v[18:19] op_sel_hi:[0,1]
	v_pk_fma_f32 v[30:31], v[24:25], v[20:21], v[18:19] op_sel_hi:[0,1,1]
	v_pk_fma_f32 v[18:19], v[24:25], v[20:21], v[18:19] neg_lo:[0,0,1] neg_hi:[0,0,1]
	v_lshl_add_u64 v[20:21], v[4:5], 3, v[16:17]
	s_delay_alu instid0(VALU_DEP_3)
	v_mov_b32_e32 v19, v31
	s_cbranch_vccnz .LBB382_26
; %bb.25:                               ;   in Loop: Header=BB382_6 Depth=1
	flat_load_b64 v[30:31], v[20:21]
	v_mov_b64_e32 v[32:33], s[6:7]
	v_mov_b64_e32 v[34:35], s[2:3]
	s_mov_b32 s27, 0
	s_wait_loadcnt_dscnt 0x0
	s_delay_alu instid0(VALU_DEP_2) | instskip(NEXT) | instid1(VALU_DEP_1)
	v_pk_mul_f32 v[32:33], v[30:31], v[32:33]
	v_pk_fma_f32 v[36:37], v[30:31], v[34:35], v[32:33] op_sel:[0,0,1] op_sel_hi:[1,1,0]
	v_pk_fma_f32 v[30:31], v[30:31], v[34:35], v[32:33] op_sel:[0,0,1] op_sel_hi:[1,1,0] neg_lo:[0,0,1] neg_hi:[0,0,1]
	s_delay_alu instid0(VALU_DEP_2) | instskip(NEXT) | instid1(VALU_DEP_1)
	v_mov_b32_e32 v31, v37
	v_pk_add_f32 v[30:31], v[18:19], v[30:31]
	flat_store_b64 v[20:21], v[30:31]
.LBB382_26:                             ;   in Loop: Header=BB382_6 Depth=1
	s_and_not1_b32 vcc_lo, exec_lo, s27
	s_cbranch_vccnz .LBB382_28
; %bb.27:                               ;   in Loop: Header=BB382_6 Depth=1
	flat_store_b64 v[20:21], v[18:19]
.LBB382_28:                             ;   in Loop: Header=BB382_6 Depth=1
	s_wait_xcnt 0x0
	s_or_b32 exec_lo, exec_lo, s26
	s_and_saveexec_b32 s26, s35
	s_cbranch_execz .LBB382_5
; %bb.29:                               ;   in Loop: Header=BB382_6 Depth=1
	v_mov_b64_e32 v[18:19], s[4:5]
	v_mov_b64_e32 v[20:21], s[10:11]
	v_lshl_add_u64 v[16:17], v[10:11], 3, v[16:17]
	s_and_not1_b32 vcc_lo, exec_lo, s22
	s_mov_b32 s27, -1
	s_delay_alu instid0(VALU_DEP_3) | instskip(NEXT) | instid1(VALU_DEP_1)
	v_pk_mul_f32 v[18:19], v[22:23], v[18:19] op_sel_hi:[0,1]
	v_pk_fma_f32 v[30:31], v[2:3], v[20:21], v[18:19] op_sel_hi:[0,1,1]
	v_pk_fma_f32 v[18:19], v[2:3], v[20:21], v[18:19] neg_lo:[0,0,1] neg_hi:[0,0,1]
	s_delay_alu instid0(VALU_DEP_2)
	v_mov_b32_e32 v19, v31
	s_cbranch_vccnz .LBB382_31
; %bb.30:                               ;   in Loop: Header=BB382_6 Depth=1
	flat_load_b64 v[20:21], v[16:17]
	v_mov_b64_e32 v[30:31], s[6:7]
	v_mov_b64_e32 v[32:33], s[2:3]
	s_mov_b32 s27, 0
	s_wait_loadcnt_dscnt 0x0
	s_delay_alu instid0(VALU_DEP_2) | instskip(NEXT) | instid1(VALU_DEP_1)
	v_pk_mul_f32 v[30:31], v[20:21], v[30:31]
	v_pk_fma_f32 v[34:35], v[20:21], v[32:33], v[30:31] op_sel:[0,0,1] op_sel_hi:[1,1,0]
	v_pk_fma_f32 v[20:21], v[20:21], v[32:33], v[30:31] op_sel:[0,0,1] op_sel_hi:[1,1,0] neg_lo:[0,0,1] neg_hi:[0,0,1]
	s_delay_alu instid0(VALU_DEP_2) | instskip(NEXT) | instid1(VALU_DEP_1)
	v_mov_b32_e32 v21, v35
	v_pk_add_f32 v[20:21], v[18:19], v[20:21]
	flat_store_b64 v[16:17], v[20:21]
.LBB382_31:                             ;   in Loop: Header=BB382_6 Depth=1
	s_and_not1_b32 vcc_lo, exec_lo, s27
	s_cbranch_vccnz .LBB382_5
; %bb.32:                               ;   in Loop: Header=BB382_6 Depth=1
	flat_store_b64 v[16:17], v[18:19]
	s_branch .LBB382_5
.LBB382_33:
	s_sendmsg sendmsg(MSG_DEALLOC_VGPRS)
	s_endpgm
	.section	.rodata,"a",@progbits
	.p2align	6, 0x0
	.amdhsa_kernel _ZL29rocblas_internal_gemmt_kernelIiLi16ELi32ELi8ELc84ELc84ELc85ELb0ELb0E19rocblas_complex_numIfES1_PKPKS1_PKPS1_EviT_T9_T10_S9_lSB_S9_lSA_T11_S9_li
		.amdhsa_group_segment_fixed_size 4096
		.amdhsa_private_segment_fixed_size 0
		.amdhsa_kernarg_size 100
		.amdhsa_user_sgpr_count 2
		.amdhsa_user_sgpr_dispatch_ptr 0
		.amdhsa_user_sgpr_queue_ptr 0
		.amdhsa_user_sgpr_kernarg_segment_ptr 1
		.amdhsa_user_sgpr_dispatch_id 0
		.amdhsa_user_sgpr_kernarg_preload_length 0
		.amdhsa_user_sgpr_kernarg_preload_offset 0
		.amdhsa_user_sgpr_private_segment_size 0
		.amdhsa_wavefront_size32 1
		.amdhsa_uses_dynamic_stack 0
		.amdhsa_enable_private_segment 0
		.amdhsa_system_sgpr_workgroup_id_x 1
		.amdhsa_system_sgpr_workgroup_id_y 1
		.amdhsa_system_sgpr_workgroup_id_z 1
		.amdhsa_system_sgpr_workgroup_info 0
		.amdhsa_system_vgpr_workitem_id 1
		.amdhsa_next_free_vgpr 71
		.amdhsa_next_free_sgpr 38
		.amdhsa_named_barrier_count 0
		.amdhsa_reserve_vcc 1
		.amdhsa_float_round_mode_32 0
		.amdhsa_float_round_mode_16_64 0
		.amdhsa_float_denorm_mode_32 3
		.amdhsa_float_denorm_mode_16_64 3
		.amdhsa_fp16_overflow 0
		.amdhsa_memory_ordered 1
		.amdhsa_forward_progress 1
		.amdhsa_inst_pref_size 26
		.amdhsa_round_robin_scheduling 0
		.amdhsa_exception_fp_ieee_invalid_op 0
		.amdhsa_exception_fp_denorm_src 0
		.amdhsa_exception_fp_ieee_div_zero 0
		.amdhsa_exception_fp_ieee_overflow 0
		.amdhsa_exception_fp_ieee_underflow 0
		.amdhsa_exception_fp_ieee_inexact 0
		.amdhsa_exception_int_div_zero 0
	.end_amdhsa_kernel
	.section	.text._ZL29rocblas_internal_gemmt_kernelIiLi16ELi32ELi8ELc84ELc84ELc85ELb0ELb0E19rocblas_complex_numIfES1_PKPKS1_PKPS1_EviT_T9_T10_S9_lSB_S9_lSA_T11_S9_li,"axG",@progbits,_ZL29rocblas_internal_gemmt_kernelIiLi16ELi32ELi8ELc84ELc84ELc85ELb0ELb0E19rocblas_complex_numIfES1_PKPKS1_PKPS1_EviT_T9_T10_S9_lSB_S9_lSA_T11_S9_li,comdat
.Lfunc_end382:
	.size	_ZL29rocblas_internal_gemmt_kernelIiLi16ELi32ELi8ELc84ELc84ELc85ELb0ELb0E19rocblas_complex_numIfES1_PKPKS1_PKPS1_EviT_T9_T10_S9_lSB_S9_lSA_T11_S9_li, .Lfunc_end382-_ZL29rocblas_internal_gemmt_kernelIiLi16ELi32ELi8ELc84ELc84ELc85ELb0ELb0E19rocblas_complex_numIfES1_PKPKS1_PKPS1_EviT_T9_T10_S9_lSB_S9_lSA_T11_S9_li
                                        ; -- End function
	.set _ZL29rocblas_internal_gemmt_kernelIiLi16ELi32ELi8ELc84ELc84ELc85ELb0ELb0E19rocblas_complex_numIfES1_PKPKS1_PKPS1_EviT_T9_T10_S9_lSB_S9_lSA_T11_S9_li.num_vgpr, 71
	.set _ZL29rocblas_internal_gemmt_kernelIiLi16ELi32ELi8ELc84ELc84ELc85ELb0ELb0E19rocblas_complex_numIfES1_PKPKS1_PKPS1_EviT_T9_T10_S9_lSB_S9_lSA_T11_S9_li.num_agpr, 0
	.set _ZL29rocblas_internal_gemmt_kernelIiLi16ELi32ELi8ELc84ELc84ELc85ELb0ELb0E19rocblas_complex_numIfES1_PKPKS1_PKPS1_EviT_T9_T10_S9_lSB_S9_lSA_T11_S9_li.numbered_sgpr, 38
	.set _ZL29rocblas_internal_gemmt_kernelIiLi16ELi32ELi8ELc84ELc84ELc85ELb0ELb0E19rocblas_complex_numIfES1_PKPKS1_PKPS1_EviT_T9_T10_S9_lSB_S9_lSA_T11_S9_li.num_named_barrier, 0
	.set _ZL29rocblas_internal_gemmt_kernelIiLi16ELi32ELi8ELc84ELc84ELc85ELb0ELb0E19rocblas_complex_numIfES1_PKPKS1_PKPS1_EviT_T9_T10_S9_lSB_S9_lSA_T11_S9_li.private_seg_size, 0
	.set _ZL29rocblas_internal_gemmt_kernelIiLi16ELi32ELi8ELc84ELc84ELc85ELb0ELb0E19rocblas_complex_numIfES1_PKPKS1_PKPS1_EviT_T9_T10_S9_lSB_S9_lSA_T11_S9_li.uses_vcc, 1
	.set _ZL29rocblas_internal_gemmt_kernelIiLi16ELi32ELi8ELc84ELc84ELc85ELb0ELb0E19rocblas_complex_numIfES1_PKPKS1_PKPS1_EviT_T9_T10_S9_lSB_S9_lSA_T11_S9_li.uses_flat_scratch, 0
	.set _ZL29rocblas_internal_gemmt_kernelIiLi16ELi32ELi8ELc84ELc84ELc85ELb0ELb0E19rocblas_complex_numIfES1_PKPKS1_PKPS1_EviT_T9_T10_S9_lSB_S9_lSA_T11_S9_li.has_dyn_sized_stack, 0
	.set _ZL29rocblas_internal_gemmt_kernelIiLi16ELi32ELi8ELc84ELc84ELc85ELb0ELb0E19rocblas_complex_numIfES1_PKPKS1_PKPS1_EviT_T9_T10_S9_lSB_S9_lSA_T11_S9_li.has_recursion, 0
	.set _ZL29rocblas_internal_gemmt_kernelIiLi16ELi32ELi8ELc84ELc84ELc85ELb0ELb0E19rocblas_complex_numIfES1_PKPKS1_PKPS1_EviT_T9_T10_S9_lSB_S9_lSA_T11_S9_li.has_indirect_call, 0
	.section	.AMDGPU.csdata,"",@progbits
; Kernel info:
; codeLenInByte = 3244
; TotalNumSgprs: 40
; NumVgprs: 71
; ScratchSize: 0
; MemoryBound: 0
; FloatMode: 240
; IeeeMode: 1
; LDSByteSize: 4096 bytes/workgroup (compile time only)
; SGPRBlocks: 0
; VGPRBlocks: 4
; NumSGPRsForWavesPerEU: 40
; NumVGPRsForWavesPerEU: 71
; NamedBarCnt: 0
; Occupancy: 12
; WaveLimiterHint : 1
; COMPUTE_PGM_RSRC2:SCRATCH_EN: 0
; COMPUTE_PGM_RSRC2:USER_SGPR: 2
; COMPUTE_PGM_RSRC2:TRAP_HANDLER: 0
; COMPUTE_PGM_RSRC2:TGID_X_EN: 1
; COMPUTE_PGM_RSRC2:TGID_Y_EN: 1
; COMPUTE_PGM_RSRC2:TGID_Z_EN: 1
; COMPUTE_PGM_RSRC2:TIDIG_COMP_CNT: 1
	.section	.text._ZL29rocblas_internal_gemmt_kernelIiLi16ELi32ELi8ELc84ELc67ELc85ELb0ELb1E19rocblas_complex_numIfES1_PKPKS1_PKPS1_EviT_T9_T10_S9_lSB_S9_lSA_T11_S9_li,"axG",@progbits,_ZL29rocblas_internal_gemmt_kernelIiLi16ELi32ELi8ELc84ELc67ELc85ELb0ELb1E19rocblas_complex_numIfES1_PKPKS1_PKPS1_EviT_T9_T10_S9_lSB_S9_lSA_T11_S9_li,comdat
	.globl	_ZL29rocblas_internal_gemmt_kernelIiLi16ELi32ELi8ELc84ELc67ELc85ELb0ELb1E19rocblas_complex_numIfES1_PKPKS1_PKPS1_EviT_T9_T10_S9_lSB_S9_lSA_T11_S9_li ; -- Begin function _ZL29rocblas_internal_gemmt_kernelIiLi16ELi32ELi8ELc84ELc67ELc85ELb0ELb1E19rocblas_complex_numIfES1_PKPKS1_PKPS1_EviT_T9_T10_S9_lSB_S9_lSA_T11_S9_li
	.p2align	8
	.type	_ZL29rocblas_internal_gemmt_kernelIiLi16ELi32ELi8ELc84ELc67ELc85ELb0ELb1E19rocblas_complex_numIfES1_PKPKS1_PKPS1_EviT_T9_T10_S9_lSB_S9_lSA_T11_S9_li,@function
_ZL29rocblas_internal_gemmt_kernelIiLi16ELi32ELi8ELc84ELc67ELc85ELb0ELb1E19rocblas_complex_numIfES1_PKPKS1_PKPS1_EviT_T9_T10_S9_lSB_S9_lSA_T11_S9_li: ; @_ZL29rocblas_internal_gemmt_kernelIiLi16ELi32ELi8ELc84ELc67ELc85ELb0ELb1E19rocblas_complex_numIfES1_PKPKS1_PKPS1_EviT_T9_T10_S9_lSB_S9_lSA_T11_S9_li
; %bb.0:
	s_clause 0x1
	s_load_b64 s[6:7], s[0:1], 0x40
	s_load_b128 s[8:11], s[0:1], 0x0
	s_wait_kmcnt 0x0
	s_cmp_neq_f32 s6, 1.0
	s_cselect_b32 s2, -1, 0
	s_and_b32 s3, s7, 0x7fffffff
	s_delay_alu instid0(SALU_CYCLE_1) | instskip(SKIP_3) | instid1(SALU_CYCLE_1)
	s_cmp_eq_u32 s3, 0
	s_cselect_b32 s19, -1, 0
	s_cmp_lg_u32 s3, 0
	s_cselect_b32 s3, -1, 0
	s_or_b32 s2, s2, s3
	s_delay_alu instid0(SALU_CYCLE_1)
	s_and_b32 vcc_lo, exec_lo, s2
	s_cbranch_vccnz .LBB383_2
; %bb.1:
	s_cmp_lg_u32 s9, 0
	s_cselect_b32 s2, -1, 0
	s_cmp_neq_f32 s10, 0
	s_cselect_b32 s3, -1, 0
	s_cmp_neq_f32 s11, 0
	s_cselect_b32 s4, -1, 0
	s_delay_alu instid0(SALU_CYCLE_1) | instskip(NEXT) | instid1(SALU_CYCLE_1)
	s_or_b32 s3, s3, s4
	s_and_b32 s2, s2, s3
.LBB383_2:
	s_delay_alu instid0(SALU_CYCLE_1)
	s_and_not1_b32 vcc_lo, exec_lo, s2
	s_cbranch_vccnz .LBB383_35
; %bb.3:
	s_load_b32 s23, s[0:1], 0x60
	s_bfe_u32 s2, ttmp6, 0x40014
	s_lshr_b32 s3, ttmp7, 16
	s_add_co_i32 s2, s2, 1
	s_bfe_u32 s5, ttmp6, 0x40008
	s_mul_i32 s4, s3, s2
	s_getreg_b32 s2, hwreg(HW_REG_IB_STS2, 6, 4)
	s_add_co_i32 s5, s5, s4
	s_cmp_eq_u32 s2, 0
	s_mov_b32 s25, 0
	s_cselect_b32 s24, s3, s5
	s_wait_kmcnt 0x0
	s_cmp_ge_u32 s24, s23
	s_cbranch_scc1 .LBB383_35
; %bb.4:
	s_clause 0x2
	s_load_b96 s[16:18], s[0:1], 0x10
	s_load_b32 s26, s[0:1], 0x30
	s_load_b96 s[20:22], s[0:1], 0x48
	v_and_b32_e32 v2, 0x3ff, v0
	v_bfe_u32 v9, v0, 10, 10
	s_clause 0x2
	s_load_b128 s[12:15], s[0:1], 0x20
	s_load_b64 s[30:31], s[0:1], 0x38
	s_load_b64 s[28:29], s[0:1], 0x58
	s_wait_xcnt 0x0
	s_bfe_u32 s1, ttmp6, 0x4000c
	s_bfe_u32 s3, ttmp6, 0x40010
	s_and_b32 s4, ttmp7, 0xffff
	s_add_co_i32 s1, s1, 1
	s_add_co_i32 s3, s3, 1
	v_lshl_add_u32 v1, v9, 4, v2
	s_and_b32 s0, ttmp6, 15
	s_bfe_u32 s33, ttmp6, 0x40004
	s_mul_i32 s1, ttmp9, s1
	s_mul_i32 s34, s4, s3
	s_add_co_i32 s0, s0, s1
	s_add_co_i32 s33, s33, s34
	v_dual_lshrrev_b32 v23, 5, v1 :: v_dual_bitop2_b32 v0, 7, v0 bitop3:0x40
	s_wait_kmcnt 0x0
	s_ashr_i32 s3, s18, 31
	s_ashr_i32 s27, s26, 31
	s_ashr_i32 s5, s22, 31
	s_cmp_eq_u32 s2, 0
	v_dual_lshrrev_b32 v5, 3, v1 :: v_dual_bitop2_b32 v1, 31, v1 bitop3:0x40
	s_cselect_b32 s0, ttmp9, s0
	s_cselect_b32 s1, s4, s33
	s_lshl_b32 s33, s0, 5
	s_delay_alu instid0(VALU_DEP_1) | instid1(SALU_CYCLE_1)
	v_dual_mov_b32 v3, 0 :: v_dual_bitop2_b32 v4, s33, v1 bitop3:0x54
	s_lshl_b32 s1, s1, 5
	s_delay_alu instid0(SALU_CYCLE_1) | instskip(NEXT) | instid1(VALU_DEP_2)
	v_dual_lshlrev_b32 v6, 3, v0 :: v_dual_add_nc_u32 v12, s1, v5
	v_dual_lshlrev_b32 v7, 3, v1 :: v_dual_mov_b32 v1, v3
	s_cmp_neq_f32 s10, 0
	s_delay_alu instid0(VALU_DEP_2) | instskip(SKIP_1) | instid1(VALU_DEP_3)
	v_lshl_or_b32 v6, v5, 6, v6
	v_dual_ashrrev_i32 v5, 31, v4 :: v_dual_add_nc_u32 v16, s1, v9
	v_mul_u64_e32 v[14:15], s[26:27], v[0:1]
	s_mov_b32 s2, s18
	s_cselect_b32 s0, -1, 0
	s_delay_alu instid0(VALU_DEP_2)
	v_mul_u64_e32 v[18:19], s[2:3], v[4:5]
	s_cmp_neq_f32 s11, 0
	v_dual_add_nc_u32 v20, 16, v16 :: v_dual_ashrrev_i32 v17, 31, v16
	s_mov_b32 s4, s22
	s_cselect_b32 s18, -1, 0
	v_lshl_or_b32 v25, v23, 8, v7
	s_or_b32 s18, s0, s18
	v_cmp_gt_i32_e64 s0, s8, v4
	v_dual_add_nc_u32 v4, s33, v2 :: v_dual_ashrrev_i32 v21, 31, v20
	v_add_nc_u32_e32 v1, 0x800, v6
	v_dual_ashrrev_i32 v13, 31, v12 :: v_dual_lshlrev_b32 v27, 3, v2
	v_lshlrev_b32_e32 v2, 3, v23
	v_mul_u64_e32 v[6:7], s[4:5], v[16:17]
	v_mul_u64_e32 v[10:11], s[4:5], v[20:21]
	s_cmp_gt_i32 s9, 0
	v_dual_add_nc_u32 v8, 16, v4 :: v_dual_ashrrev_i32 v5, 31, v4
	s_cselect_b32 s35, -1, 0
	s_cmp_neq_f32 s6, 0
	v_cmp_le_i32_e64 s4, v4, v20
	s_delay_alu instid0(VALU_DEP_2)
	v_cmp_le_i32_e64 s5, v8, v20
	v_cmp_gt_i32_e32 vcc_lo, s8, v12
	s_cselect_b32 s3, -1, 0
	s_xor_b32 s19, s19, -1
	v_cmp_gt_i32_e64 s1, s8, v16
	s_or_b32 s22, s3, s19
	v_cmp_gt_i32_e64 s3, s8, v20
	v_cmp_le_i32_e64 s2, v4, v16
	v_lshl_add_u32 v29, v9, 6, 0x800
	v_ashrrev_i32_e32 v9, 31, v8
	s_and_b32 s8, s3, s4
	s_and_b32 s34, s3, s5
	s_lshl_b64 s[4:5], s[30:31], 3
	s_and_b32 s33, s1, s2
	v_lshl_add_u64 v[14:15], v[14:15], 3, s[4:5]
	s_lshl_b64 s[4:5], s[12:13], 3
	v_cmp_le_i32_e64 s2, v8, v16
	v_lshl_add_u64 v[16:17], v[18:19], 3, s[4:5]
	s_mov_b32 s3, s6
	v_lshl_add_u64 v[12:13], v[12:13], 3, v[14:15]
	s_mov_b32 s4, s11
	s_and_b32 s1, s1, s2
	v_add_nc_u64_e32 v[14:15], v[16:17], v[2:3]
	s_mov_b32 s2, s6
	v_or_b32_e32 v12, 4, v12
	s_mov_b32 s6, s7
	s_mov_b32 s5, s10
	s_and_b32 s30, s18, s35
	s_lshl_b64 s[12:13], s[26:27], 6
	s_xor_b32 s26, vcc_lo, -1
	s_lshl_b64 s[18:19], s[28:29], 3
	s_branch .LBB383_6
.LBB383_5:                              ;   in Loop: Header=BB383_6 Depth=1
	s_wait_xcnt 0x0
	s_or_b32 exec_lo, exec_lo, s27
	s_add_co_i32 s24, s24, 0x10000
	s_delay_alu instid0(SALU_CYCLE_1)
	s_cmp_lt_u32 s24, s23
	s_cbranch_scc0 .LBB383_35
.LBB383_6:                              ; =>This Loop Header: Depth=1
                                        ;     Child Loop BB383_9 Depth 2
	v_dual_mov_b32 v2, s24 :: v_dual_mov_b32 v32, 0
	v_dual_mov_b32 v34, 0 :: v_dual_mov_b32 v28, 0
	;; [unrolled: 1-line block ×3, first 2 shown]
	global_load_b64 v[16:17], v2, s[20:21] scale_offset
	s_wait_xcnt 0x0
	v_dual_mov_b32 v26, 0 :: v_dual_mov_b32 v2, 0
	v_mov_b32_e32 v22, 0
	s_and_not1_b32 vcc_lo, exec_lo, s30
	s_cbranch_vccnz .LBB383_15
; %bb.7:                                ;   in Loop: Header=BB383_6 Depth=1
	s_lshl_b64 s[28:29], s[24:25], 3
	v_dual_mov_b32 v22, 0 :: v_dual_mov_b32 v2, 0
	s_add_nc_u64 s[36:37], s[16:17], s[28:29]
	s_add_nc_u64 s[28:29], s[14:15], s[28:29]
	s_clause 0x1
	global_load_b64 v[18:19], v3, s[36:37]
	global_load_b64 v[20:21], v3, s[28:29]
	v_dual_mov_b32 v26, 0 :: v_dual_mov_b32 v24, 0
	v_dual_mov_b32 v30, 0 :: v_dual_mov_b32 v28, 0
	;; [unrolled: 1-line block ×3, first 2 shown]
	s_mov_b32 s27, 0
	s_wait_loadcnt 0x1
	v_add_nc_u64_e32 v[18:19], v[18:19], v[14:15]
	s_wait_loadcnt 0x0
	v_add_nc_u64_e32 v[20:21], v[20:21], v[12:13]
	s_branch .LBB383_9
.LBB383_8:                              ;   in Loop: Header=BB383_9 Depth=2
	s_wait_xcnt 0x0
	s_or_b32 exec_lo, exec_lo, s28
	ds_store_b32 v1, v31 offset:4
	s_wait_dscnt 0x0
	s_barrier_signal -1
	s_barrier_wait -1
	ds_load_b128 v[36:39], v29
	ds_load_2addr_b64 v[40:43], v27 offset1:16
	ds_load_b128 v[44:47], v29 offset:1024
	ds_load_b128 v[48:51], v29 offset:16
	ds_load_2addr_b64 v[52:55], v27 offset0:32 offset1:48
	ds_load_b128 v[56:59], v29 offset:32
	ds_load_b128 v[60:63], v29 offset:48
	;; [unrolled: 1-line block ×3, first 2 shown]
	v_add_nc_u64_e32 v[18:19], 64, v[18:19]
	v_add_nc_u64_e32 v[20:21], s[12:13], v[20:21]
	s_add_co_i32 s27, s27, 8
	s_delay_alu instid0(SALU_CYCLE_1)
	s_cmp_lt_i32 s27, s9
	s_wait_dscnt 0x6
	v_dual_mul_f32 v31, v37, v41 :: v_dual_mul_f32 v33, v36, v41
	v_dual_mul_f32 v35, v37, v43 :: v_dual_mul_f32 v68, v36, v43
	s_wait_dscnt 0x5
	v_dual_mul_f32 v69, v45, v41 :: v_dual_mul_f32 v41, v44, v41
	v_dual_mul_f32 v70, v45, v43 :: v_dual_mul_f32 v43, v44, v43
	v_dual_fma_f32 v31, v36, v40, -v31 :: v_dual_fmac_f32 v33, v37, v40
	v_dual_fma_f32 v35, v36, v42, -v35 :: v_dual_fmac_f32 v68, v37, v42
	s_delay_alu instid0(VALU_DEP_3) | instskip(NEXT) | instid1(VALU_DEP_3)
	v_dual_fma_f32 v36, v44, v40, -v69 :: v_dual_fma_f32 v37, v44, v42, -v70
	v_dual_fmac_f32 v41, v45, v40 :: v_dual_add_f32 v40, v32, v31
	s_delay_alu instid0(VALU_DEP_3) | instskip(NEXT) | instid1(VALU_DEP_4)
	v_dual_add_f32 v34, v34, v33 :: v_dual_add_f32 v28, v28, v35
	v_add_f32_e32 v35, v30, v68
	s_delay_alu instid0(VALU_DEP_3)
	v_dual_add_f32 v24, v24, v36 :: v_dual_add_f32 v26, v26, v41
	s_wait_dscnt 0x3
	v_mul_f32_e32 v36, v39, v53
	ds_load_2addr_b64 v[30:33], v27 offset0:64 offset1:80
	v_dual_fmac_f32 v43, v45, v42 :: v_dual_add_f32 v2, v2, v37
	v_dual_mul_f32 v37, v38, v53 :: v_dual_fma_f32 v36, v38, v52, -v36
	v_mul_f32_e32 v41, v39, v55
	s_delay_alu instid0(VALU_DEP_2) | instskip(NEXT) | instid1(VALU_DEP_3)
	v_dual_add_f32 v22, v22, v43 :: v_dual_fmac_f32 v37, v39, v52
	v_dual_mul_f32 v42, v38, v55 :: v_dual_add_f32 v40, v40, v36
	s_delay_alu instid0(VALU_DEP_3) | instskip(NEXT) | instid1(VALU_DEP_2)
	v_dual_fma_f32 v36, v38, v54, -v41 :: v_dual_mul_f32 v38, v47, v53
	v_dual_add_f32 v41, v34, v37 :: v_dual_fmac_f32 v42, v39, v54
	s_delay_alu instid0(VALU_DEP_2) | instskip(NEXT) | instid1(VALU_DEP_3)
	v_dual_mul_f32 v34, v46, v53 :: v_dual_add_f32 v28, v28, v36
	v_dual_mul_f32 v37, v47, v55 :: v_dual_fma_f32 v36, v46, v52, -v38
	s_delay_alu instid0(VALU_DEP_3) | instskip(NEXT) | instid1(VALU_DEP_3)
	v_add_f32_e32 v38, v35, v42
	v_dual_fmac_f32 v34, v47, v52 :: v_dual_mul_f32 v39, v46, v55
	s_delay_alu instid0(VALU_DEP_3) | instskip(SKIP_1) | instid1(VALU_DEP_2)
	v_dual_fma_f32 v35, v46, v54, -v37 :: v_dual_add_f32 v24, v24, v36
	s_wait_dscnt 0x0
	v_dual_mul_f32 v36, v49, v31 :: v_dual_add_f32 v26, v26, v34
	s_delay_alu instid0(VALU_DEP_3) | instskip(NEXT) | instid1(VALU_DEP_2)
	v_dual_fmac_f32 v39, v47, v54 :: v_dual_mul_f32 v42, v48, v31
	v_dual_add_f32 v2, v2, v35 :: v_dual_fma_f32 v43, v48, v30, -v36
	v_mul_f32_e32 v44, v49, v33
	ds_load_2addr_b64 v[34:37], v27 offset0:96 offset1:112
	v_dual_fmac_f32 v42, v49, v30 :: v_dual_add_f32 v22, v22, v39
	v_add_f32_e32 v39, v40, v43
	v_dual_fma_f32 v43, v48, v32, -v44 :: v_dual_mul_f32 v40, v48, v33
	s_delay_alu instid0(VALU_DEP_3) | instskip(SKIP_1) | instid1(VALU_DEP_3)
	v_add_f32_e32 v41, v41, v42
	v_dual_mul_f32 v42, v65, v31 :: v_dual_mul_f32 v31, v64, v31
	v_dual_add_f32 v28, v28, v43 :: v_dual_mul_f32 v43, v65, v33
	s_delay_alu instid0(VALU_DEP_2) | instskip(NEXT) | instid1(VALU_DEP_3)
	v_dual_fmac_f32 v40, v49, v32 :: v_dual_fma_f32 v42, v64, v30, -v42
	v_dual_fmac_f32 v31, v65, v30 :: v_dual_mul_f32 v44, v64, v33
	s_delay_alu instid0(VALU_DEP_3) | instskip(NEXT) | instid1(VALU_DEP_3)
	v_fma_f32 v30, v64, v32, -v43
	v_dual_add_f32 v45, v38, v40 :: v_dual_add_f32 v24, v24, v42
	s_delay_alu instid0(VALU_DEP_3) | instskip(SKIP_1) | instid1(VALU_DEP_3)
	v_dual_add_f32 v26, v26, v31 :: v_dual_fmac_f32 v44, v65, v32
	s_wait_dscnt 0x0
	v_dual_mul_f32 v38, v51, v35 :: v_dual_add_f32 v2, v2, v30
	ds_load_2addr_b64 v[30:33], v27 offset0:128 offset1:144
	v_dual_mul_f32 v40, v50, v35 :: v_dual_mul_f32 v42, v51, v37
	v_dual_fma_f32 v38, v50, v34, -v38 :: v_dual_mul_f32 v43, v50, v37
	s_delay_alu instid0(VALU_DEP_2) | instskip(NEXT) | instid1(VALU_DEP_2)
	v_dual_fmac_f32 v40, v51, v34 :: v_dual_add_f32 v22, v22, v44
	v_dual_add_f32 v44, v39, v38 :: v_dual_fma_f32 v42, v50, v36, -v42
	s_delay_alu instid0(VALU_DEP_2) | instskip(NEXT) | instid1(VALU_DEP_4)
	v_dual_mul_f32 v38, v67, v35 :: v_dual_add_f32 v46, v41, v40
	v_dual_fmac_f32 v43, v51, v36 :: v_dual_mul_f32 v35, v66, v35
	s_delay_alu instid0(VALU_DEP_3) | instskip(NEXT) | instid1(VALU_DEP_3)
	v_add_f32_e32 v28, v28, v42
	v_dual_fma_f32 v42, v66, v34, -v38 :: v_dual_mul_f32 v47, v67, v37
	s_delay_alu instid0(VALU_DEP_3)
	v_add_f32_e32 v48, v45, v43
	ds_load_b128 v[38:41], v29 offset:1056
	v_dual_fmac_f32 v35, v67, v34 :: v_dual_mul_f32 v43, v66, v37
	v_dual_fma_f32 v34, v66, v36, -v47 :: v_dual_add_f32 v24, v24, v42
	s_wait_dscnt 0x1
	v_dual_mul_f32 v37, v57, v31 :: v_dual_mul_f32 v47, v56, v31
	s_delay_alu instid0(VALU_DEP_3) | instskip(NEXT) | instid1(VALU_DEP_3)
	v_dual_fmac_f32 v43, v67, v36 :: v_dual_add_f32 v26, v26, v35
	v_add_f32_e32 v2, v2, v34
	s_delay_alu instid0(VALU_DEP_3) | instskip(SKIP_4) | instid1(VALU_DEP_3)
	v_fma_f32 v42, v56, v30, -v37
	ds_load_2addr_b64 v[34:37], v27 offset0:160 offset1:176
	v_dual_mul_f32 v45, v57, v33 :: v_dual_add_f32 v22, v22, v43
	v_dual_fmac_f32 v47, v57, v30 :: v_dual_mul_f32 v50, v56, v33
	v_add_f32_e32 v49, v44, v42
	v_fma_f32 v51, v56, v32, -v45
	ds_load_b128 v[42:45], v29 offset:1072
	v_add_f32_e32 v46, v46, v47
	s_wait_dscnt 0x2
	v_dual_mul_f32 v52, v39, v31 :: v_dual_fmac_f32 v50, v57, v32
	v_mul_f32_e32 v31, v38, v31
	v_dual_add_f32 v28, v28, v51 :: v_dual_mul_f32 v51, v39, v33
	s_delay_alu instid0(VALU_DEP_3) | instskip(NEXT) | instid1(VALU_DEP_4)
	v_fma_f32 v47, v38, v30, -v52
	v_add_f32_e32 v48, v48, v50
	s_delay_alu instid0(VALU_DEP_4) | instskip(NEXT) | instid1(VALU_DEP_3)
	v_dual_fmac_f32 v31, v39, v30 :: v_dual_mul_f32 v50, v38, v33
	v_dual_fma_f32 v30, v38, v32, -v51 :: v_dual_add_f32 v24, v24, v47
	s_wait_dscnt 0x1
	v_dual_mul_f32 v33, v59, v35 :: v_dual_mul_f32 v38, v58, v35
	s_delay_alu instid0(VALU_DEP_3) | instskip(NEXT) | instid1(VALU_DEP_3)
	v_dual_add_f32 v26, v26, v31 :: v_dual_fmac_f32 v50, v39, v32
	v_dual_add_f32 v2, v2, v30 :: v_dual_mul_f32 v47, v59, v37
	s_delay_alu instid0(VALU_DEP_3)
	v_dual_fma_f32 v39, v58, v34, -v33 :: v_dual_fmac_f32 v38, v59, v34
	ds_load_2addr_b64 v[30:33], v27 offset0:192 offset1:208
	v_add_f32_e32 v22, v22, v50
	v_dual_fma_f32 v47, v58, v36, -v47 :: v_dual_add_f32 v49, v49, v39
	v_mul_f32_e32 v39, v58, v37
	v_dual_add_f32 v46, v46, v38 :: v_dual_mul_f32 v38, v41, v35
	v_mul_f32_e32 v35, v40, v35
	s_delay_alu instid0(VALU_DEP_4) | instskip(NEXT) | instid1(VALU_DEP_3)
	v_dual_add_f32 v28, v28, v47 :: v_dual_mul_f32 v47, v41, v37
	v_dual_fmac_f32 v39, v59, v36 :: v_dual_fma_f32 v38, v40, v34, -v38
	s_delay_alu instid0(VALU_DEP_1) | instskip(NEXT) | instid1(VALU_DEP_3)
	v_dual_fmac_f32 v35, v41, v34 :: v_dual_add_f32 v34, v48, v39
	v_dual_mul_f32 v48, v40, v37 :: v_dual_fma_f32 v37, v40, v36, -v47
	s_delay_alu instid0(VALU_DEP_2) | instskip(SKIP_2) | instid1(VALU_DEP_3)
	v_dual_add_f32 v24, v24, v38 :: v_dual_add_f32 v26, v26, v35
	s_wait_dscnt 0x0
	v_mul_f32_e32 v35, v61, v31
	v_dual_fmac_f32 v48, v41, v36 :: v_dual_add_f32 v2, v2, v37
	ds_load_2addr_b64 v[36:39], v27 offset0:224 offset1:240
	v_dual_mul_f32 v40, v60, v31 :: v_dual_fma_f32 v35, v60, v30, -v35
	v_dual_add_f32 v22, v22, v48 :: v_dual_mul_f32 v41, v61, v33
	s_delay_alu instid0(VALU_DEP_2) | instskip(NEXT) | instid1(VALU_DEP_3)
	v_dual_mul_f32 v47, v60, v33 :: v_dual_fmac_f32 v40, v61, v30
	v_add_f32_e32 v35, v49, v35
	s_delay_alu instid0(VALU_DEP_3) | instskip(NEXT) | instid1(VALU_DEP_3)
	v_dual_mul_f32 v48, v43, v31 :: v_dual_fma_f32 v41, v60, v32, -v41
	v_dual_fmac_f32 v47, v61, v32 :: v_dual_mul_f32 v31, v42, v31
	s_delay_alu instid0(VALU_DEP_4) | instskip(NEXT) | instid1(VALU_DEP_3)
	v_add_f32_e32 v40, v46, v40
	v_dual_fma_f32 v46, v42, v30, -v48 :: v_dual_add_f32 v28, v28, v41
	s_delay_alu instid0(VALU_DEP_3) | instskip(NEXT) | instid1(VALU_DEP_4)
	v_dual_mul_f32 v41, v43, v33 :: v_dual_add_f32 v47, v34, v47
	v_dual_fmac_f32 v31, v43, v30 :: v_dual_mul_f32 v30, v42, v33
	s_delay_alu instid0(VALU_DEP_2) | instskip(SKIP_2) | instid1(VALU_DEP_3)
	v_dual_add_f32 v24, v24, v46 :: v_dual_fma_f32 v33, v42, v32, -v41
	s_wait_dscnt 0x0
	v_dual_mul_f32 v34, v63, v37 :: v_dual_mul_f32 v41, v62, v37
	v_dual_add_f32 v26, v26, v31 :: v_dual_fmac_f32 v30, v43, v32
	s_delay_alu instid0(VALU_DEP_3) | instskip(NEXT) | instid1(VALU_DEP_3)
	v_add_f32_e32 v2, v2, v33
	v_dual_fma_f32 v31, v62, v36, -v34 :: v_dual_mul_f32 v33, v63, v39
	s_delay_alu instid0(VALU_DEP_4) | instskip(NEXT) | instid1(VALU_DEP_2)
	v_dual_fmac_f32 v41, v63, v36 :: v_dual_mul_f32 v42, v62, v39
	v_dual_add_f32 v22, v22, v30 :: v_dual_add_f32 v32, v35, v31
	v_mul_f32_e32 v31, v45, v37
	s_delay_alu instid0(VALU_DEP_3) | instskip(NEXT) | instid1(VALU_DEP_4)
	v_dual_add_f32 v34, v40, v41 :: v_dual_fma_f32 v30, v62, v38, -v33
	v_dual_fmac_f32 v42, v63, v38 :: v_dual_mul_f32 v33, v44, v37
	v_dual_mul_f32 v35, v45, v39 :: v_dual_mul_f32 v37, v44, v39
	s_delay_alu instid0(VALU_DEP_3) | instskip(NEXT) | instid1(VALU_DEP_3)
	v_add_f32_e32 v28, v28, v30
	v_dual_fma_f32 v31, v44, v36, -v31 :: v_dual_fmac_f32 v33, v45, v36
	s_delay_alu instid0(VALU_DEP_3) | instskip(NEXT) | instid1(VALU_DEP_2)
	v_dual_fma_f32 v35, v44, v38, -v35 :: v_dual_fmac_f32 v37, v45, v38
	v_dual_add_f32 v30, v47, v42 :: v_dual_add_f32 v24, v24, v31
	s_delay_alu instid0(VALU_DEP_3) | instskip(NEXT) | instid1(VALU_DEP_3)
	v_add_f32_e32 v26, v26, v33
	v_add_f32_e32 v2, v2, v35
	s_delay_alu instid0(VALU_DEP_4)
	v_add_f32_e32 v22, v22, v37
	s_barrier_signal -1
	s_barrier_wait -1
	s_cbranch_scc0 .LBB383_15
.LBB383_9:                              ;   Parent Loop BB383_6 Depth=1
                                        ; =>  This Inner Loop Header: Depth=2
	v_dual_mov_b32 v36, 0 :: v_dual_add_nc_u32 v31, s27, v23
	v_mov_b32_e32 v37, 0
	s_delay_alu instid0(VALU_DEP_2) | instskip(SKIP_2) | instid1(SALU_CYCLE_1)
	v_cmp_gt_i32_e32 vcc_lo, s9, v31
	s_wait_xcnt 0x0
	s_and_b32 s29, s0, vcc_lo
	s_and_saveexec_b32 s28, s29
	s_cbranch_execz .LBB383_11
; %bb.10:                               ;   in Loop: Header=BB383_9 Depth=2
	flat_load_b64 v[36:37], v[18:19]
.LBB383_11:                             ;   in Loop: Header=BB383_9 Depth=2
	s_wait_xcnt 0x0
	s_or_b32 exec_lo, exec_lo, s28
	v_add_nc_u32_e32 v31, s27, v0
	s_wait_loadcnt_dscnt 0x0
	ds_store_b64 v25, v[36:37]
	v_cmp_le_i32_e32 vcc_lo, s9, v31
	s_or_b32 s28, vcc_lo, s26
	s_delay_alu instid0(SALU_CYCLE_1) | instskip(NEXT) | instid1(SALU_CYCLE_1)
	s_and_saveexec_b32 s29, s28
	s_xor_b32 s28, exec_lo, s29
; %bb.12:                               ;   in Loop: Header=BB383_9 Depth=2
	ds_store_b32 v1, v3
; %bb.13:                               ;   in Loop: Header=BB383_9 Depth=2
	s_or_saveexec_b32 s28, s28
	v_mov_b32_e32 v31, 0
	s_xor_b32 exec_lo, exec_lo, s28
	s_cbranch_execz .LBB383_8
; %bb.14:                               ;   in Loop: Header=BB383_9 Depth=2
	flat_load_b64 v[36:37], v[20:21] offset:-4
	s_wait_loadcnt_dscnt 0x0
	v_xor_b32_e32 v31, 0x80000000, v37
	ds_store_b32 v1, v36
	s_branch .LBB383_8
.LBB383_15:                             ;   in Loop: Header=BB383_6 Depth=1
	s_wait_loadcnt 0x0
	v_add_nc_u64_e32 v[16:17], s[18:19], v[16:17]
	s_delay_alu instid0(VALU_DEP_1)
	v_lshl_add_u64 v[18:19], v[6:7], 3, v[16:17]
	s_and_saveexec_b32 s27, s33
	s_cbranch_execz .LBB383_20
; %bb.16:                               ;   in Loop: Header=BB383_6 Depth=1
	v_mov_b64_e32 v[20:21], s[4:5]
	v_mov_b64_e32 v[36:37], s[10:11]
	s_and_b32 vcc_lo, exec_lo, s22
	s_mov_b32 s28, -1
	s_delay_alu instid0(VALU_DEP_2) | instskip(NEXT) | instid1(VALU_DEP_1)
	v_pk_mul_f32 v[20:21], v[34:35], v[20:21] op_sel_hi:[0,1]
	v_pk_fma_f32 v[34:35], v[32:33], v[36:37], v[20:21] op_sel_hi:[0,1,1]
	v_pk_fma_f32 v[20:21], v[32:33], v[36:37], v[20:21] neg_lo:[0,0,1] neg_hi:[0,0,1]
	v_lshl_add_u64 v[32:33], v[4:5], 3, v[18:19]
	s_delay_alu instid0(VALU_DEP_3)
	v_mov_b32_e32 v21, v35
	s_cbranch_vccz .LBB383_18
; %bb.17:                               ;   in Loop: Header=BB383_6 Depth=1
	flat_load_b64 v[34:35], v[32:33]
	v_mov_b64_e32 v[36:37], s[6:7]
	v_mov_b64_e32 v[38:39], s[2:3]
	s_mov_b32 s28, 0
	s_wait_loadcnt_dscnt 0x0
	s_delay_alu instid0(VALU_DEP_2) | instskip(NEXT) | instid1(VALU_DEP_1)
	v_pk_mul_f32 v[36:37], v[34:35], v[36:37]
	v_pk_fma_f32 v[40:41], v[34:35], v[38:39], v[36:37] op_sel:[0,0,1] op_sel_hi:[1,1,0]
	v_pk_fma_f32 v[34:35], v[34:35], v[38:39], v[36:37] op_sel:[0,0,1] op_sel_hi:[1,1,0] neg_lo:[0,0,1] neg_hi:[0,0,1]
	s_delay_alu instid0(VALU_DEP_2) | instskip(NEXT) | instid1(VALU_DEP_1)
	v_mov_b32_e32 v35, v41
	v_pk_add_f32 v[34:35], v[20:21], v[34:35]
	flat_store_b64 v[32:33], v[34:35]
.LBB383_18:                             ;   in Loop: Header=BB383_6 Depth=1
	s_and_not1_b32 vcc_lo, exec_lo, s28
	s_cbranch_vccnz .LBB383_20
; %bb.19:                               ;   in Loop: Header=BB383_6 Depth=1
	flat_store_b64 v[32:33], v[20:21]
.LBB383_20:                             ;   in Loop: Header=BB383_6 Depth=1
	s_wait_xcnt 0x0
	s_or_b32 exec_lo, exec_lo, s27
	s_and_saveexec_b32 s27, s1
	s_cbranch_execz .LBB383_25
; %bb.21:                               ;   in Loop: Header=BB383_6 Depth=1
	v_mov_b64_e32 v[20:21], s[4:5]
	v_mov_b64_e32 v[32:33], s[10:11]
	v_lshl_add_u64 v[18:19], v[8:9], 3, v[18:19]
	s_and_not1_b32 vcc_lo, exec_lo, s22
	s_mov_b32 s28, -1
	s_delay_alu instid0(VALU_DEP_3) | instskip(NEXT) | instid1(VALU_DEP_1)
	v_pk_mul_f32 v[20:21], v[30:31], v[20:21] op_sel_hi:[0,1]
	v_pk_fma_f32 v[30:31], v[28:29], v[32:33], v[20:21] op_sel_hi:[0,1,1]
	v_pk_fma_f32 v[20:21], v[28:29], v[32:33], v[20:21] neg_lo:[0,0,1] neg_hi:[0,0,1]
	s_delay_alu instid0(VALU_DEP_2)
	v_mov_b32_e32 v21, v31
	s_cbranch_vccnz .LBB383_23
; %bb.22:                               ;   in Loop: Header=BB383_6 Depth=1
	flat_load_b64 v[30:31], v[18:19]
	v_mov_b64_e32 v[32:33], s[6:7]
	v_mov_b64_e32 v[34:35], s[2:3]
	s_mov_b32 s28, 0
	s_wait_loadcnt_dscnt 0x0
	s_delay_alu instid0(VALU_DEP_2) | instskip(NEXT) | instid1(VALU_DEP_1)
	v_pk_mul_f32 v[32:33], v[30:31], v[32:33]
	v_pk_fma_f32 v[36:37], v[30:31], v[34:35], v[32:33] op_sel:[0,0,1] op_sel_hi:[1,1,0]
	v_pk_fma_f32 v[30:31], v[30:31], v[34:35], v[32:33] op_sel:[0,0,1] op_sel_hi:[1,1,0] neg_lo:[0,0,1] neg_hi:[0,0,1]
	s_delay_alu instid0(VALU_DEP_2) | instskip(NEXT) | instid1(VALU_DEP_1)
	v_mov_b32_e32 v31, v37
	v_pk_add_f32 v[30:31], v[20:21], v[30:31]
	flat_store_b64 v[18:19], v[30:31]
.LBB383_23:                             ;   in Loop: Header=BB383_6 Depth=1
	s_and_not1_b32 vcc_lo, exec_lo, s28
	s_cbranch_vccnz .LBB383_25
; %bb.24:                               ;   in Loop: Header=BB383_6 Depth=1
	flat_store_b64 v[18:19], v[20:21]
.LBB383_25:                             ;   in Loop: Header=BB383_6 Depth=1
	s_wait_xcnt 0x0
	s_or_b32 exec_lo, exec_lo, s27
	v_lshl_add_u64 v[16:17], v[10:11], 3, v[16:17]
	s_and_saveexec_b32 s27, s8
	s_cbranch_execz .LBB383_30
; %bb.26:                               ;   in Loop: Header=BB383_6 Depth=1
	v_mov_b64_e32 v[18:19], s[4:5]
	v_mov_b64_e32 v[20:21], s[10:11]
	s_and_not1_b32 vcc_lo, exec_lo, s22
	s_mov_b32 s28, -1
	s_delay_alu instid0(VALU_DEP_2) | instskip(NEXT) | instid1(VALU_DEP_1)
	v_pk_mul_f32 v[18:19], v[26:27], v[18:19] op_sel_hi:[0,1]
	v_pk_fma_f32 v[30:31], v[24:25], v[20:21], v[18:19] op_sel_hi:[0,1,1]
	v_pk_fma_f32 v[18:19], v[24:25], v[20:21], v[18:19] neg_lo:[0,0,1] neg_hi:[0,0,1]
	v_lshl_add_u64 v[20:21], v[4:5], 3, v[16:17]
	s_delay_alu instid0(VALU_DEP_3)
	v_mov_b32_e32 v19, v31
	s_cbranch_vccnz .LBB383_28
; %bb.27:                               ;   in Loop: Header=BB383_6 Depth=1
	flat_load_b64 v[30:31], v[20:21]
	v_mov_b64_e32 v[32:33], s[6:7]
	v_mov_b64_e32 v[34:35], s[2:3]
	s_mov_b32 s28, 0
	s_wait_loadcnt_dscnt 0x0
	s_delay_alu instid0(VALU_DEP_2) | instskip(NEXT) | instid1(VALU_DEP_1)
	v_pk_mul_f32 v[32:33], v[30:31], v[32:33]
	v_pk_fma_f32 v[36:37], v[30:31], v[34:35], v[32:33] op_sel:[0,0,1] op_sel_hi:[1,1,0]
	v_pk_fma_f32 v[30:31], v[30:31], v[34:35], v[32:33] op_sel:[0,0,1] op_sel_hi:[1,1,0] neg_lo:[0,0,1] neg_hi:[0,0,1]
	s_delay_alu instid0(VALU_DEP_2) | instskip(NEXT) | instid1(VALU_DEP_1)
	v_mov_b32_e32 v31, v37
	v_pk_add_f32 v[30:31], v[18:19], v[30:31]
	flat_store_b64 v[20:21], v[30:31]
.LBB383_28:                             ;   in Loop: Header=BB383_6 Depth=1
	s_and_not1_b32 vcc_lo, exec_lo, s28
	s_cbranch_vccnz .LBB383_30
; %bb.29:                               ;   in Loop: Header=BB383_6 Depth=1
	flat_store_b64 v[20:21], v[18:19]
.LBB383_30:                             ;   in Loop: Header=BB383_6 Depth=1
	s_wait_xcnt 0x0
	s_or_b32 exec_lo, exec_lo, s27
	s_and_saveexec_b32 s27, s34
	s_cbranch_execz .LBB383_5
; %bb.31:                               ;   in Loop: Header=BB383_6 Depth=1
	v_mov_b64_e32 v[18:19], s[4:5]
	v_mov_b64_e32 v[20:21], s[10:11]
	v_lshl_add_u64 v[16:17], v[8:9], 3, v[16:17]
	s_and_not1_b32 vcc_lo, exec_lo, s22
	s_mov_b32 s28, -1
	s_delay_alu instid0(VALU_DEP_3) | instskip(NEXT) | instid1(VALU_DEP_1)
	v_pk_mul_f32 v[18:19], v[22:23], v[18:19] op_sel_hi:[0,1]
	v_pk_fma_f32 v[30:31], v[2:3], v[20:21], v[18:19] op_sel_hi:[0,1,1]
	v_pk_fma_f32 v[18:19], v[2:3], v[20:21], v[18:19] neg_lo:[0,0,1] neg_hi:[0,0,1]
	s_delay_alu instid0(VALU_DEP_2)
	v_mov_b32_e32 v19, v31
	s_cbranch_vccnz .LBB383_33
; %bb.32:                               ;   in Loop: Header=BB383_6 Depth=1
	flat_load_b64 v[20:21], v[16:17]
	v_mov_b64_e32 v[30:31], s[6:7]
	v_mov_b64_e32 v[32:33], s[2:3]
	s_mov_b32 s28, 0
	s_wait_loadcnt_dscnt 0x0
	s_delay_alu instid0(VALU_DEP_2) | instskip(NEXT) | instid1(VALU_DEP_1)
	v_pk_mul_f32 v[30:31], v[20:21], v[30:31]
	v_pk_fma_f32 v[34:35], v[20:21], v[32:33], v[30:31] op_sel:[0,0,1] op_sel_hi:[1,1,0]
	v_pk_fma_f32 v[20:21], v[20:21], v[32:33], v[30:31] op_sel:[0,0,1] op_sel_hi:[1,1,0] neg_lo:[0,0,1] neg_hi:[0,0,1]
	s_delay_alu instid0(VALU_DEP_2) | instskip(NEXT) | instid1(VALU_DEP_1)
	v_mov_b32_e32 v21, v35
	v_pk_add_f32 v[20:21], v[18:19], v[20:21]
	flat_store_b64 v[16:17], v[20:21]
.LBB383_33:                             ;   in Loop: Header=BB383_6 Depth=1
	s_and_not1_b32 vcc_lo, exec_lo, s28
	s_cbranch_vccnz .LBB383_5
; %bb.34:                               ;   in Loop: Header=BB383_6 Depth=1
	flat_store_b64 v[16:17], v[18:19]
	s_branch .LBB383_5
.LBB383_35:
	s_sendmsg sendmsg(MSG_DEALLOC_VGPRS)
	s_endpgm
	.section	.rodata,"a",@progbits
	.p2align	6, 0x0
	.amdhsa_kernel _ZL29rocblas_internal_gemmt_kernelIiLi16ELi32ELi8ELc84ELc67ELc85ELb0ELb1E19rocblas_complex_numIfES1_PKPKS1_PKPS1_EviT_T9_T10_S9_lSB_S9_lSA_T11_S9_li
		.amdhsa_group_segment_fixed_size 4096
		.amdhsa_private_segment_fixed_size 0
		.amdhsa_kernarg_size 100
		.amdhsa_user_sgpr_count 2
		.amdhsa_user_sgpr_dispatch_ptr 0
		.amdhsa_user_sgpr_queue_ptr 0
		.amdhsa_user_sgpr_kernarg_segment_ptr 1
		.amdhsa_user_sgpr_dispatch_id 0
		.amdhsa_user_sgpr_kernarg_preload_length 0
		.amdhsa_user_sgpr_kernarg_preload_offset 0
		.amdhsa_user_sgpr_private_segment_size 0
		.amdhsa_wavefront_size32 1
		.amdhsa_uses_dynamic_stack 0
		.amdhsa_enable_private_segment 0
		.amdhsa_system_sgpr_workgroup_id_x 1
		.amdhsa_system_sgpr_workgroup_id_y 1
		.amdhsa_system_sgpr_workgroup_id_z 1
		.amdhsa_system_sgpr_workgroup_info 0
		.amdhsa_system_vgpr_workitem_id 1
		.amdhsa_next_free_vgpr 71
		.amdhsa_next_free_sgpr 38
		.amdhsa_named_barrier_count 0
		.amdhsa_reserve_vcc 1
		.amdhsa_float_round_mode_32 0
		.amdhsa_float_round_mode_16_64 0
		.amdhsa_float_denorm_mode_32 3
		.amdhsa_float_denorm_mode_16_64 3
		.amdhsa_fp16_overflow 0
		.amdhsa_memory_ordered 1
		.amdhsa_forward_progress 1
		.amdhsa_inst_pref_size 26
		.amdhsa_round_robin_scheduling 0
		.amdhsa_exception_fp_ieee_invalid_op 0
		.amdhsa_exception_fp_denorm_src 0
		.amdhsa_exception_fp_ieee_div_zero 0
		.amdhsa_exception_fp_ieee_overflow 0
		.amdhsa_exception_fp_ieee_underflow 0
		.amdhsa_exception_fp_ieee_inexact 0
		.amdhsa_exception_int_div_zero 0
	.end_amdhsa_kernel
	.section	.text._ZL29rocblas_internal_gemmt_kernelIiLi16ELi32ELi8ELc84ELc67ELc85ELb0ELb1E19rocblas_complex_numIfES1_PKPKS1_PKPS1_EviT_T9_T10_S9_lSB_S9_lSA_T11_S9_li,"axG",@progbits,_ZL29rocblas_internal_gemmt_kernelIiLi16ELi32ELi8ELc84ELc67ELc85ELb0ELb1E19rocblas_complex_numIfES1_PKPKS1_PKPS1_EviT_T9_T10_S9_lSB_S9_lSA_T11_S9_li,comdat
.Lfunc_end383:
	.size	_ZL29rocblas_internal_gemmt_kernelIiLi16ELi32ELi8ELc84ELc67ELc85ELb0ELb1E19rocblas_complex_numIfES1_PKPKS1_PKPS1_EviT_T9_T10_S9_lSB_S9_lSA_T11_S9_li, .Lfunc_end383-_ZL29rocblas_internal_gemmt_kernelIiLi16ELi32ELi8ELc84ELc67ELc85ELb0ELb1E19rocblas_complex_numIfES1_PKPKS1_PKPS1_EviT_T9_T10_S9_lSB_S9_lSA_T11_S9_li
                                        ; -- End function
	.set _ZL29rocblas_internal_gemmt_kernelIiLi16ELi32ELi8ELc84ELc67ELc85ELb0ELb1E19rocblas_complex_numIfES1_PKPKS1_PKPS1_EviT_T9_T10_S9_lSB_S9_lSA_T11_S9_li.num_vgpr, 71
	.set _ZL29rocblas_internal_gemmt_kernelIiLi16ELi32ELi8ELc84ELc67ELc85ELb0ELb1E19rocblas_complex_numIfES1_PKPKS1_PKPS1_EviT_T9_T10_S9_lSB_S9_lSA_T11_S9_li.num_agpr, 0
	.set _ZL29rocblas_internal_gemmt_kernelIiLi16ELi32ELi8ELc84ELc67ELc85ELb0ELb1E19rocblas_complex_numIfES1_PKPKS1_PKPS1_EviT_T9_T10_S9_lSB_S9_lSA_T11_S9_li.numbered_sgpr, 38
	.set _ZL29rocblas_internal_gemmt_kernelIiLi16ELi32ELi8ELc84ELc67ELc85ELb0ELb1E19rocblas_complex_numIfES1_PKPKS1_PKPS1_EviT_T9_T10_S9_lSB_S9_lSA_T11_S9_li.num_named_barrier, 0
	.set _ZL29rocblas_internal_gemmt_kernelIiLi16ELi32ELi8ELc84ELc67ELc85ELb0ELb1E19rocblas_complex_numIfES1_PKPKS1_PKPS1_EviT_T9_T10_S9_lSB_S9_lSA_T11_S9_li.private_seg_size, 0
	.set _ZL29rocblas_internal_gemmt_kernelIiLi16ELi32ELi8ELc84ELc67ELc85ELb0ELb1E19rocblas_complex_numIfES1_PKPKS1_PKPS1_EviT_T9_T10_S9_lSB_S9_lSA_T11_S9_li.uses_vcc, 1
	.set _ZL29rocblas_internal_gemmt_kernelIiLi16ELi32ELi8ELc84ELc67ELc85ELb0ELb1E19rocblas_complex_numIfES1_PKPKS1_PKPS1_EviT_T9_T10_S9_lSB_S9_lSA_T11_S9_li.uses_flat_scratch, 0
	.set _ZL29rocblas_internal_gemmt_kernelIiLi16ELi32ELi8ELc84ELc67ELc85ELb0ELb1E19rocblas_complex_numIfES1_PKPKS1_PKPS1_EviT_T9_T10_S9_lSB_S9_lSA_T11_S9_li.has_dyn_sized_stack, 0
	.set _ZL29rocblas_internal_gemmt_kernelIiLi16ELi32ELi8ELc84ELc67ELc85ELb0ELb1E19rocblas_complex_numIfES1_PKPKS1_PKPS1_EviT_T9_T10_S9_lSB_S9_lSA_T11_S9_li.has_recursion, 0
	.set _ZL29rocblas_internal_gemmt_kernelIiLi16ELi32ELi8ELc84ELc67ELc85ELb0ELb1E19rocblas_complex_numIfES1_PKPKS1_PKPS1_EviT_T9_T10_S9_lSB_S9_lSA_T11_S9_li.has_indirect_call, 0
	.section	.AMDGPU.csdata,"",@progbits
; Kernel info:
; codeLenInByte = 3296
; TotalNumSgprs: 40
; NumVgprs: 71
; ScratchSize: 0
; MemoryBound: 0
; FloatMode: 240
; IeeeMode: 1
; LDSByteSize: 4096 bytes/workgroup (compile time only)
; SGPRBlocks: 0
; VGPRBlocks: 4
; NumSGPRsForWavesPerEU: 40
; NumVGPRsForWavesPerEU: 71
; NamedBarCnt: 0
; Occupancy: 12
; WaveLimiterHint : 1
; COMPUTE_PGM_RSRC2:SCRATCH_EN: 0
; COMPUTE_PGM_RSRC2:USER_SGPR: 2
; COMPUTE_PGM_RSRC2:TRAP_HANDLER: 0
; COMPUTE_PGM_RSRC2:TGID_X_EN: 1
; COMPUTE_PGM_RSRC2:TGID_Y_EN: 1
; COMPUTE_PGM_RSRC2:TGID_Z_EN: 1
; COMPUTE_PGM_RSRC2:TIDIG_COMP_CNT: 1
	.section	.text._ZL29rocblas_internal_gemmt_kernelIiLi16ELi32ELi8ELc67ELc78ELc85ELb1ELb0E19rocblas_complex_numIfES1_PKPKS1_PKPS1_EviT_T9_T10_S9_lSB_S9_lSA_T11_S9_li,"axG",@progbits,_ZL29rocblas_internal_gemmt_kernelIiLi16ELi32ELi8ELc67ELc78ELc85ELb1ELb0E19rocblas_complex_numIfES1_PKPKS1_PKPS1_EviT_T9_T10_S9_lSB_S9_lSA_T11_S9_li,comdat
	.globl	_ZL29rocblas_internal_gemmt_kernelIiLi16ELi32ELi8ELc67ELc78ELc85ELb1ELb0E19rocblas_complex_numIfES1_PKPKS1_PKPS1_EviT_T9_T10_S9_lSB_S9_lSA_T11_S9_li ; -- Begin function _ZL29rocblas_internal_gemmt_kernelIiLi16ELi32ELi8ELc67ELc78ELc85ELb1ELb0E19rocblas_complex_numIfES1_PKPKS1_PKPS1_EviT_T9_T10_S9_lSB_S9_lSA_T11_S9_li
	.p2align	8
	.type	_ZL29rocblas_internal_gemmt_kernelIiLi16ELi32ELi8ELc67ELc78ELc85ELb1ELb0E19rocblas_complex_numIfES1_PKPKS1_PKPS1_EviT_T9_T10_S9_lSB_S9_lSA_T11_S9_li,@function
_ZL29rocblas_internal_gemmt_kernelIiLi16ELi32ELi8ELc67ELc78ELc85ELb1ELb0E19rocblas_complex_numIfES1_PKPKS1_PKPS1_EviT_T9_T10_S9_lSB_S9_lSA_T11_S9_li: ; @_ZL29rocblas_internal_gemmt_kernelIiLi16ELi32ELi8ELc67ELc78ELc85ELb1ELb0E19rocblas_complex_numIfES1_PKPKS1_PKPS1_EviT_T9_T10_S9_lSB_S9_lSA_T11_S9_li
; %bb.0:
	s_clause 0x1
	s_load_b64 s[6:7], s[0:1], 0x40
	s_load_b128 s[8:11], s[0:1], 0x0
	s_wait_kmcnt 0x0
	s_cmp_neq_f32 s6, 1.0
	s_cselect_b32 s2, -1, 0
	s_and_b32 s3, s7, 0x7fffffff
	s_delay_alu instid0(SALU_CYCLE_1) | instskip(SKIP_3) | instid1(SALU_CYCLE_1)
	s_cmp_eq_u32 s3, 0
	s_cselect_b32 s23, -1, 0
	s_cmp_lg_u32 s3, 0
	s_cselect_b32 s3, -1, 0
	s_or_b32 s2, s2, s3
	s_delay_alu instid0(SALU_CYCLE_1)
	s_and_b32 vcc_lo, exec_lo, s2
	s_cbranch_vccnz .LBB384_2
; %bb.1:
	s_cmp_lg_u32 s9, 0
	s_cselect_b32 s2, -1, 0
	s_cmp_neq_f32 s10, 0
	s_cselect_b32 s3, -1, 0
	s_cmp_neq_f32 s11, 0
	s_cselect_b32 s4, -1, 0
	s_delay_alu instid0(SALU_CYCLE_1) | instskip(NEXT) | instid1(SALU_CYCLE_1)
	s_or_b32 s3, s3, s4
	s_and_b32 s2, s2, s3
.LBB384_2:
	s_delay_alu instid0(SALU_CYCLE_1)
	s_and_not1_b32 vcc_lo, exec_lo, s2
	s_cbranch_vccnz .LBB384_35
; %bb.3:
	s_load_b32 s19, s[0:1], 0x60
	s_bfe_u32 s2, ttmp6, 0x40014
	s_lshr_b32 s3, ttmp7, 16
	s_add_co_i32 s2, s2, 1
	s_bfe_u32 s5, ttmp6, 0x40008
	s_mul_i32 s2, s3, s2
	s_getreg_b32 s4, hwreg(HW_REG_IB_STS2, 6, 4)
	s_add_co_i32 s5, s5, s2
	s_cmp_eq_u32 s4, 0
	s_mov_b32 s25, 0
	s_cselect_b32 s24, s3, s5
	s_wait_kmcnt 0x0
	s_cmp_ge_u32 s24, s19
	s_cbranch_scc1 .LBB384_35
; %bb.4:
	s_clause 0x2
	s_load_b96 s[16:18], s[0:1], 0x10
	s_load_b32 s2, s[0:1], 0x30
	s_load_b96 s[20:22], s[0:1], 0x48
	v_and_b32_e32 v4, 0x3ff, v0
	v_bfe_u32 v5, v0, 10, 10
	s_clause 0x2
	s_load_b128 s[12:15], s[0:1], 0x20
	s_load_b64 s[26:27], s[0:1], 0x38
	s_load_b64 s[28:29], s[0:1], 0x58
	s_wait_xcnt 0x0
	s_bfe_u32 s1, ttmp6, 0x4000c
	s_bfe_u32 s3, ttmp6, 0x40010
	s_and_b32 s30, ttmp7, 0xffff
	s_add_co_i32 s1, s1, 1
	s_add_co_i32 s3, s3, 1
	v_lshl_add_u32 v1, v5, 4, v4
	s_and_b32 s0, ttmp6, 15
	s_mul_i32 s31, ttmp9, s1
	s_mul_i32 s33, s30, s3
	s_bfe_u32 s34, ttmp6, 0x40004
	s_add_co_i32 s0, s0, s31
	s_add_co_i32 s34, s34, s33
	v_dual_lshrrev_b32 v21, 5, v1 :: v_dual_bitop2_b32 v3, 31, v1 bitop3:0x40
	s_wait_kmcnt 0x0
	s_ashr_i32 s1, s18, 31
	s_ashr_i32 s3, s2, 31
	;; [unrolled: 1-line block ×3, first 2 shown]
	s_cmp_eq_u32 s4, 0
	v_dual_lshrrev_b32 v6, 3, v1 :: v_dual_bitop2_b32 v23, 7, v0 bitop3:0x40
	s_cselect_b32 s0, ttmp9, s0
	s_cselect_b32 s4, s30, s34
	s_lshl_b32 s30, s0, 5
	s_lshl_b32 s31, s4, 5
	s_delay_alu instid0(SALU_CYCLE_1) | instskip(SKIP_2) | instid1(VALU_DEP_2)
	v_dual_add_nc_u32 v2, s31, v6 :: v_dual_bitop2_b32 v0, s30, v3 bitop3:0x54
	v_dual_lshlrev_b32 v3, 3, v3 :: v_dual_add_nc_u32 v10, s31, v5
	s_mov_b32 s0, s18
	v_dual_ashrrev_i32 v1, 31, v0 :: v_dual_lshlrev_b32 v12, 3, v23
	s_delay_alu instid0(VALU_DEP_2) | instskip(SKIP_1) | instid1(VALU_DEP_3)
	v_lshl_or_b32 v25, v21, 8, v3
	v_dual_ashrrev_i32 v3, 31, v2 :: v_dual_lshlrev_b32 v29, 3, v4
	v_mul_u64_e32 v[8:9], s[0:1], v[0:1]
	v_add_nc_u32_e32 v16, 16, v10
	s_cmp_neq_f32 s10, 0
	s_delay_alu instid0(VALU_DEP_3)
	v_mul_u64_e32 v[14:15], s[2:3], v[2:3]
	v_cmp_gt_i32_e32 vcc_lo, s8, v0
	v_dual_add_nc_u32 v0, s30, v4 :: v_dual_ashrrev_i32 v11, 31, v10
	v_ashrrev_i32_e32 v17, 31, v16
	s_cselect_b32 s33, -1, 0
	s_cmp_neq_f32 s11, 0
	s_mov_b32 s4, s22
	v_lshl_or_b32 v1, v6, 6, v12
	v_cmp_gt_i32_e64 s0, s8, v2
	v_mul_u64_e32 v[2:3], s[4:5], v[10:11]
	v_mul_u64_e32 v[6:7], s[4:5], v[16:17]
	s_cselect_b32 s18, -1, 0
	v_add_nc_u32_e32 v4, 16, v0
	s_or_b32 s33, s33, s18
	s_cmp_gt_i32 s9, 0
	v_cmp_gt_i32_e64 s1, s8, v10
	s_cselect_b32 s34, -1, 0
	s_cmp_neq_f32 s6, 0
	v_cmp_le_i32_e64 s2, v0, v10
	v_add_nc_u32_e32 v27, 0x800, v1
	v_ashrrev_i32_e32 v1, 31, v0
	s_cselect_b32 s3, -1, 0
	s_xor_b32 s18, s23, -1
	v_cmp_le_i32_e64 s4, v0, v16
	s_or_b32 s18, s3, s18
	v_cmp_gt_i32_e64 s3, s8, v16
	s_lshl_b64 s[12:13], s[12:13], 3
	v_cmp_le_i32_e64 s5, v4, v16
	s_and_b32 s22, s1, s2
	v_cmp_le_i32_e64 s2, v4, v10
	v_lshl_add_u64 v[10:11], v[8:9], 3, s[12:13]
	v_dual_mov_b32 v9, 0 :: v_dual_lshlrev_b32 v8, 3, v21
	s_and_b32 s8, s3, s4
	s_and_b32 s23, s3, s5
	s_lshl_b64 s[4:5], s[26:27], 3
	v_lshl_add_u32 v33, v5, 6, 0x800
	v_dual_ashrrev_i32 v5, 31, v4 :: v_dual_mov_b32 v13, v9
	v_add_nc_u64_e32 v[10:11], v[10:11], v[8:9]
	v_lshl_add_u64 v[14:15], v[14:15], 3, s[4:5]
	s_and_b32 s1, s1, s2
	s_mov_b32 s2, s6
	s_mov_b32 s3, s6
	;; [unrolled: 1-line block ×3, first 2 shown]
	v_add_nc_u64_e32 v[12:13], v[14:15], v[12:13]
	v_or_b32_e32 v10, 4, v10
	s_mov_b32 s4, s11
	s_and_b32 s26, s33, s34
	s_mov_b32 s5, s10
	s_xor_b32 s27, vcc_lo, -1
	s_lshl_b64 s[12:13], s[28:29], 3
	s_branch .LBB384_6
.LBB384_5:                              ;   in Loop: Header=BB384_6 Depth=1
	s_wait_xcnt 0x0
	s_or_b32 exec_lo, exec_lo, s28
	s_add_co_i32 s24, s24, 0x10000
	s_delay_alu instid0(SALU_CYCLE_1)
	s_cmp_lt_u32 s24, s19
	s_cbranch_scc0 .LBB384_35
.LBB384_6:                              ; =>This Loop Header: Depth=1
                                        ;     Child Loop BB384_9 Depth 2
	v_dual_mov_b32 v8, s24 :: v_dual_mov_b32 v30, 0
	v_dual_mov_b32 v32, 0 :: v_dual_mov_b32 v26, 0
	;; [unrolled: 1-line block ×3, first 2 shown]
	global_load_b64 v[14:15], v8, s[20:21] scale_offset
	s_wait_xcnt 0x0
	v_dual_mov_b32 v24, 0 :: v_dual_mov_b32 v8, 0
	v_mov_b32_e32 v20, 0
	s_and_not1_b32 vcc_lo, exec_lo, s26
	s_cbranch_vccnz .LBB384_15
; %bb.7:                                ;   in Loop: Header=BB384_6 Depth=1
	s_lshl_b64 s[28:29], s[24:25], 3
	v_dual_mov_b32 v20, 0 :: v_dual_mov_b32 v8, 0
	s_add_nc_u64 s[30:31], s[16:17], s[28:29]
	s_add_nc_u64 s[28:29], s[14:15], s[28:29]
	s_clause 0x1
	global_load_b64 v[16:17], v9, s[30:31]
	global_load_b64 v[18:19], v9, s[28:29]
	v_dual_mov_b32 v24, 0 :: v_dual_mov_b32 v22, 0
	v_dual_mov_b32 v28, 0 :: v_dual_mov_b32 v26, 0
	;; [unrolled: 1-line block ×3, first 2 shown]
	s_wait_xcnt 0x0
	s_mov_b32 s28, 0
	s_wait_loadcnt 0x1
	v_add_nc_u64_e32 v[16:17], v[16:17], v[10:11]
	s_wait_loadcnt 0x0
	v_add_nc_u64_e32 v[18:19], v[18:19], v[12:13]
	s_branch .LBB384_9
.LBB384_8:                              ;   in Loop: Header=BB384_9 Depth=2
	s_wait_xcnt 0x0
	s_or_b32 exec_lo, exec_lo, s29
	s_wait_loadcnt_dscnt 0x0
	ds_store_b64 v27, v[34:35]
	s_wait_dscnt 0x0
	s_barrier_signal -1
	s_barrier_wait -1
	ds_load_b128 v[34:37], v33
	ds_load_2addr_b64 v[38:41], v29 offset1:16
	ds_load_b128 v[42:45], v33 offset:1024
	ds_load_b128 v[46:49], v33 offset:16
	ds_load_2addr_b64 v[50:53], v29 offset0:32 offset1:48
	ds_load_b128 v[54:57], v33 offset:32
	ds_load_b128 v[58:61], v33 offset:48
	;; [unrolled: 1-line block ×3, first 2 shown]
	v_add_nc_u64_e32 v[16:17], 64, v[16:17]
	v_add_nc_u64_e32 v[18:19], 64, v[18:19]
	s_add_co_i32 s28, s28, 8
	s_delay_alu instid0(SALU_CYCLE_1)
	s_cmp_lt_i32 s28, s9
	s_wait_dscnt 0x6
	v_dual_mul_f32 v31, v35, v39 :: v_dual_mul_f32 v66, v34, v39
	v_dual_mul_f32 v67, v35, v41 :: v_dual_mul_f32 v68, v34, v41
	s_wait_dscnt 0x5
	v_dual_mul_f32 v69, v43, v39 :: v_dual_mul_f32 v39, v42, v39
	v_dual_mul_f32 v70, v43, v41 :: v_dual_mul_f32 v71, v42, v41
	v_dual_fma_f32 v31, v34, v38, -v31 :: v_dual_fmac_f32 v66, v35, v38
	v_dual_fma_f32 v34, v34, v40, -v67 :: v_dual_fmac_f32 v68, v35, v40
	s_delay_alu instid0(VALU_DEP_4) | instskip(NEXT) | instid1(VALU_DEP_4)
	v_dual_fma_f32 v35, v42, v38, -v69 :: v_dual_fmac_f32 v39, v43, v38
	v_fma_f32 v38, v42, v40, -v70
	s_delay_alu instid0(VALU_DEP_3) | instskip(SKIP_1) | instid1(VALU_DEP_4)
	v_dual_add_f32 v30, v30, v31 :: v_dual_add_f32 v28, v28, v68
	v_add_f32_e32 v31, v32, v66
	v_dual_add_f32 v26, v26, v34 :: v_dual_add_f32 v24, v24, v39
	v_dual_add_f32 v22, v22, v35 :: v_dual_fmac_f32 v71, v43, v40
	s_wait_dscnt 0x3
	v_dual_mul_f32 v32, v37, v51 :: v_dual_add_f32 v8, v8, v38
	ds_load_2addr_b64 v[38:41], v29 offset0:64 offset1:80
	v_dual_mul_f32 v34, v36, v51 :: v_dual_mul_f32 v35, v37, v53
	v_add_f32_e32 v20, v20, v71
	v_dual_fma_f32 v32, v36, v50, -v32 :: v_dual_mul_f32 v42, v36, v53
	s_delay_alu instid0(VALU_DEP_1) | instskip(NEXT) | instid1(VALU_DEP_1)
	v_dual_fmac_f32 v34, v37, v50 :: v_dual_add_f32 v30, v30, v32
	v_dual_fma_f32 v32, v36, v52, -v35 :: v_dual_add_f32 v31, v31, v34
	v_mul_f32_e32 v35, v45, v51
	s_delay_alu instid0(VALU_DEP_4) | instskip(NEXT) | instid1(VALU_DEP_2)
	v_dual_fmac_f32 v42, v37, v52 :: v_dual_mul_f32 v34, v44, v51
	v_dual_add_f32 v26, v26, v32 :: v_dual_fma_f32 v32, v44, v50, -v35
	s_delay_alu instid0(VALU_DEP_2) | instskip(NEXT) | instid1(VALU_DEP_3)
	v_dual_mul_f32 v35, v45, v53 :: v_dual_add_f32 v28, v28, v42
	v_dual_fmac_f32 v34, v45, v50 :: v_dual_mul_f32 v42, v44, v53
	s_delay_alu instid0(VALU_DEP_3) | instskip(SKIP_1) | instid1(VALU_DEP_3)
	v_add_f32_e32 v22, v22, v32
	s_wait_dscnt 0x0
	v_dual_fma_f32 v32, v44, v52, -v35 :: v_dual_mul_f32 v35, v47, v39
	s_delay_alu instid0(VALU_DEP_3) | instskip(SKIP_1) | instid1(VALU_DEP_3)
	v_dual_add_f32 v24, v24, v34 :: v_dual_mul_f32 v43, v46, v39
	v_fmac_f32_e32 v42, v45, v52
	v_dual_add_f32 v8, v8, v32 :: v_dual_fma_f32 v32, v46, v38, -v35
	ds_load_2addr_b64 v[34:37], v29 offset0:96 offset1:112
	v_dual_mul_f32 v44, v47, v41 :: v_dual_fmac_f32 v43, v47, v38
	v_dual_add_f32 v20, v20, v42 :: v_dual_add_f32 v30, v30, v32
	s_delay_alu instid0(VALU_DEP_2) | instskip(NEXT) | instid1(VALU_DEP_3)
	v_dual_mul_f32 v32, v46, v41 :: v_dual_fma_f32 v42, v46, v40, -v44
	v_add_f32_e32 v31, v31, v43
	v_dual_mul_f32 v43, v63, v39 :: v_dual_mul_f32 v39, v62, v39
	s_delay_alu instid0(VALU_DEP_3) | instskip(NEXT) | instid1(VALU_DEP_2)
	v_dual_fmac_f32 v32, v47, v40 :: v_dual_add_f32 v26, v26, v42
	v_dual_mul_f32 v42, v63, v41 :: v_dual_fma_f32 v43, v62, v38, -v43
	s_delay_alu instid0(VALU_DEP_3) | instskip(NEXT) | instid1(VALU_DEP_3)
	v_dual_fmac_f32 v39, v63, v38 :: v_dual_mul_f32 v44, v62, v41
	v_add_f32_e32 v28, v28, v32
	s_delay_alu instid0(VALU_DEP_3) | instskip(NEXT) | instid1(VALU_DEP_4)
	v_fma_f32 v32, v62, v40, -v42
	v_add_f32_e32 v22, v22, v43
	s_delay_alu instid0(VALU_DEP_4) | instskip(SKIP_1) | instid1(VALU_DEP_3)
	v_dual_add_f32 v24, v24, v39 :: v_dual_fmac_f32 v44, v63, v40
	s_wait_dscnt 0x0
	v_dual_mul_f32 v42, v49, v35 :: v_dual_add_f32 v8, v8, v32
	ds_load_2addr_b64 v[38:41], v29 offset0:128 offset1:144
	v_dual_mul_f32 v32, v48, v35 :: v_dual_mul_f32 v43, v49, v37
	v_dual_fma_f32 v42, v48, v34, -v42 :: v_dual_mul_f32 v46, v48, v37
	s_delay_alu instid0(VALU_DEP_2) | instskip(NEXT) | instid1(VALU_DEP_2)
	v_dual_fmac_f32 v32, v49, v34 :: v_dual_add_f32 v20, v20, v44
	v_dual_add_f32 v30, v30, v42 :: v_dual_fma_f32 v43, v48, v36, -v43
	s_delay_alu instid0(VALU_DEP_2) | instskip(NEXT) | instid1(VALU_DEP_4)
	v_dual_mul_f32 v42, v65, v35 :: v_dual_add_f32 v31, v31, v32
	v_dual_fmac_f32 v46, v49, v36 :: v_dual_mul_f32 v32, v64, v35
	s_delay_alu instid0(VALU_DEP_2) | instskip(NEXT) | instid1(VALU_DEP_2)
	v_dual_add_f32 v26, v26, v43 :: v_dual_fma_f32 v35, v64, v34, -v42
	v_dual_mul_f32 v47, v65, v37 :: v_dual_add_f32 v28, v28, v46
	ds_load_b128 v[42:45], v33 offset:1056
	v_dual_fmac_f32 v32, v65, v34 :: v_dual_mul_f32 v46, v64, v37
	v_dual_fma_f32 v34, v64, v36, -v47 :: v_dual_add_f32 v22, v22, v35
	s_wait_dscnt 0x1
	s_delay_alu instid0(VALU_DEP_2) | instskip(NEXT) | instid1(VALU_DEP_2)
	v_dual_mul_f32 v35, v55, v39 :: v_dual_add_f32 v24, v24, v32
	v_dual_fmac_f32 v46, v65, v36 :: v_dual_add_f32 v8, v8, v34
	s_delay_alu instid0(VALU_DEP_2) | instskip(SKIP_3) | instid1(VALU_DEP_2)
	v_dual_mul_f32 v32, v54, v39 :: v_dual_fma_f32 v47, v54, v38, -v35
	ds_load_2addr_b64 v[34:37], v29 offset0:160 offset1:176
	v_dual_mul_f32 v48, v55, v41 :: v_dual_add_f32 v20, v20, v46
	v_dual_fmac_f32 v32, v55, v38 :: v_dual_add_f32 v30, v30, v47
	v_dual_mul_f32 v50, v54, v41 :: v_dual_fma_f32 v51, v54, v40, -v48
	ds_load_b128 v[46:49], v33 offset:1072
	v_add_f32_e32 v31, v31, v32
	s_wait_dscnt 0x2
	v_dual_mul_f32 v52, v43, v39 :: v_dual_mul_f32 v32, v42, v39
	v_dual_fmac_f32 v50, v55, v40 :: v_dual_add_f32 v26, v26, v51
	s_delay_alu instid0(VALU_DEP_2) | instskip(NEXT) | instid1(VALU_DEP_2)
	v_dual_fma_f32 v39, v42, v38, -v52 :: v_dual_mul_f32 v51, v43, v41
	v_add_f32_e32 v28, v28, v50
	s_delay_alu instid0(VALU_DEP_4) | instskip(NEXT) | instid1(VALU_DEP_3)
	v_dual_fmac_f32 v32, v43, v38 :: v_dual_mul_f32 v50, v42, v41
	v_add_f32_e32 v22, v22, v39
	s_wait_dscnt 0x1
	v_dual_fma_f32 v38, v42, v40, -v51 :: v_dual_mul_f32 v39, v57, v35
	s_delay_alu instid0(VALU_DEP_3) | instskip(SKIP_1) | instid1(VALU_DEP_3)
	v_add_f32_e32 v24, v24, v32
	v_dual_fmac_f32 v50, v43, v40 :: v_dual_mul_f32 v32, v56, v35
	v_dual_add_f32 v8, v8, v38 :: v_dual_mul_f32 v43, v57, v37
	s_delay_alu instid0(VALU_DEP_4) | instskip(SKIP_4) | instid1(VALU_DEP_3)
	v_fma_f32 v42, v56, v34, -v39
	ds_load_2addr_b64 v[38:41], v29 offset0:192 offset1:208
	v_fmac_f32_e32 v32, v57, v34
	v_add_f32_e32 v20, v20, v50
	v_dual_fma_f32 v43, v56, v36, -v43 :: v_dual_add_f32 v30, v30, v42
	v_dual_mul_f32 v42, v56, v37 :: v_dual_add_f32 v31, v31, v32
	v_dual_mul_f32 v32, v45, v35 :: v_dual_mul_f32 v35, v44, v35
	s_delay_alu instid0(VALU_DEP_3) | instskip(NEXT) | instid1(VALU_DEP_2)
	v_dual_add_f32 v26, v26, v43 :: v_dual_mul_f32 v43, v45, v37
	v_dual_fmac_f32 v42, v57, v36 :: v_dual_fma_f32 v32, v44, v34, -v32
	s_delay_alu instid0(VALU_DEP_3) | instskip(NEXT) | instid1(VALU_DEP_3)
	v_fmac_f32_e32 v35, v45, v34
	v_fma_f32 v34, v44, v36, -v43
	s_delay_alu instid0(VALU_DEP_3) | instskip(SKIP_1) | instid1(VALU_DEP_4)
	v_dual_add_f32 v28, v28, v42 :: v_dual_add_f32 v22, v22, v32
	v_mul_f32_e32 v42, v44, v37
	v_add_f32_e32 v24, v24, v35
	s_wait_dscnt 0x0
	v_dual_mul_f32 v32, v59, v39 :: v_dual_add_f32 v8, v8, v34
	s_delay_alu instid0(VALU_DEP_3) | instskip(SKIP_4) | instid1(VALU_DEP_3)
	v_dual_mul_f32 v43, v58, v39 :: v_dual_fmac_f32 v42, v45, v36
	ds_load_2addr_b64 v[34:37], v29 offset0:224 offset1:240
	v_dual_fma_f32 v32, v58, v38, -v32 :: v_dual_mul_f32 v44, v58, v41
	v_fmac_f32_e32 v43, v59, v38
	v_dual_add_f32 v20, v20, v42 :: v_dual_mul_f32 v42, v59, v41
	v_dual_add_f32 v30, v30, v32 :: v_dual_mul_f32 v32, v47, v39
	s_delay_alu instid0(VALU_DEP_3) | instskip(SKIP_1) | instid1(VALU_DEP_4)
	v_add_f32_e32 v31, v31, v43
	v_dual_fmac_f32 v44, v59, v40 :: v_dual_mul_f32 v39, v46, v39
	v_fma_f32 v42, v58, v40, -v42
	s_delay_alu instid0(VALU_DEP_4) | instskip(SKIP_1) | instid1(VALU_DEP_3)
	v_fma_f32 v32, v46, v38, -v32
	s_wait_dscnt 0x0
	v_add_f32_e32 v28, v28, v44
	s_barrier_signal -1
	v_dual_add_f32 v26, v26, v42 :: v_dual_mul_f32 v42, v47, v41
	v_dual_fmac_f32 v39, v47, v38 :: v_dual_add_f32 v22, v22, v32
	v_dual_mul_f32 v32, v46, v41 :: v_dual_mul_f32 v41, v61, v35
	s_delay_alu instid0(VALU_DEP_3) | instskip(NEXT) | instid1(VALU_DEP_2)
	v_dual_fma_f32 v38, v46, v40, -v42 :: v_dual_mul_f32 v42, v60, v35
	v_dual_add_f32 v24, v24, v39 :: v_dual_fmac_f32 v32, v47, v40
	s_delay_alu instid0(VALU_DEP_2) | instskip(NEXT) | instid1(VALU_DEP_3)
	v_dual_mul_f32 v39, v61, v37 :: v_dual_add_f32 v8, v8, v38
	v_dual_fma_f32 v38, v60, v34, -v41 :: v_dual_fmac_f32 v42, v61, v34
	v_mul_f32_e32 v40, v60, v37
	s_delay_alu instid0(VALU_DEP_4) | instskip(SKIP_1) | instid1(VALU_DEP_3)
	v_add_f32_e32 v20, v20, v32
	s_barrier_wait -1
	v_add_f32_e32 v30, v30, v38
	v_dual_add_f32 v32, v31, v42 :: v_dual_fma_f32 v31, v60, v36, -v39
	v_fmac_f32_e32 v40, v61, v36
	v_dual_mul_f32 v38, v49, v35 :: v_dual_mul_f32 v35, v48, v35
	v_dual_mul_f32 v39, v49, v37 :: v_dual_mul_f32 v37, v48, v37
	s_delay_alu instid0(VALU_DEP_2) | instskip(NEXT) | instid1(VALU_DEP_3)
	v_dual_add_f32 v26, v26, v31 :: v_dual_fma_f32 v31, v48, v34, -v38
	v_fmac_f32_e32 v35, v49, v34
	s_delay_alu instid0(VALU_DEP_3) | instskip(NEXT) | instid1(VALU_DEP_3)
	v_dual_fma_f32 v34, v48, v36, -v39 :: v_dual_fmac_f32 v37, v49, v36
	v_dual_add_f32 v28, v28, v40 :: v_dual_add_f32 v22, v22, v31
	s_delay_alu instid0(VALU_DEP_3) | instskip(NEXT) | instid1(VALU_DEP_3)
	v_add_f32_e32 v24, v24, v35
	v_add_f32_e32 v8, v8, v34
	s_delay_alu instid0(VALU_DEP_4)
	v_add_f32_e32 v20, v20, v37
	s_cbranch_scc0 .LBB384_15
.LBB384_9:                              ;   Parent Loop BB384_6 Depth=1
                                        ; =>  This Inner Loop Header: Depth=2
	v_add_nc_u32_e32 v31, s28, v21
	s_delay_alu instid0(VALU_DEP_1) | instskip(SKIP_1) | instid1(SALU_CYCLE_1)
	v_cmp_le_i32_e32 vcc_lo, s9, v31
	s_or_b32 s29, s27, vcc_lo
	s_and_saveexec_b32 s30, s29
	s_delay_alu instid0(SALU_CYCLE_1)
	s_xor_b32 s29, exec_lo, s30
; %bb.10:                               ;   in Loop: Header=BB384_9 Depth=2
	ds_store_b32 v25, v9
; %bb.11:                               ;   in Loop: Header=BB384_9 Depth=2
	s_or_saveexec_b32 s29, s29
	v_dual_mov_b32 v34, 0 :: v_dual_mov_b32 v31, 0
	s_xor_b32 exec_lo, exec_lo, s29
	s_cbranch_execz .LBB384_13
; %bb.12:                               ;   in Loop: Header=BB384_9 Depth=2
	flat_load_b64 v[36:37], v[16:17] offset:-4
	s_wait_loadcnt_dscnt 0x0
	v_xor_b32_e32 v31, 0x80000000, v37
	ds_store_b32 v25, v36
.LBB384_13:                             ;   in Loop: Header=BB384_9 Depth=2
	s_wait_xcnt 0x0
	s_or_b32 exec_lo, exec_lo, s29
	v_add_nc_u32_e32 v35, s28, v23
	ds_store_b32 v25, v31 offset:4
	v_cmp_gt_i32_e32 vcc_lo, s9, v35
	v_mov_b32_e32 v35, 0
	s_and_b32 s30, vcc_lo, s0
	s_delay_alu instid0(SALU_CYCLE_1)
	s_and_saveexec_b32 s29, s30
	s_cbranch_execz .LBB384_8
; %bb.14:                               ;   in Loop: Header=BB384_9 Depth=2
	flat_load_b64 v[34:35], v[18:19]
	s_branch .LBB384_8
.LBB384_15:                             ;   in Loop: Header=BB384_6 Depth=1
	s_wait_loadcnt 0x0
	v_add_nc_u64_e32 v[14:15], s[12:13], v[14:15]
	s_delay_alu instid0(VALU_DEP_1)
	v_lshl_add_u64 v[16:17], v[2:3], 3, v[14:15]
	s_and_saveexec_b32 s28, s22
	s_cbranch_execz .LBB384_20
; %bb.16:                               ;   in Loop: Header=BB384_6 Depth=1
	v_mov_b64_e32 v[18:19], s[4:5]
	v_mov_b64_e32 v[34:35], s[10:11]
	s_and_b32 vcc_lo, exec_lo, s18
	s_mov_b32 s29, -1
	s_delay_alu instid0(VALU_DEP_2) | instskip(NEXT) | instid1(VALU_DEP_1)
	v_pk_mul_f32 v[18:19], v[32:33], v[18:19] op_sel_hi:[0,1]
	v_pk_fma_f32 v[36:37], v[30:31], v[34:35], v[18:19] op_sel_hi:[0,1,1]
	v_pk_fma_f32 v[18:19], v[30:31], v[34:35], v[18:19] neg_lo:[0,0,1] neg_hi:[0,0,1]
	v_lshl_add_u64 v[30:31], v[0:1], 3, v[16:17]
	s_delay_alu instid0(VALU_DEP_3)
	v_mov_b32_e32 v19, v37
	s_cbranch_vccz .LBB384_18
; %bb.17:                               ;   in Loop: Header=BB384_6 Depth=1
	flat_load_b64 v[34:35], v[30:31]
	v_mov_b64_e32 v[36:37], s[6:7]
	v_mov_b64_e32 v[38:39], s[2:3]
	s_mov_b32 s29, 0
	s_wait_loadcnt_dscnt 0x0
	s_delay_alu instid0(VALU_DEP_2) | instskip(NEXT) | instid1(VALU_DEP_1)
	v_pk_mul_f32 v[36:37], v[34:35], v[36:37]
	v_pk_fma_f32 v[40:41], v[34:35], v[38:39], v[36:37] op_sel:[0,0,1] op_sel_hi:[1,1,0]
	v_pk_fma_f32 v[34:35], v[34:35], v[38:39], v[36:37] op_sel:[0,0,1] op_sel_hi:[1,1,0] neg_lo:[0,0,1] neg_hi:[0,0,1]
	s_delay_alu instid0(VALU_DEP_2) | instskip(NEXT) | instid1(VALU_DEP_1)
	v_mov_b32_e32 v35, v41
	v_pk_add_f32 v[34:35], v[18:19], v[34:35]
	flat_store_b64 v[30:31], v[34:35]
.LBB384_18:                             ;   in Loop: Header=BB384_6 Depth=1
	s_and_not1_b32 vcc_lo, exec_lo, s29
	s_cbranch_vccnz .LBB384_20
; %bb.19:                               ;   in Loop: Header=BB384_6 Depth=1
	flat_store_b64 v[30:31], v[18:19]
.LBB384_20:                             ;   in Loop: Header=BB384_6 Depth=1
	s_wait_xcnt 0x0
	s_or_b32 exec_lo, exec_lo, s28
	s_and_saveexec_b32 s28, s1
	s_cbranch_execz .LBB384_25
; %bb.21:                               ;   in Loop: Header=BB384_6 Depth=1
	v_mov_b64_e32 v[18:19], s[4:5]
	v_mov_b64_e32 v[30:31], s[10:11]
	v_lshl_add_u64 v[16:17], v[4:5], 3, v[16:17]
	s_and_not1_b32 vcc_lo, exec_lo, s18
	s_mov_b32 s29, -1
	s_delay_alu instid0(VALU_DEP_3) | instskip(NEXT) | instid1(VALU_DEP_1)
	v_pk_mul_f32 v[18:19], v[28:29], v[18:19] op_sel_hi:[0,1]
	v_pk_fma_f32 v[34:35], v[26:27], v[30:31], v[18:19] op_sel_hi:[0,1,1]
	v_pk_fma_f32 v[18:19], v[26:27], v[30:31], v[18:19] neg_lo:[0,0,1] neg_hi:[0,0,1]
	s_delay_alu instid0(VALU_DEP_2)
	v_mov_b32_e32 v19, v35
	s_cbranch_vccnz .LBB384_23
; %bb.22:                               ;   in Loop: Header=BB384_6 Depth=1
	flat_load_b64 v[30:31], v[16:17]
	v_mov_b64_e32 v[34:35], s[6:7]
	v_mov_b64_e32 v[36:37], s[2:3]
	s_mov_b32 s29, 0
	s_wait_loadcnt_dscnt 0x0
	s_delay_alu instid0(VALU_DEP_2) | instskip(NEXT) | instid1(VALU_DEP_1)
	v_pk_mul_f32 v[34:35], v[30:31], v[34:35]
	v_pk_fma_f32 v[38:39], v[30:31], v[36:37], v[34:35] op_sel:[0,0,1] op_sel_hi:[1,1,0]
	v_pk_fma_f32 v[30:31], v[30:31], v[36:37], v[34:35] op_sel:[0,0,1] op_sel_hi:[1,1,0] neg_lo:[0,0,1] neg_hi:[0,0,1]
	s_delay_alu instid0(VALU_DEP_2) | instskip(NEXT) | instid1(VALU_DEP_1)
	v_mov_b32_e32 v31, v39
	v_pk_add_f32 v[30:31], v[18:19], v[30:31]
	flat_store_b64 v[16:17], v[30:31]
.LBB384_23:                             ;   in Loop: Header=BB384_6 Depth=1
	s_and_not1_b32 vcc_lo, exec_lo, s29
	s_cbranch_vccnz .LBB384_25
; %bb.24:                               ;   in Loop: Header=BB384_6 Depth=1
	flat_store_b64 v[16:17], v[18:19]
.LBB384_25:                             ;   in Loop: Header=BB384_6 Depth=1
	s_wait_xcnt 0x0
	s_or_b32 exec_lo, exec_lo, s28
	v_lshl_add_u64 v[14:15], v[6:7], 3, v[14:15]
	s_and_saveexec_b32 s28, s8
	s_cbranch_execz .LBB384_30
; %bb.26:                               ;   in Loop: Header=BB384_6 Depth=1
	v_mov_b64_e32 v[16:17], s[4:5]
	v_mov_b64_e32 v[18:19], s[10:11]
	s_and_not1_b32 vcc_lo, exec_lo, s18
	s_mov_b32 s29, -1
	s_delay_alu instid0(VALU_DEP_2) | instskip(NEXT) | instid1(VALU_DEP_1)
	v_pk_mul_f32 v[16:17], v[24:25], v[16:17] op_sel_hi:[0,1]
	v_pk_fma_f32 v[30:31], v[22:23], v[18:19], v[16:17] op_sel_hi:[0,1,1]
	v_pk_fma_f32 v[16:17], v[22:23], v[18:19], v[16:17] neg_lo:[0,0,1] neg_hi:[0,0,1]
	v_lshl_add_u64 v[18:19], v[0:1], 3, v[14:15]
	s_delay_alu instid0(VALU_DEP_3)
	v_mov_b32_e32 v17, v31
	s_cbranch_vccnz .LBB384_28
; %bb.27:                               ;   in Loop: Header=BB384_6 Depth=1
	flat_load_b64 v[30:31], v[18:19]
	v_mov_b64_e32 v[34:35], s[6:7]
	v_mov_b64_e32 v[36:37], s[2:3]
	s_mov_b32 s29, 0
	s_wait_loadcnt_dscnt 0x0
	s_delay_alu instid0(VALU_DEP_2) | instskip(NEXT) | instid1(VALU_DEP_1)
	v_pk_mul_f32 v[34:35], v[30:31], v[34:35]
	v_pk_fma_f32 v[38:39], v[30:31], v[36:37], v[34:35] op_sel:[0,0,1] op_sel_hi:[1,1,0]
	v_pk_fma_f32 v[30:31], v[30:31], v[36:37], v[34:35] op_sel:[0,0,1] op_sel_hi:[1,1,0] neg_lo:[0,0,1] neg_hi:[0,0,1]
	s_delay_alu instid0(VALU_DEP_2) | instskip(NEXT) | instid1(VALU_DEP_1)
	v_mov_b32_e32 v31, v39
	v_pk_add_f32 v[30:31], v[16:17], v[30:31]
	flat_store_b64 v[18:19], v[30:31]
.LBB384_28:                             ;   in Loop: Header=BB384_6 Depth=1
	s_and_not1_b32 vcc_lo, exec_lo, s29
	s_cbranch_vccnz .LBB384_30
; %bb.29:                               ;   in Loop: Header=BB384_6 Depth=1
	flat_store_b64 v[18:19], v[16:17]
.LBB384_30:                             ;   in Loop: Header=BB384_6 Depth=1
	s_wait_xcnt 0x0
	s_or_b32 exec_lo, exec_lo, s28
	s_and_saveexec_b32 s28, s23
	s_cbranch_execz .LBB384_5
; %bb.31:                               ;   in Loop: Header=BB384_6 Depth=1
	v_mov_b64_e32 v[16:17], s[4:5]
	v_mov_b64_e32 v[18:19], s[10:11]
	v_lshl_add_u64 v[14:15], v[4:5], 3, v[14:15]
	s_and_not1_b32 vcc_lo, exec_lo, s18
	s_mov_b32 s29, -1
	s_delay_alu instid0(VALU_DEP_3) | instskip(NEXT) | instid1(VALU_DEP_1)
	v_pk_mul_f32 v[16:17], v[20:21], v[16:17] op_sel_hi:[0,1]
	v_pk_fma_f32 v[30:31], v[8:9], v[18:19], v[16:17] op_sel_hi:[0,1,1]
	v_pk_fma_f32 v[16:17], v[8:9], v[18:19], v[16:17] neg_lo:[0,0,1] neg_hi:[0,0,1]
	s_delay_alu instid0(VALU_DEP_2)
	v_mov_b32_e32 v17, v31
	s_cbranch_vccnz .LBB384_33
; %bb.32:                               ;   in Loop: Header=BB384_6 Depth=1
	flat_load_b64 v[18:19], v[14:15]
	v_mov_b64_e32 v[30:31], s[6:7]
	v_mov_b64_e32 v[34:35], s[2:3]
	s_mov_b32 s29, 0
	s_wait_loadcnt_dscnt 0x0
	s_delay_alu instid0(VALU_DEP_2) | instskip(NEXT) | instid1(VALU_DEP_1)
	v_pk_mul_f32 v[30:31], v[18:19], v[30:31]
	v_pk_fma_f32 v[36:37], v[18:19], v[34:35], v[30:31] op_sel:[0,0,1] op_sel_hi:[1,1,0]
	v_pk_fma_f32 v[18:19], v[18:19], v[34:35], v[30:31] op_sel:[0,0,1] op_sel_hi:[1,1,0] neg_lo:[0,0,1] neg_hi:[0,0,1]
	s_delay_alu instid0(VALU_DEP_2) | instskip(NEXT) | instid1(VALU_DEP_1)
	v_mov_b32_e32 v19, v37
	v_pk_add_f32 v[18:19], v[16:17], v[18:19]
	flat_store_b64 v[14:15], v[18:19]
.LBB384_33:                             ;   in Loop: Header=BB384_6 Depth=1
	s_and_not1_b32 vcc_lo, exec_lo, s29
	s_cbranch_vccnz .LBB384_5
; %bb.34:                               ;   in Loop: Header=BB384_6 Depth=1
	flat_store_b64 v[14:15], v[16:17]
	s_branch .LBB384_5
.LBB384_35:
	s_sendmsg sendmsg(MSG_DEALLOC_VGPRS)
	s_endpgm
	.section	.rodata,"a",@progbits
	.p2align	6, 0x0
	.amdhsa_kernel _ZL29rocblas_internal_gemmt_kernelIiLi16ELi32ELi8ELc67ELc78ELc85ELb1ELb0E19rocblas_complex_numIfES1_PKPKS1_PKPS1_EviT_T9_T10_S9_lSB_S9_lSA_T11_S9_li
		.amdhsa_group_segment_fixed_size 4096
		.amdhsa_private_segment_fixed_size 0
		.amdhsa_kernarg_size 100
		.amdhsa_user_sgpr_count 2
		.amdhsa_user_sgpr_dispatch_ptr 0
		.amdhsa_user_sgpr_queue_ptr 0
		.amdhsa_user_sgpr_kernarg_segment_ptr 1
		.amdhsa_user_sgpr_dispatch_id 0
		.amdhsa_user_sgpr_kernarg_preload_length 0
		.amdhsa_user_sgpr_kernarg_preload_offset 0
		.amdhsa_user_sgpr_private_segment_size 0
		.amdhsa_wavefront_size32 1
		.amdhsa_uses_dynamic_stack 0
		.amdhsa_enable_private_segment 0
		.amdhsa_system_sgpr_workgroup_id_x 1
		.amdhsa_system_sgpr_workgroup_id_y 1
		.amdhsa_system_sgpr_workgroup_id_z 1
		.amdhsa_system_sgpr_workgroup_info 0
		.amdhsa_system_vgpr_workitem_id 1
		.amdhsa_next_free_vgpr 72
		.amdhsa_next_free_sgpr 35
		.amdhsa_named_barrier_count 0
		.amdhsa_reserve_vcc 1
		.amdhsa_float_round_mode_32 0
		.amdhsa_float_round_mode_16_64 0
		.amdhsa_float_denorm_mode_32 3
		.amdhsa_float_denorm_mode_16_64 3
		.amdhsa_fp16_overflow 0
		.amdhsa_memory_ordered 1
		.amdhsa_forward_progress 1
		.amdhsa_inst_pref_size 26
		.amdhsa_round_robin_scheduling 0
		.amdhsa_exception_fp_ieee_invalid_op 0
		.amdhsa_exception_fp_denorm_src 0
		.amdhsa_exception_fp_ieee_div_zero 0
		.amdhsa_exception_fp_ieee_overflow 0
		.amdhsa_exception_fp_ieee_underflow 0
		.amdhsa_exception_fp_ieee_inexact 0
		.amdhsa_exception_int_div_zero 0
	.end_amdhsa_kernel
	.section	.text._ZL29rocblas_internal_gemmt_kernelIiLi16ELi32ELi8ELc67ELc78ELc85ELb1ELb0E19rocblas_complex_numIfES1_PKPKS1_PKPS1_EviT_T9_T10_S9_lSB_S9_lSA_T11_S9_li,"axG",@progbits,_ZL29rocblas_internal_gemmt_kernelIiLi16ELi32ELi8ELc67ELc78ELc85ELb1ELb0E19rocblas_complex_numIfES1_PKPKS1_PKPS1_EviT_T9_T10_S9_lSB_S9_lSA_T11_S9_li,comdat
.Lfunc_end384:
	.size	_ZL29rocblas_internal_gemmt_kernelIiLi16ELi32ELi8ELc67ELc78ELc85ELb1ELb0E19rocblas_complex_numIfES1_PKPKS1_PKPS1_EviT_T9_T10_S9_lSB_S9_lSA_T11_S9_li, .Lfunc_end384-_ZL29rocblas_internal_gemmt_kernelIiLi16ELi32ELi8ELc67ELc78ELc85ELb1ELb0E19rocblas_complex_numIfES1_PKPKS1_PKPS1_EviT_T9_T10_S9_lSB_S9_lSA_T11_S9_li
                                        ; -- End function
	.set _ZL29rocblas_internal_gemmt_kernelIiLi16ELi32ELi8ELc67ELc78ELc85ELb1ELb0E19rocblas_complex_numIfES1_PKPKS1_PKPS1_EviT_T9_T10_S9_lSB_S9_lSA_T11_S9_li.num_vgpr, 72
	.set _ZL29rocblas_internal_gemmt_kernelIiLi16ELi32ELi8ELc67ELc78ELc85ELb1ELb0E19rocblas_complex_numIfES1_PKPKS1_PKPS1_EviT_T9_T10_S9_lSB_S9_lSA_T11_S9_li.num_agpr, 0
	.set _ZL29rocblas_internal_gemmt_kernelIiLi16ELi32ELi8ELc67ELc78ELc85ELb1ELb0E19rocblas_complex_numIfES1_PKPKS1_PKPS1_EviT_T9_T10_S9_lSB_S9_lSA_T11_S9_li.numbered_sgpr, 35
	.set _ZL29rocblas_internal_gemmt_kernelIiLi16ELi32ELi8ELc67ELc78ELc85ELb1ELb0E19rocblas_complex_numIfES1_PKPKS1_PKPS1_EviT_T9_T10_S9_lSB_S9_lSA_T11_S9_li.num_named_barrier, 0
	.set _ZL29rocblas_internal_gemmt_kernelIiLi16ELi32ELi8ELc67ELc78ELc85ELb1ELb0E19rocblas_complex_numIfES1_PKPKS1_PKPS1_EviT_T9_T10_S9_lSB_S9_lSA_T11_S9_li.private_seg_size, 0
	.set _ZL29rocblas_internal_gemmt_kernelIiLi16ELi32ELi8ELc67ELc78ELc85ELb1ELb0E19rocblas_complex_numIfES1_PKPKS1_PKPS1_EviT_T9_T10_S9_lSB_S9_lSA_T11_S9_li.uses_vcc, 1
	.set _ZL29rocblas_internal_gemmt_kernelIiLi16ELi32ELi8ELc67ELc78ELc85ELb1ELb0E19rocblas_complex_numIfES1_PKPKS1_PKPS1_EviT_T9_T10_S9_lSB_S9_lSA_T11_S9_li.uses_flat_scratch, 0
	.set _ZL29rocblas_internal_gemmt_kernelIiLi16ELi32ELi8ELc67ELc78ELc85ELb1ELb0E19rocblas_complex_numIfES1_PKPKS1_PKPS1_EviT_T9_T10_S9_lSB_S9_lSA_T11_S9_li.has_dyn_sized_stack, 0
	.set _ZL29rocblas_internal_gemmt_kernelIiLi16ELi32ELi8ELc67ELc78ELc85ELb1ELb0E19rocblas_complex_numIfES1_PKPKS1_PKPS1_EviT_T9_T10_S9_lSB_S9_lSA_T11_S9_li.has_recursion, 0
	.set _ZL29rocblas_internal_gemmt_kernelIiLi16ELi32ELi8ELc67ELc78ELc85ELb1ELb0E19rocblas_complex_numIfES1_PKPKS1_PKPS1_EviT_T9_T10_S9_lSB_S9_lSA_T11_S9_li.has_indirect_call, 0
	.section	.AMDGPU.csdata,"",@progbits
; Kernel info:
; codeLenInByte = 3276
; TotalNumSgprs: 37
; NumVgprs: 72
; ScratchSize: 0
; MemoryBound: 0
; FloatMode: 240
; IeeeMode: 1
; LDSByteSize: 4096 bytes/workgroup (compile time only)
; SGPRBlocks: 0
; VGPRBlocks: 4
; NumSGPRsForWavesPerEU: 37
; NumVGPRsForWavesPerEU: 72
; NamedBarCnt: 0
; Occupancy: 12
; WaveLimiterHint : 1
; COMPUTE_PGM_RSRC2:SCRATCH_EN: 0
; COMPUTE_PGM_RSRC2:USER_SGPR: 2
; COMPUTE_PGM_RSRC2:TRAP_HANDLER: 0
; COMPUTE_PGM_RSRC2:TGID_X_EN: 1
; COMPUTE_PGM_RSRC2:TGID_Y_EN: 1
; COMPUTE_PGM_RSRC2:TGID_Z_EN: 1
; COMPUTE_PGM_RSRC2:TIDIG_COMP_CNT: 1
	.section	.text._ZL29rocblas_internal_gemmt_kernelIiLi16ELi32ELi8ELc67ELc84ELc85ELb1ELb0E19rocblas_complex_numIfES1_PKPKS1_PKPS1_EviT_T9_T10_S9_lSB_S9_lSA_T11_S9_li,"axG",@progbits,_ZL29rocblas_internal_gemmt_kernelIiLi16ELi32ELi8ELc67ELc84ELc85ELb1ELb0E19rocblas_complex_numIfES1_PKPKS1_PKPS1_EviT_T9_T10_S9_lSB_S9_lSA_T11_S9_li,comdat
	.globl	_ZL29rocblas_internal_gemmt_kernelIiLi16ELi32ELi8ELc67ELc84ELc85ELb1ELb0E19rocblas_complex_numIfES1_PKPKS1_PKPS1_EviT_T9_T10_S9_lSB_S9_lSA_T11_S9_li ; -- Begin function _ZL29rocblas_internal_gemmt_kernelIiLi16ELi32ELi8ELc67ELc84ELc85ELb1ELb0E19rocblas_complex_numIfES1_PKPKS1_PKPS1_EviT_T9_T10_S9_lSB_S9_lSA_T11_S9_li
	.p2align	8
	.type	_ZL29rocblas_internal_gemmt_kernelIiLi16ELi32ELi8ELc67ELc84ELc85ELb1ELb0E19rocblas_complex_numIfES1_PKPKS1_PKPS1_EviT_T9_T10_S9_lSB_S9_lSA_T11_S9_li,@function
_ZL29rocblas_internal_gemmt_kernelIiLi16ELi32ELi8ELc67ELc84ELc85ELb1ELb0E19rocblas_complex_numIfES1_PKPKS1_PKPS1_EviT_T9_T10_S9_lSB_S9_lSA_T11_S9_li: ; @_ZL29rocblas_internal_gemmt_kernelIiLi16ELi32ELi8ELc67ELc84ELc85ELb1ELb0E19rocblas_complex_numIfES1_PKPKS1_PKPS1_EviT_T9_T10_S9_lSB_S9_lSA_T11_S9_li
; %bb.0:
	s_clause 0x1
	s_load_b64 s[20:21], s[0:1], 0x40
	s_load_b128 s[4:7], s[0:1], 0x0
	s_wait_kmcnt 0x0
	s_cmp_neq_f32 s20, 1.0
	s_cselect_b32 s3, -1, 0
	s_and_b32 s8, s21, 0x7fffffff
	s_delay_alu instid0(SALU_CYCLE_1) | instskip(SKIP_3) | instid1(SALU_CYCLE_1)
	s_cmp_eq_u32 s8, 0
	s_cselect_b32 s2, -1, 0
	s_cmp_lg_u32 s8, 0
	s_cselect_b32 s8, -1, 0
	s_or_b32 s3, s3, s8
	s_delay_alu instid0(SALU_CYCLE_1)
	s_and_b32 vcc_lo, exec_lo, s3
	s_cbranch_vccnz .LBB385_2
; %bb.1:
	s_cmp_lg_u32 s5, 0
	s_cselect_b32 s3, -1, 0
	s_cmp_neq_f32 s6, 0
	s_cselect_b32 s8, -1, 0
	s_cmp_neq_f32 s7, 0
	s_cselect_b32 s9, -1, 0
	s_delay_alu instid0(SALU_CYCLE_1) | instskip(NEXT) | instid1(SALU_CYCLE_1)
	s_or_b32 s8, s8, s9
	s_and_b32 s3, s3, s8
.LBB385_2:
	s_delay_alu instid0(SALU_CYCLE_1)
	s_and_not1_b32 vcc_lo, exec_lo, s3
	s_cbranch_vccnz .LBB385_35
; %bb.3:
	s_load_b32 s30, s[0:1], 0x60
	s_bfe_u32 s3, ttmp6, 0x40014
	s_lshr_b32 s8, ttmp7, 16
	s_add_co_i32 s3, s3, 1
	s_bfe_u32 s10, ttmp6, 0x40008
	s_mul_i32 s9, s8, s3
	s_getreg_b32 s3, hwreg(HW_REG_IB_STS2, 6, 4)
	s_add_co_i32 s10, s10, s9
	s_cmp_eq_u32 s3, 0
	s_mov_b32 s23, 0
	s_cselect_b32 s22, s8, s10
	s_wait_kmcnt 0x0
	s_cmp_ge_u32 s22, s30
	s_cbranch_scc1 .LBB385_35
; %bb.4:
	s_clause 0x2
	s_load_b96 s[12:14], s[0:1], 0x10
	s_load_b32 s24, s[0:1], 0x30
	s_load_b96 s[16:18], s[0:1], 0x48
	v_and_b32_e32 v2, 0x3ff, v0
	v_bfe_u32 v7, v0, 10, 10
	s_clause 0x2
	s_load_b128 s[8:11], s[0:1], 0x20
	s_load_b64 s[26:27], s[0:1], 0x38
	s_load_b64 s[28:29], s[0:1], 0x58
	s_wait_xcnt 0x0
	s_bfe_u32 s1, ttmp6, 0x4000c
	s_bfe_u32 s15, ttmp6, 0x40010
	s_and_b32 s19, ttmp7, 0xffff
	s_add_co_i32 s1, s1, 1
	s_add_co_i32 s15, s15, 1
	v_lshl_add_u32 v1, v7, 4, v2
	s_and_b32 s0, ttmp6, 15
	s_bfe_u32 s31, ttmp6, 0x40004
	s_mul_i32 s33, ttmp9, s1
	s_mul_i32 s34, s19, s15
	s_add_co_i32 s0, s0, s33
	s_add_co_i32 s31, s31, s34
	v_dual_lshrrev_b32 v23, 5, v1 :: v_dual_bitop2_b32 v0, 7, v0 bitop3:0x40
	s_wait_kmcnt 0x0
	s_ashr_i32 s1, s14, 31
	s_ashr_i32 s25, s24, 31
	;; [unrolled: 1-line block ×3, first 2 shown]
	s_cmp_eq_u32 s3, 0
	v_dual_lshrrev_b32 v3, 3, v1 :: v_dual_bitop2_b32 v1, 31, v1 bitop3:0x40
	s_cselect_b32 s0, ttmp9, s0
	s_cselect_b32 s3, s19, s31
	s_lshl_b32 s19, s0, 5
	s_lshl_b32 s3, s3, 5
	s_delay_alu instid0(SALU_CYCLE_1) | instskip(SKIP_2) | instid1(VALU_DEP_2)
	v_dual_add_nc_u32 v14, s3, v3 :: v_dual_bitop2_b32 v4, s19, v1 bitop3:0x54
	v_dual_lshlrev_b32 v6, 3, v0 :: v_dual_lshlrev_b32 v1, 3, v1
	s_mov_b32 s0, s14
	v_ashrrev_i32_e32 v5, 31, v4
	v_cmp_gt_i32_e32 vcc_lo, s4, v4
	s_delay_alu instid0(VALU_DEP_3) | instskip(SKIP_4) | instid1(VALU_DEP_4)
	v_lshl_or_b32 v6, v3, 6, v6
	v_mov_b32_e32 v3, 0
	v_lshl_or_b32 v25, v23, 8, v1
	v_mul_u64_e32 v[12:13], s[0:1], v[4:5]
	v_dual_add_nc_u32 v16, s3, v7 :: v_dual_ashrrev_i32 v15, 31, v14
	v_dual_mov_b32 v1, v3 :: v_dual_add_nc_u32 v4, s19, v2
	v_add_nc_u32_e32 v27, 0x800, v6
	s_delay_alu instid0(VALU_DEP_3) | instskip(NEXT) | instid1(VALU_DEP_3)
	v_dual_add_nc_u32 v20, 16, v16 :: v_dual_ashrrev_i32 v17, 31, v16
	v_mul_u64_e32 v[18:19], s[24:25], v[0:1]
	s_delay_alu instid0(VALU_DEP_4) | instskip(SKIP_1) | instid1(VALU_DEP_4)
	v_dual_lshlrev_b32 v1, 3, v2 :: v_dual_add_nc_u32 v6, 16, v4
	v_ashrrev_i32_e32 v5, 31, v4
	v_ashrrev_i32_e32 v21, 31, v20
	s_cmp_neq_f32 s6, 0
	s_mov_b32 s14, s18
	v_lshl_add_u32 v29, v7, 6, 0x800
	v_lshlrev_b32_e32 v2, 3, v23
	s_cselect_b32 s31, -1, 0
	s_cmp_neq_f32 s7, 0
	v_mul_u64_e32 v[8:9], s[14:15], v[16:17]
	v_ashrrev_i32_e32 v7, 31, v6
	v_mul_u64_e32 v[10:11], s[14:15], v[20:21]
	s_cselect_b32 s18, -1, 0
	v_cmp_gt_i32_e64 s1, s4, v16
	s_or_b32 s18, s31, s18
	s_cmp_gt_i32 s5, 0
	v_cmp_le_i32_e64 s3, v6, v16
	s_cselect_b32 s35, -1, 0
	s_cmp_neq_f32 s20, 0
	v_cmp_gt_i32_e64 s0, s4, v14
	s_cselect_b32 s19, -1, 0
	s_lshl_b64 s[8:9], s[8:9], 3
	s_xor_b32 s31, s2, -1
	v_lshl_add_u64 v[12:13], v[12:13], 3, s[8:9]
	v_cmp_le_i32_e64 s2, v4, v16
	s_lshl_b64 s[8:9], s[26:27], 3
	s_and_b32 s34, s1, s3
	v_cmp_le_i32_e64 s3, v6, v20
	v_add_nc_u64_e32 v[12:13], v[12:13], v[2:3]
	v_lshl_add_u64 v[16:17], v[18:19], 3, s[8:9]
	s_and_b32 s33, s1, s2
	v_cmp_gt_i32_e64 s1, s4, v20
	v_cmp_le_i32_e64 s2, v4, v20
	s_or_b32 s31, s19, s31
	v_lshl_add_u64 v[14:15], v[14:15], 3, v[16:17]
	v_or_b32_e32 v12, 4, v12
	s_mov_b32 s8, s7
	s_and_b32 s4, s1, s2
	s_and_b32 s1, s1, s3
	s_mov_b32 s2, s20
	s_mov_b32 s3, s20
	;; [unrolled: 1-line block ×4, first 2 shown]
	s_and_b32 s26, s18, s35
	s_lshl_b64 s[14:15], s[24:25], 6
	s_xor_b32 s24, vcc_lo, -1
	s_lshl_b64 s[18:19], s[28:29], 3
	s_branch .LBB385_6
.LBB385_5:                              ;   in Loop: Header=BB385_6 Depth=1
	s_wait_xcnt 0x0
	s_or_b32 exec_lo, exec_lo, s25
	s_add_co_i32 s22, s22, 0x10000
	s_delay_alu instid0(SALU_CYCLE_1)
	s_cmp_lt_u32 s22, s30
	s_cbranch_scc0 .LBB385_35
.LBB385_6:                              ; =>This Loop Header: Depth=1
                                        ;     Child Loop BB385_9 Depth 2
	v_dual_mov_b32 v2, s22 :: v_dual_mov_b32 v32, 0
	v_dual_mov_b32 v34, 0 :: v_dual_mov_b32 v28, 0
	;; [unrolled: 1-line block ×3, first 2 shown]
	global_load_b64 v[16:17], v2, s[16:17] scale_offset
	s_wait_xcnt 0x0
	v_dual_mov_b32 v26, 0 :: v_dual_mov_b32 v2, 0
	v_mov_b32_e32 v22, 0
	s_and_not1_b32 vcc_lo, exec_lo, s26
	s_cbranch_vccnz .LBB385_15
; %bb.7:                                ;   in Loop: Header=BB385_6 Depth=1
	s_lshl_b64 s[28:29], s[22:23], 3
	v_dual_mov_b32 v22, 0 :: v_dual_mov_b32 v2, 0
	s_add_nc_u64 s[36:37], s[12:13], s[28:29]
	s_add_nc_u64 s[28:29], s[10:11], s[28:29]
	s_clause 0x1
	global_load_b64 v[18:19], v3, s[36:37]
	global_load_b64 v[20:21], v3, s[28:29]
	v_dual_mov_b32 v26, 0 :: v_dual_mov_b32 v24, 0
	v_dual_mov_b32 v30, 0 :: v_dual_mov_b32 v28, 0
	v_dual_mov_b32 v34, 0 :: v_dual_mov_b32 v32, 0
	s_mov_b32 s25, 0
	s_wait_loadcnt 0x1
	v_add_nc_u64_e32 v[18:19], v[18:19], v[12:13]
	s_wait_loadcnt 0x0
	v_add_nc_u64_e32 v[20:21], v[20:21], v[14:15]
	s_branch .LBB385_9
.LBB385_8:                              ;   in Loop: Header=BB385_9 Depth=2
	s_wait_xcnt 0x0
	s_or_b32 exec_lo, exec_lo, s27
	s_wait_loadcnt_dscnt 0x0
	ds_store_b64 v27, v[36:37]
	s_wait_dscnt 0x0
	s_barrier_signal -1
	s_barrier_wait -1
	ds_load_b128 v[36:39], v29
	ds_load_2addr_b64 v[40:43], v1 offset1:16
	ds_load_b128 v[44:47], v29 offset:1024
	ds_load_b128 v[48:51], v29 offset:16
	ds_load_2addr_b64 v[52:55], v1 offset0:32 offset1:48
	ds_load_b128 v[56:59], v29 offset:32
	ds_load_b128 v[60:63], v29 offset:48
	;; [unrolled: 1-line block ×3, first 2 shown]
	v_add_nc_u64_e32 v[18:19], 64, v[18:19]
	v_add_nc_u64_e32 v[20:21], s[14:15], v[20:21]
	s_add_co_i32 s25, s25, 8
	s_delay_alu instid0(SALU_CYCLE_1)
	s_cmp_lt_i32 s25, s5
	s_wait_dscnt 0x6
	v_dual_mul_f32 v31, v37, v41 :: v_dual_mul_f32 v33, v36, v41
	v_dual_mul_f32 v35, v37, v43 :: v_dual_mul_f32 v68, v36, v43
	s_wait_dscnt 0x5
	v_dual_mul_f32 v69, v45, v41 :: v_dual_mul_f32 v41, v44, v41
	v_dual_mul_f32 v70, v45, v43 :: v_dual_mul_f32 v43, v44, v43
	v_dual_fma_f32 v31, v36, v40, -v31 :: v_dual_fmac_f32 v33, v37, v40
	v_dual_fma_f32 v35, v36, v42, -v35 :: v_dual_fmac_f32 v68, v37, v42
	s_delay_alu instid0(VALU_DEP_3) | instskip(NEXT) | instid1(VALU_DEP_3)
	v_dual_fma_f32 v36, v44, v40, -v69 :: v_dual_fma_f32 v37, v44, v42, -v70
	v_dual_fmac_f32 v41, v45, v40 :: v_dual_add_f32 v40, v32, v31
	s_delay_alu instid0(VALU_DEP_3) | instskip(NEXT) | instid1(VALU_DEP_4)
	v_dual_add_f32 v34, v34, v33 :: v_dual_add_f32 v28, v28, v35
	v_add_f32_e32 v35, v30, v68
	s_delay_alu instid0(VALU_DEP_3)
	v_dual_add_f32 v24, v24, v36 :: v_dual_add_f32 v26, v26, v41
	s_wait_dscnt 0x3
	v_mul_f32_e32 v36, v39, v53
	ds_load_2addr_b64 v[30:33], v1 offset0:64 offset1:80
	v_dual_fmac_f32 v43, v45, v42 :: v_dual_add_f32 v2, v2, v37
	v_dual_mul_f32 v37, v38, v53 :: v_dual_fma_f32 v36, v38, v52, -v36
	v_mul_f32_e32 v41, v39, v55
	s_delay_alu instid0(VALU_DEP_2) | instskip(NEXT) | instid1(VALU_DEP_3)
	v_dual_add_f32 v22, v22, v43 :: v_dual_fmac_f32 v37, v39, v52
	v_dual_mul_f32 v42, v38, v55 :: v_dual_add_f32 v40, v40, v36
	s_delay_alu instid0(VALU_DEP_3) | instskip(NEXT) | instid1(VALU_DEP_2)
	v_dual_fma_f32 v36, v38, v54, -v41 :: v_dual_mul_f32 v38, v47, v53
	v_dual_add_f32 v41, v34, v37 :: v_dual_fmac_f32 v42, v39, v54
	s_delay_alu instid0(VALU_DEP_2) | instskip(NEXT) | instid1(VALU_DEP_3)
	v_dual_mul_f32 v34, v46, v53 :: v_dual_add_f32 v28, v28, v36
	v_dual_mul_f32 v37, v47, v55 :: v_dual_fma_f32 v36, v46, v52, -v38
	s_delay_alu instid0(VALU_DEP_3) | instskip(NEXT) | instid1(VALU_DEP_3)
	v_add_f32_e32 v38, v35, v42
	v_dual_fmac_f32 v34, v47, v52 :: v_dual_mul_f32 v39, v46, v55
	s_delay_alu instid0(VALU_DEP_3) | instskip(SKIP_1) | instid1(VALU_DEP_2)
	v_dual_fma_f32 v35, v46, v54, -v37 :: v_dual_add_f32 v24, v24, v36
	s_wait_dscnt 0x0
	v_dual_mul_f32 v36, v49, v31 :: v_dual_add_f32 v26, v26, v34
	s_delay_alu instid0(VALU_DEP_3) | instskip(NEXT) | instid1(VALU_DEP_2)
	v_dual_fmac_f32 v39, v47, v54 :: v_dual_mul_f32 v42, v48, v31
	v_dual_add_f32 v2, v2, v35 :: v_dual_fma_f32 v43, v48, v30, -v36
	v_mul_f32_e32 v44, v49, v33
	ds_load_2addr_b64 v[34:37], v1 offset0:96 offset1:112
	v_dual_fmac_f32 v42, v49, v30 :: v_dual_add_f32 v22, v22, v39
	v_add_f32_e32 v39, v40, v43
	v_dual_fma_f32 v43, v48, v32, -v44 :: v_dual_mul_f32 v40, v48, v33
	s_delay_alu instid0(VALU_DEP_3) | instskip(SKIP_1) | instid1(VALU_DEP_3)
	v_add_f32_e32 v41, v41, v42
	v_dual_mul_f32 v42, v65, v31 :: v_dual_mul_f32 v31, v64, v31
	v_dual_add_f32 v28, v28, v43 :: v_dual_mul_f32 v43, v65, v33
	s_delay_alu instid0(VALU_DEP_2) | instskip(NEXT) | instid1(VALU_DEP_3)
	v_dual_fmac_f32 v40, v49, v32 :: v_dual_fma_f32 v42, v64, v30, -v42
	v_dual_fmac_f32 v31, v65, v30 :: v_dual_mul_f32 v44, v64, v33
	s_delay_alu instid0(VALU_DEP_3) | instskip(NEXT) | instid1(VALU_DEP_3)
	v_fma_f32 v30, v64, v32, -v43
	v_dual_add_f32 v45, v38, v40 :: v_dual_add_f32 v24, v24, v42
	s_delay_alu instid0(VALU_DEP_3) | instskip(SKIP_1) | instid1(VALU_DEP_3)
	v_dual_add_f32 v26, v26, v31 :: v_dual_fmac_f32 v44, v65, v32
	s_wait_dscnt 0x0
	v_dual_mul_f32 v38, v51, v35 :: v_dual_add_f32 v2, v2, v30
	ds_load_2addr_b64 v[30:33], v1 offset0:128 offset1:144
	v_dual_mul_f32 v40, v50, v35 :: v_dual_mul_f32 v42, v51, v37
	v_dual_fma_f32 v38, v50, v34, -v38 :: v_dual_mul_f32 v43, v50, v37
	s_delay_alu instid0(VALU_DEP_2) | instskip(NEXT) | instid1(VALU_DEP_2)
	v_dual_fmac_f32 v40, v51, v34 :: v_dual_add_f32 v22, v22, v44
	v_dual_add_f32 v44, v39, v38 :: v_dual_fma_f32 v42, v50, v36, -v42
	s_delay_alu instid0(VALU_DEP_2) | instskip(NEXT) | instid1(VALU_DEP_4)
	v_dual_mul_f32 v38, v67, v35 :: v_dual_add_f32 v46, v41, v40
	v_dual_fmac_f32 v43, v51, v36 :: v_dual_mul_f32 v35, v66, v35
	s_delay_alu instid0(VALU_DEP_3) | instskip(NEXT) | instid1(VALU_DEP_3)
	v_add_f32_e32 v28, v28, v42
	v_dual_fma_f32 v42, v66, v34, -v38 :: v_dual_mul_f32 v47, v67, v37
	s_delay_alu instid0(VALU_DEP_3)
	v_add_f32_e32 v48, v45, v43
	ds_load_b128 v[38:41], v29 offset:1056
	v_dual_fmac_f32 v35, v67, v34 :: v_dual_mul_f32 v43, v66, v37
	v_dual_fma_f32 v34, v66, v36, -v47 :: v_dual_add_f32 v24, v24, v42
	s_wait_dscnt 0x1
	v_dual_mul_f32 v37, v57, v31 :: v_dual_mul_f32 v47, v56, v31
	s_delay_alu instid0(VALU_DEP_3) | instskip(NEXT) | instid1(VALU_DEP_3)
	v_dual_fmac_f32 v43, v67, v36 :: v_dual_add_f32 v26, v26, v35
	v_add_f32_e32 v2, v2, v34
	s_delay_alu instid0(VALU_DEP_3) | instskip(SKIP_4) | instid1(VALU_DEP_3)
	v_fma_f32 v42, v56, v30, -v37
	ds_load_2addr_b64 v[34:37], v1 offset0:160 offset1:176
	v_dual_mul_f32 v45, v57, v33 :: v_dual_add_f32 v22, v22, v43
	v_dual_fmac_f32 v47, v57, v30 :: v_dual_mul_f32 v50, v56, v33
	v_add_f32_e32 v49, v44, v42
	v_fma_f32 v51, v56, v32, -v45
	ds_load_b128 v[42:45], v29 offset:1072
	v_add_f32_e32 v46, v46, v47
	s_wait_dscnt 0x2
	v_dual_mul_f32 v52, v39, v31 :: v_dual_fmac_f32 v50, v57, v32
	v_mul_f32_e32 v31, v38, v31
	v_dual_add_f32 v28, v28, v51 :: v_dual_mul_f32 v51, v39, v33
	s_delay_alu instid0(VALU_DEP_3) | instskip(NEXT) | instid1(VALU_DEP_4)
	v_fma_f32 v47, v38, v30, -v52
	v_add_f32_e32 v48, v48, v50
	s_delay_alu instid0(VALU_DEP_4) | instskip(NEXT) | instid1(VALU_DEP_3)
	v_dual_fmac_f32 v31, v39, v30 :: v_dual_mul_f32 v50, v38, v33
	v_dual_fma_f32 v30, v38, v32, -v51 :: v_dual_add_f32 v24, v24, v47
	s_wait_dscnt 0x1
	v_dual_mul_f32 v33, v59, v35 :: v_dual_mul_f32 v38, v58, v35
	s_delay_alu instid0(VALU_DEP_3) | instskip(NEXT) | instid1(VALU_DEP_3)
	v_dual_add_f32 v26, v26, v31 :: v_dual_fmac_f32 v50, v39, v32
	v_dual_add_f32 v2, v2, v30 :: v_dual_mul_f32 v47, v59, v37
	s_delay_alu instid0(VALU_DEP_3)
	v_dual_fma_f32 v39, v58, v34, -v33 :: v_dual_fmac_f32 v38, v59, v34
	ds_load_2addr_b64 v[30:33], v1 offset0:192 offset1:208
	v_add_f32_e32 v22, v22, v50
	v_dual_fma_f32 v47, v58, v36, -v47 :: v_dual_add_f32 v49, v49, v39
	v_mul_f32_e32 v39, v58, v37
	v_dual_add_f32 v46, v46, v38 :: v_dual_mul_f32 v38, v41, v35
	v_mul_f32_e32 v35, v40, v35
	s_delay_alu instid0(VALU_DEP_4) | instskip(NEXT) | instid1(VALU_DEP_3)
	v_dual_add_f32 v28, v28, v47 :: v_dual_mul_f32 v47, v41, v37
	v_dual_fmac_f32 v39, v59, v36 :: v_dual_fma_f32 v38, v40, v34, -v38
	s_delay_alu instid0(VALU_DEP_1) | instskip(NEXT) | instid1(VALU_DEP_3)
	v_dual_fmac_f32 v35, v41, v34 :: v_dual_add_f32 v34, v48, v39
	v_dual_mul_f32 v48, v40, v37 :: v_dual_fma_f32 v37, v40, v36, -v47
	s_delay_alu instid0(VALU_DEP_2) | instskip(SKIP_2) | instid1(VALU_DEP_3)
	v_dual_add_f32 v24, v24, v38 :: v_dual_add_f32 v26, v26, v35
	s_wait_dscnt 0x0
	v_mul_f32_e32 v35, v61, v31
	v_dual_fmac_f32 v48, v41, v36 :: v_dual_add_f32 v2, v2, v37
	ds_load_2addr_b64 v[36:39], v1 offset0:224 offset1:240
	v_dual_mul_f32 v40, v60, v31 :: v_dual_fma_f32 v35, v60, v30, -v35
	v_dual_add_f32 v22, v22, v48 :: v_dual_mul_f32 v41, v61, v33
	s_delay_alu instid0(VALU_DEP_2) | instskip(NEXT) | instid1(VALU_DEP_3)
	v_dual_mul_f32 v47, v60, v33 :: v_dual_fmac_f32 v40, v61, v30
	v_add_f32_e32 v35, v49, v35
	s_delay_alu instid0(VALU_DEP_3) | instskip(NEXT) | instid1(VALU_DEP_3)
	v_dual_mul_f32 v48, v43, v31 :: v_dual_fma_f32 v41, v60, v32, -v41
	v_dual_fmac_f32 v47, v61, v32 :: v_dual_mul_f32 v31, v42, v31
	s_delay_alu instid0(VALU_DEP_4) | instskip(NEXT) | instid1(VALU_DEP_3)
	v_add_f32_e32 v40, v46, v40
	v_dual_fma_f32 v46, v42, v30, -v48 :: v_dual_add_f32 v28, v28, v41
	s_delay_alu instid0(VALU_DEP_3) | instskip(NEXT) | instid1(VALU_DEP_4)
	v_dual_mul_f32 v41, v43, v33 :: v_dual_add_f32 v47, v34, v47
	v_dual_fmac_f32 v31, v43, v30 :: v_dual_mul_f32 v30, v42, v33
	s_delay_alu instid0(VALU_DEP_2) | instskip(SKIP_2) | instid1(VALU_DEP_3)
	v_dual_add_f32 v24, v24, v46 :: v_dual_fma_f32 v33, v42, v32, -v41
	s_wait_dscnt 0x0
	v_dual_mul_f32 v34, v63, v37 :: v_dual_mul_f32 v41, v62, v37
	v_dual_add_f32 v26, v26, v31 :: v_dual_fmac_f32 v30, v43, v32
	s_delay_alu instid0(VALU_DEP_3) | instskip(NEXT) | instid1(VALU_DEP_3)
	v_add_f32_e32 v2, v2, v33
	v_dual_fma_f32 v31, v62, v36, -v34 :: v_dual_mul_f32 v33, v63, v39
	s_delay_alu instid0(VALU_DEP_4) | instskip(NEXT) | instid1(VALU_DEP_2)
	v_dual_fmac_f32 v41, v63, v36 :: v_dual_mul_f32 v42, v62, v39
	v_dual_add_f32 v22, v22, v30 :: v_dual_add_f32 v32, v35, v31
	v_mul_f32_e32 v31, v45, v37
	s_delay_alu instid0(VALU_DEP_3) | instskip(NEXT) | instid1(VALU_DEP_4)
	v_dual_add_f32 v34, v40, v41 :: v_dual_fma_f32 v30, v62, v38, -v33
	v_dual_fmac_f32 v42, v63, v38 :: v_dual_mul_f32 v33, v44, v37
	v_dual_mul_f32 v35, v45, v39 :: v_dual_mul_f32 v37, v44, v39
	s_delay_alu instid0(VALU_DEP_3) | instskip(NEXT) | instid1(VALU_DEP_3)
	v_add_f32_e32 v28, v28, v30
	v_dual_fma_f32 v31, v44, v36, -v31 :: v_dual_fmac_f32 v33, v45, v36
	s_delay_alu instid0(VALU_DEP_3) | instskip(NEXT) | instid1(VALU_DEP_2)
	v_dual_fma_f32 v35, v44, v38, -v35 :: v_dual_fmac_f32 v37, v45, v38
	v_dual_add_f32 v30, v47, v42 :: v_dual_add_f32 v24, v24, v31
	s_delay_alu instid0(VALU_DEP_3) | instskip(NEXT) | instid1(VALU_DEP_3)
	v_add_f32_e32 v26, v26, v33
	v_add_f32_e32 v2, v2, v35
	s_delay_alu instid0(VALU_DEP_4)
	v_add_f32_e32 v22, v22, v37
	s_barrier_signal -1
	s_barrier_wait -1
	s_cbranch_scc0 .LBB385_15
.LBB385_9:                              ;   Parent Loop BB385_6 Depth=1
                                        ; =>  This Inner Loop Header: Depth=2
	v_add_nc_u32_e32 v31, s25, v23
	s_delay_alu instid0(VALU_DEP_1) | instskip(SKIP_3) | instid1(SALU_CYCLE_1)
	v_cmp_le_i32_e32 vcc_lo, s5, v31
	s_or_b32 s27, s24, vcc_lo
	s_wait_xcnt 0x0
	s_and_saveexec_b32 s28, s27
	s_xor_b32 s27, exec_lo, s28
; %bb.10:                               ;   in Loop: Header=BB385_9 Depth=2
	ds_store_b32 v25, v3
; %bb.11:                               ;   in Loop: Header=BB385_9 Depth=2
	s_or_saveexec_b32 s27, s27
	v_dual_mov_b32 v36, 0 :: v_dual_mov_b32 v31, 0
	s_xor_b32 exec_lo, exec_lo, s27
	s_cbranch_execz .LBB385_13
; %bb.12:                               ;   in Loop: Header=BB385_9 Depth=2
	flat_load_b64 v[38:39], v[18:19] offset:-4
	s_wait_loadcnt_dscnt 0x0
	v_xor_b32_e32 v31, 0x80000000, v39
	ds_store_b32 v25, v38
.LBB385_13:                             ;   in Loop: Header=BB385_9 Depth=2
	s_wait_xcnt 0x0
	s_or_b32 exec_lo, exec_lo, s27
	v_dual_add_nc_u32 v33, s25, v0 :: v_dual_mov_b32 v37, 0
	ds_store_b32 v25, v31 offset:4
	v_cmp_gt_i32_e32 vcc_lo, s5, v33
	s_and_b32 s28, vcc_lo, s0
	s_delay_alu instid0(SALU_CYCLE_1)
	s_and_saveexec_b32 s27, s28
	s_cbranch_execz .LBB385_8
; %bb.14:                               ;   in Loop: Header=BB385_9 Depth=2
	flat_load_b64 v[36:37], v[20:21]
	s_branch .LBB385_8
.LBB385_15:                             ;   in Loop: Header=BB385_6 Depth=1
	s_wait_loadcnt 0x0
	v_add_nc_u64_e32 v[16:17], s[18:19], v[16:17]
	s_delay_alu instid0(VALU_DEP_1)
	v_lshl_add_u64 v[18:19], v[8:9], 3, v[16:17]
	s_and_saveexec_b32 s25, s33
	s_cbranch_execz .LBB385_20
; %bb.16:                               ;   in Loop: Header=BB385_6 Depth=1
	v_mov_b64_e32 v[20:21], s[8:9]
	v_mov_b64_e32 v[36:37], s[6:7]
	s_and_b32 vcc_lo, exec_lo, s31
	s_mov_b32 s27, -1
	s_delay_alu instid0(VALU_DEP_2) | instskip(NEXT) | instid1(VALU_DEP_1)
	v_pk_mul_f32 v[20:21], v[34:35], v[20:21] op_sel_hi:[0,1]
	v_pk_fma_f32 v[34:35], v[32:33], v[36:37], v[20:21] op_sel_hi:[0,1,1]
	v_pk_fma_f32 v[20:21], v[32:33], v[36:37], v[20:21] neg_lo:[0,0,1] neg_hi:[0,0,1]
	v_lshl_add_u64 v[32:33], v[4:5], 3, v[18:19]
	s_delay_alu instid0(VALU_DEP_3)
	v_mov_b32_e32 v21, v35
	s_cbranch_vccz .LBB385_18
; %bb.17:                               ;   in Loop: Header=BB385_6 Depth=1
	flat_load_b64 v[34:35], v[32:33]
	v_mov_b64_e32 v[36:37], s[20:21]
	v_mov_b64_e32 v[38:39], s[2:3]
	s_mov_b32 s27, 0
	s_wait_loadcnt_dscnt 0x0
	s_delay_alu instid0(VALU_DEP_2) | instskip(NEXT) | instid1(VALU_DEP_1)
	v_pk_mul_f32 v[36:37], v[34:35], v[36:37]
	v_pk_fma_f32 v[40:41], v[34:35], v[38:39], v[36:37] op_sel:[0,0,1] op_sel_hi:[1,1,0]
	v_pk_fma_f32 v[34:35], v[34:35], v[38:39], v[36:37] op_sel:[0,0,1] op_sel_hi:[1,1,0] neg_lo:[0,0,1] neg_hi:[0,0,1]
	s_delay_alu instid0(VALU_DEP_2) | instskip(NEXT) | instid1(VALU_DEP_1)
	v_mov_b32_e32 v35, v41
	v_pk_add_f32 v[34:35], v[20:21], v[34:35]
	flat_store_b64 v[32:33], v[34:35]
.LBB385_18:                             ;   in Loop: Header=BB385_6 Depth=1
	s_and_not1_b32 vcc_lo, exec_lo, s27
	s_cbranch_vccnz .LBB385_20
; %bb.19:                               ;   in Loop: Header=BB385_6 Depth=1
	flat_store_b64 v[32:33], v[20:21]
.LBB385_20:                             ;   in Loop: Header=BB385_6 Depth=1
	s_wait_xcnt 0x0
	s_or_b32 exec_lo, exec_lo, s25
	s_and_saveexec_b32 s25, s34
	s_cbranch_execz .LBB385_25
; %bb.21:                               ;   in Loop: Header=BB385_6 Depth=1
	v_mov_b64_e32 v[20:21], s[8:9]
	v_mov_b64_e32 v[32:33], s[6:7]
	v_lshl_add_u64 v[18:19], v[6:7], 3, v[18:19]
	s_and_not1_b32 vcc_lo, exec_lo, s31
	s_mov_b32 s27, -1
	s_delay_alu instid0(VALU_DEP_3) | instskip(NEXT) | instid1(VALU_DEP_1)
	v_pk_mul_f32 v[20:21], v[30:31], v[20:21] op_sel_hi:[0,1]
	v_pk_fma_f32 v[30:31], v[28:29], v[32:33], v[20:21] op_sel_hi:[0,1,1]
	v_pk_fma_f32 v[20:21], v[28:29], v[32:33], v[20:21] neg_lo:[0,0,1] neg_hi:[0,0,1]
	s_delay_alu instid0(VALU_DEP_2)
	v_mov_b32_e32 v21, v31
	s_cbranch_vccnz .LBB385_23
; %bb.22:                               ;   in Loop: Header=BB385_6 Depth=1
	flat_load_b64 v[30:31], v[18:19]
	v_mov_b64_e32 v[32:33], s[20:21]
	v_mov_b64_e32 v[34:35], s[2:3]
	s_mov_b32 s27, 0
	s_wait_loadcnt_dscnt 0x0
	s_delay_alu instid0(VALU_DEP_2) | instskip(NEXT) | instid1(VALU_DEP_1)
	v_pk_mul_f32 v[32:33], v[30:31], v[32:33]
	v_pk_fma_f32 v[36:37], v[30:31], v[34:35], v[32:33] op_sel:[0,0,1] op_sel_hi:[1,1,0]
	v_pk_fma_f32 v[30:31], v[30:31], v[34:35], v[32:33] op_sel:[0,0,1] op_sel_hi:[1,1,0] neg_lo:[0,0,1] neg_hi:[0,0,1]
	s_delay_alu instid0(VALU_DEP_2) | instskip(NEXT) | instid1(VALU_DEP_1)
	v_mov_b32_e32 v31, v37
	v_pk_add_f32 v[30:31], v[20:21], v[30:31]
	flat_store_b64 v[18:19], v[30:31]
.LBB385_23:                             ;   in Loop: Header=BB385_6 Depth=1
	s_and_not1_b32 vcc_lo, exec_lo, s27
	s_cbranch_vccnz .LBB385_25
; %bb.24:                               ;   in Loop: Header=BB385_6 Depth=1
	flat_store_b64 v[18:19], v[20:21]
.LBB385_25:                             ;   in Loop: Header=BB385_6 Depth=1
	s_wait_xcnt 0x0
	s_or_b32 exec_lo, exec_lo, s25
	v_lshl_add_u64 v[16:17], v[10:11], 3, v[16:17]
	s_and_saveexec_b32 s25, s4
	s_cbranch_execz .LBB385_30
; %bb.26:                               ;   in Loop: Header=BB385_6 Depth=1
	v_mov_b64_e32 v[18:19], s[8:9]
	v_mov_b64_e32 v[20:21], s[6:7]
	s_and_not1_b32 vcc_lo, exec_lo, s31
	s_mov_b32 s27, -1
	s_delay_alu instid0(VALU_DEP_2) | instskip(NEXT) | instid1(VALU_DEP_1)
	v_pk_mul_f32 v[18:19], v[26:27], v[18:19] op_sel_hi:[0,1]
	v_pk_fma_f32 v[30:31], v[24:25], v[20:21], v[18:19] op_sel_hi:[0,1,1]
	v_pk_fma_f32 v[18:19], v[24:25], v[20:21], v[18:19] neg_lo:[0,0,1] neg_hi:[0,0,1]
	v_lshl_add_u64 v[20:21], v[4:5], 3, v[16:17]
	s_delay_alu instid0(VALU_DEP_3)
	v_mov_b32_e32 v19, v31
	s_cbranch_vccnz .LBB385_28
; %bb.27:                               ;   in Loop: Header=BB385_6 Depth=1
	flat_load_b64 v[30:31], v[20:21]
	v_mov_b64_e32 v[32:33], s[20:21]
	v_mov_b64_e32 v[34:35], s[2:3]
	s_mov_b32 s27, 0
	s_wait_loadcnt_dscnt 0x0
	s_delay_alu instid0(VALU_DEP_2) | instskip(NEXT) | instid1(VALU_DEP_1)
	v_pk_mul_f32 v[32:33], v[30:31], v[32:33]
	v_pk_fma_f32 v[36:37], v[30:31], v[34:35], v[32:33] op_sel:[0,0,1] op_sel_hi:[1,1,0]
	v_pk_fma_f32 v[30:31], v[30:31], v[34:35], v[32:33] op_sel:[0,0,1] op_sel_hi:[1,1,0] neg_lo:[0,0,1] neg_hi:[0,0,1]
	s_delay_alu instid0(VALU_DEP_2) | instskip(NEXT) | instid1(VALU_DEP_1)
	v_mov_b32_e32 v31, v37
	v_pk_add_f32 v[30:31], v[18:19], v[30:31]
	flat_store_b64 v[20:21], v[30:31]
.LBB385_28:                             ;   in Loop: Header=BB385_6 Depth=1
	s_and_not1_b32 vcc_lo, exec_lo, s27
	s_cbranch_vccnz .LBB385_30
; %bb.29:                               ;   in Loop: Header=BB385_6 Depth=1
	flat_store_b64 v[20:21], v[18:19]
.LBB385_30:                             ;   in Loop: Header=BB385_6 Depth=1
	s_wait_xcnt 0x0
	s_or_b32 exec_lo, exec_lo, s25
	s_and_saveexec_b32 s25, s1
	s_cbranch_execz .LBB385_5
; %bb.31:                               ;   in Loop: Header=BB385_6 Depth=1
	v_mov_b64_e32 v[18:19], s[8:9]
	v_mov_b64_e32 v[20:21], s[6:7]
	v_lshl_add_u64 v[16:17], v[6:7], 3, v[16:17]
	s_and_not1_b32 vcc_lo, exec_lo, s31
	s_mov_b32 s27, -1
	s_delay_alu instid0(VALU_DEP_3) | instskip(NEXT) | instid1(VALU_DEP_1)
	v_pk_mul_f32 v[18:19], v[22:23], v[18:19] op_sel_hi:[0,1]
	v_pk_fma_f32 v[30:31], v[2:3], v[20:21], v[18:19] op_sel_hi:[0,1,1]
	v_pk_fma_f32 v[18:19], v[2:3], v[20:21], v[18:19] neg_lo:[0,0,1] neg_hi:[0,0,1]
	s_delay_alu instid0(VALU_DEP_2)
	v_mov_b32_e32 v19, v31
	s_cbranch_vccnz .LBB385_33
; %bb.32:                               ;   in Loop: Header=BB385_6 Depth=1
	flat_load_b64 v[20:21], v[16:17]
	v_mov_b64_e32 v[30:31], s[20:21]
	v_mov_b64_e32 v[32:33], s[2:3]
	s_mov_b32 s27, 0
	s_wait_loadcnt_dscnt 0x0
	s_delay_alu instid0(VALU_DEP_2) | instskip(NEXT) | instid1(VALU_DEP_1)
	v_pk_mul_f32 v[30:31], v[20:21], v[30:31]
	v_pk_fma_f32 v[34:35], v[20:21], v[32:33], v[30:31] op_sel:[0,0,1] op_sel_hi:[1,1,0]
	v_pk_fma_f32 v[20:21], v[20:21], v[32:33], v[30:31] op_sel:[0,0,1] op_sel_hi:[1,1,0] neg_lo:[0,0,1] neg_hi:[0,0,1]
	s_delay_alu instid0(VALU_DEP_2) | instskip(NEXT) | instid1(VALU_DEP_1)
	v_mov_b32_e32 v21, v35
	v_pk_add_f32 v[20:21], v[18:19], v[20:21]
	flat_store_b64 v[16:17], v[20:21]
.LBB385_33:                             ;   in Loop: Header=BB385_6 Depth=1
	s_and_not1_b32 vcc_lo, exec_lo, s27
	s_cbranch_vccnz .LBB385_5
; %bb.34:                               ;   in Loop: Header=BB385_6 Depth=1
	flat_store_b64 v[16:17], v[18:19]
	s_branch .LBB385_5
.LBB385_35:
	s_sendmsg sendmsg(MSG_DEALLOC_VGPRS)
	s_endpgm
	.section	.rodata,"a",@progbits
	.p2align	6, 0x0
	.amdhsa_kernel _ZL29rocblas_internal_gemmt_kernelIiLi16ELi32ELi8ELc67ELc84ELc85ELb1ELb0E19rocblas_complex_numIfES1_PKPKS1_PKPS1_EviT_T9_T10_S9_lSB_S9_lSA_T11_S9_li
		.amdhsa_group_segment_fixed_size 4096
		.amdhsa_private_segment_fixed_size 0
		.amdhsa_kernarg_size 100
		.amdhsa_user_sgpr_count 2
		.amdhsa_user_sgpr_dispatch_ptr 0
		.amdhsa_user_sgpr_queue_ptr 0
		.amdhsa_user_sgpr_kernarg_segment_ptr 1
		.amdhsa_user_sgpr_dispatch_id 0
		.amdhsa_user_sgpr_kernarg_preload_length 0
		.amdhsa_user_sgpr_kernarg_preload_offset 0
		.amdhsa_user_sgpr_private_segment_size 0
		.amdhsa_wavefront_size32 1
		.amdhsa_uses_dynamic_stack 0
		.amdhsa_enable_private_segment 0
		.amdhsa_system_sgpr_workgroup_id_x 1
		.amdhsa_system_sgpr_workgroup_id_y 1
		.amdhsa_system_sgpr_workgroup_id_z 1
		.amdhsa_system_sgpr_workgroup_info 0
		.amdhsa_system_vgpr_workitem_id 1
		.amdhsa_next_free_vgpr 71
		.amdhsa_next_free_sgpr 38
		.amdhsa_named_barrier_count 0
		.amdhsa_reserve_vcc 1
		.amdhsa_float_round_mode_32 0
		.amdhsa_float_round_mode_16_64 0
		.amdhsa_float_denorm_mode_32 3
		.amdhsa_float_denorm_mode_16_64 3
		.amdhsa_fp16_overflow 0
		.amdhsa_memory_ordered 1
		.amdhsa_forward_progress 1
		.amdhsa_inst_pref_size 26
		.amdhsa_round_robin_scheduling 0
		.amdhsa_exception_fp_ieee_invalid_op 0
		.amdhsa_exception_fp_denorm_src 0
		.amdhsa_exception_fp_ieee_div_zero 0
		.amdhsa_exception_fp_ieee_overflow 0
		.amdhsa_exception_fp_ieee_underflow 0
		.amdhsa_exception_fp_ieee_inexact 0
		.amdhsa_exception_int_div_zero 0
	.end_amdhsa_kernel
	.section	.text._ZL29rocblas_internal_gemmt_kernelIiLi16ELi32ELi8ELc67ELc84ELc85ELb1ELb0E19rocblas_complex_numIfES1_PKPKS1_PKPS1_EviT_T9_T10_S9_lSB_S9_lSA_T11_S9_li,"axG",@progbits,_ZL29rocblas_internal_gemmt_kernelIiLi16ELi32ELi8ELc67ELc84ELc85ELb1ELb0E19rocblas_complex_numIfES1_PKPKS1_PKPS1_EviT_T9_T10_S9_lSB_S9_lSA_T11_S9_li,comdat
.Lfunc_end385:
	.size	_ZL29rocblas_internal_gemmt_kernelIiLi16ELi32ELi8ELc67ELc84ELc85ELb1ELb0E19rocblas_complex_numIfES1_PKPKS1_PKPS1_EviT_T9_T10_S9_lSB_S9_lSA_T11_S9_li, .Lfunc_end385-_ZL29rocblas_internal_gemmt_kernelIiLi16ELi32ELi8ELc67ELc84ELc85ELb1ELb0E19rocblas_complex_numIfES1_PKPKS1_PKPS1_EviT_T9_T10_S9_lSB_S9_lSA_T11_S9_li
                                        ; -- End function
	.set _ZL29rocblas_internal_gemmt_kernelIiLi16ELi32ELi8ELc67ELc84ELc85ELb1ELb0E19rocblas_complex_numIfES1_PKPKS1_PKPS1_EviT_T9_T10_S9_lSB_S9_lSA_T11_S9_li.num_vgpr, 71
	.set _ZL29rocblas_internal_gemmt_kernelIiLi16ELi32ELi8ELc67ELc84ELc85ELb1ELb0E19rocblas_complex_numIfES1_PKPKS1_PKPS1_EviT_T9_T10_S9_lSB_S9_lSA_T11_S9_li.num_agpr, 0
	.set _ZL29rocblas_internal_gemmt_kernelIiLi16ELi32ELi8ELc67ELc84ELc85ELb1ELb0E19rocblas_complex_numIfES1_PKPKS1_PKPS1_EviT_T9_T10_S9_lSB_S9_lSA_T11_S9_li.numbered_sgpr, 38
	.set _ZL29rocblas_internal_gemmt_kernelIiLi16ELi32ELi8ELc67ELc84ELc85ELb1ELb0E19rocblas_complex_numIfES1_PKPKS1_PKPS1_EviT_T9_T10_S9_lSB_S9_lSA_T11_S9_li.num_named_barrier, 0
	.set _ZL29rocblas_internal_gemmt_kernelIiLi16ELi32ELi8ELc67ELc84ELc85ELb1ELb0E19rocblas_complex_numIfES1_PKPKS1_PKPS1_EviT_T9_T10_S9_lSB_S9_lSA_T11_S9_li.private_seg_size, 0
	.set _ZL29rocblas_internal_gemmt_kernelIiLi16ELi32ELi8ELc67ELc84ELc85ELb1ELb0E19rocblas_complex_numIfES1_PKPKS1_PKPS1_EviT_T9_T10_S9_lSB_S9_lSA_T11_S9_li.uses_vcc, 1
	.set _ZL29rocblas_internal_gemmt_kernelIiLi16ELi32ELi8ELc67ELc84ELc85ELb1ELb0E19rocblas_complex_numIfES1_PKPKS1_PKPS1_EviT_T9_T10_S9_lSB_S9_lSA_T11_S9_li.uses_flat_scratch, 0
	.set _ZL29rocblas_internal_gemmt_kernelIiLi16ELi32ELi8ELc67ELc84ELc85ELb1ELb0E19rocblas_complex_numIfES1_PKPKS1_PKPS1_EviT_T9_T10_S9_lSB_S9_lSA_T11_S9_li.has_dyn_sized_stack, 0
	.set _ZL29rocblas_internal_gemmt_kernelIiLi16ELi32ELi8ELc67ELc84ELc85ELb1ELb0E19rocblas_complex_numIfES1_PKPKS1_PKPS1_EviT_T9_T10_S9_lSB_S9_lSA_T11_S9_li.has_recursion, 0
	.set _ZL29rocblas_internal_gemmt_kernelIiLi16ELi32ELi8ELc67ELc84ELc85ELb1ELb0E19rocblas_complex_numIfES1_PKPKS1_PKPS1_EviT_T9_T10_S9_lSB_S9_lSA_T11_S9_li.has_indirect_call, 0
	.section	.AMDGPU.csdata,"",@progbits
; Kernel info:
; codeLenInByte = 3284
; TotalNumSgprs: 40
; NumVgprs: 71
; ScratchSize: 0
; MemoryBound: 0
; FloatMode: 240
; IeeeMode: 1
; LDSByteSize: 4096 bytes/workgroup (compile time only)
; SGPRBlocks: 0
; VGPRBlocks: 4
; NumSGPRsForWavesPerEU: 40
; NumVGPRsForWavesPerEU: 71
; NamedBarCnt: 0
; Occupancy: 12
; WaveLimiterHint : 1
; COMPUTE_PGM_RSRC2:SCRATCH_EN: 0
; COMPUTE_PGM_RSRC2:USER_SGPR: 2
; COMPUTE_PGM_RSRC2:TRAP_HANDLER: 0
; COMPUTE_PGM_RSRC2:TGID_X_EN: 1
; COMPUTE_PGM_RSRC2:TGID_Y_EN: 1
; COMPUTE_PGM_RSRC2:TGID_Z_EN: 1
; COMPUTE_PGM_RSRC2:TIDIG_COMP_CNT: 1
	.section	.text._ZL29rocblas_internal_gemmt_kernelIiLi16ELi32ELi8ELc67ELc67ELc85ELb1ELb1E19rocblas_complex_numIfES1_PKPKS1_PKPS1_EviT_T9_T10_S9_lSB_S9_lSA_T11_S9_li,"axG",@progbits,_ZL29rocblas_internal_gemmt_kernelIiLi16ELi32ELi8ELc67ELc67ELc85ELb1ELb1E19rocblas_complex_numIfES1_PKPKS1_PKPS1_EviT_T9_T10_S9_lSB_S9_lSA_T11_S9_li,comdat
	.globl	_ZL29rocblas_internal_gemmt_kernelIiLi16ELi32ELi8ELc67ELc67ELc85ELb1ELb1E19rocblas_complex_numIfES1_PKPKS1_PKPS1_EviT_T9_T10_S9_lSB_S9_lSA_T11_S9_li ; -- Begin function _ZL29rocblas_internal_gemmt_kernelIiLi16ELi32ELi8ELc67ELc67ELc85ELb1ELb1E19rocblas_complex_numIfES1_PKPKS1_PKPS1_EviT_T9_T10_S9_lSB_S9_lSA_T11_S9_li
	.p2align	8
	.type	_ZL29rocblas_internal_gemmt_kernelIiLi16ELi32ELi8ELc67ELc67ELc85ELb1ELb1E19rocblas_complex_numIfES1_PKPKS1_PKPS1_EviT_T9_T10_S9_lSB_S9_lSA_T11_S9_li,@function
_ZL29rocblas_internal_gemmt_kernelIiLi16ELi32ELi8ELc67ELc67ELc85ELb1ELb1E19rocblas_complex_numIfES1_PKPKS1_PKPS1_EviT_T9_T10_S9_lSB_S9_lSA_T11_S9_li: ; @_ZL29rocblas_internal_gemmt_kernelIiLi16ELi32ELi8ELc67ELc67ELc85ELb1ELb1E19rocblas_complex_numIfES1_PKPKS1_PKPS1_EviT_T9_T10_S9_lSB_S9_lSA_T11_S9_li
; %bb.0:
	s_clause 0x1
	s_load_b64 s[6:7], s[0:1], 0x40
	s_load_b128 s[8:11], s[0:1], 0x0
	s_wait_kmcnt 0x0
	s_cmp_neq_f32 s6, 1.0
	s_cselect_b32 s2, -1, 0
	s_and_b32 s3, s7, 0x7fffffff
	s_delay_alu instid0(SALU_CYCLE_1) | instskip(SKIP_3) | instid1(SALU_CYCLE_1)
	s_cmp_eq_u32 s3, 0
	s_cselect_b32 s23, -1, 0
	s_cmp_lg_u32 s3, 0
	s_cselect_b32 s3, -1, 0
	s_or_b32 s2, s2, s3
	s_delay_alu instid0(SALU_CYCLE_1)
	s_and_b32 vcc_lo, exec_lo, s2
	s_cbranch_vccnz .LBB386_2
; %bb.1:
	s_cmp_lg_u32 s9, 0
	s_cselect_b32 s2, -1, 0
	s_cmp_neq_f32 s10, 0
	s_cselect_b32 s3, -1, 0
	s_cmp_neq_f32 s11, 0
	s_cselect_b32 s4, -1, 0
	s_delay_alu instid0(SALU_CYCLE_1) | instskip(NEXT) | instid1(SALU_CYCLE_1)
	s_or_b32 s3, s3, s4
	s_and_b32 s2, s2, s3
.LBB386_2:
	s_delay_alu instid0(SALU_CYCLE_1)
	s_and_not1_b32 vcc_lo, exec_lo, s2
	s_cbranch_vccnz .LBB386_37
; %bb.3:
	s_load_b32 s19, s[0:1], 0x60
	s_bfe_u32 s2, ttmp6, 0x40014
	s_lshr_b32 s3, ttmp7, 16
	s_add_co_i32 s2, s2, 1
	s_bfe_u32 s5, ttmp6, 0x40008
	s_mul_i32 s4, s3, s2
	s_getreg_b32 s2, hwreg(HW_REG_IB_STS2, 6, 4)
	s_add_co_i32 s5, s5, s4
	s_cmp_eq_u32 s2, 0
	s_mov_b32 s25, 0
	s_cselect_b32 s24, s3, s5
	s_wait_kmcnt 0x0
	s_cmp_ge_u32 s24, s19
	s_cbranch_scc1 .LBB386_37
; %bb.4:
	s_clause 0x2
	s_load_b96 s[16:18], s[0:1], 0x10
	s_load_b32 s26, s[0:1], 0x30
	s_load_b96 s[20:22], s[0:1], 0x48
	v_and_b32_e32 v2, 0x3ff, v0
	v_bfe_u32 v6, v0, 10, 10
	s_clause 0x2
	s_load_b128 s[12:15], s[0:1], 0x20
	s_load_b64 s[30:31], s[0:1], 0x38
	s_load_b64 s[28:29], s[0:1], 0x58
	s_wait_xcnt 0x0
	s_bfe_u32 s1, ttmp6, 0x4000c
	s_bfe_u32 s3, ttmp6, 0x40010
	s_and_b32 s4, ttmp7, 0xffff
	s_add_co_i32 s1, s1, 1
	s_add_co_i32 s3, s3, 1
	v_lshl_add_u32 v1, v6, 4, v2
	s_and_b32 s0, ttmp6, 15
	s_bfe_u32 s33, ttmp6, 0x40004
	s_mul_i32 s1, ttmp9, s1
	s_mul_i32 s34, s4, s3
	s_add_co_i32 s0, s0, s1
	s_add_co_i32 s33, s33, s34
	v_dual_lshrrev_b32 v23, 5, v1 :: v_dual_bitop2_b32 v0, 7, v0 bitop3:0x40
	s_wait_kmcnt 0x0
	s_ashr_i32 s3, s18, 31
	s_ashr_i32 s27, s26, 31
	;; [unrolled: 1-line block ×3, first 2 shown]
	s_cmp_eq_u32 s2, 0
	v_dual_lshrrev_b32 v5, 3, v1 :: v_dual_bitop2_b32 v1, 31, v1 bitop3:0x40
	s_cselect_b32 s0, ttmp9, s0
	s_cselect_b32 s1, s4, s33
	s_lshl_b32 s33, s0, 5
	s_delay_alu instid0(VALU_DEP_1) | instid1(SALU_CYCLE_1)
	v_dual_mov_b32 v3, 0 :: v_dual_bitop2_b32 v4, s33, v1 bitop3:0x54
	s_lshl_b32 s1, s1, 5
	s_delay_alu instid0(SALU_CYCLE_1) | instskip(NEXT) | instid1(VALU_DEP_2)
	v_dual_lshlrev_b32 v7, 3, v0 :: v_dual_add_nc_u32 v12, s1, v5
	v_dual_mov_b32 v1, v3 :: v_dual_lshlrev_b32 v8, 3, v1
	v_add_nc_u32_e32 v16, s1, v6
	s_delay_alu instid0(VALU_DEP_3)
	v_lshl_or_b32 v7, v5, 6, v7
	v_ashrrev_i32_e32 v5, 31, v4
	s_mov_b32 s2, s18
	v_mul_u64_e32 v[14:15], s[26:27], v[0:1]
	v_cmp_gt_i32_e32 vcc_lo, s8, v4
	v_add_nc_u32_e32 v20, 16, v16
	v_mul_u64_e32 v[18:19], s[2:3], v[4:5]
	v_add_nc_u32_e32 v4, s33, v2
	s_cmp_neq_f32 s10, 0
	v_lshl_add_u32 v29, v6, 6, 0x800
	v_ashrrev_i32_e32 v21, 31, v20
	s_mov_b32 s4, s22
	s_cselect_b32 s0, -1, 0
	s_cmp_neq_f32 s11, 0
	v_dual_add_nc_u32 v6, 16, v4 :: v_dual_ashrrev_i32 v5, 31, v4
	v_ashrrev_i32_e32 v17, 31, v16
	s_cselect_b32 s18, -1, 0
	v_lshl_or_b32 v25, v23, 8, v8
	v_add_nc_u32_e32 v1, 0x800, v7
	v_dual_ashrrev_i32 v13, 31, v12 :: v_dual_lshlrev_b32 v27, 3, v2
	v_ashrrev_i32_e32 v7, 31, v6
	v_mul_u64_e32 v[8:9], s[4:5], v[16:17]
	v_lshlrev_b32_e32 v2, 3, v23
	v_mul_u64_e32 v[10:11], s[4:5], v[20:21]
	s_or_b32 s34, s0, s18
	s_cmp_gt_i32 s9, 0
	v_cmp_le_i32_e64 s4, v4, v20
	s_cselect_b32 s35, -1, 0
	s_cmp_neq_f32 s6, 0
	v_cmp_le_i32_e64 s5, v6, v20
	v_cmp_gt_i32_e64 s1, s8, v16
	v_cmp_le_i32_e64 s2, v4, v16
	s_cselect_b32 s3, -1, 0
	s_xor_b32 s18, s23, -1
	v_cmp_gt_i32_e64 s0, s8, v12
	s_or_b32 s18, s3, s18
	v_cmp_gt_i32_e64 s3, s8, v20
	s_and_b32 s22, s1, s2
	v_cmp_le_i32_e64 s2, v6, v16
	s_and_b32 s23, s3, s4
	s_and_b32 s33, s3, s5
	s_lshl_b64 s[4:5], s[30:31], 3
	s_and_b32 s8, s1, s2
	v_lshl_add_u64 v[14:15], v[14:15], 3, s[4:5]
	s_lshl_b64 s[4:5], s[12:13], 3
	s_mov_b32 s2, s6
	v_lshl_add_u64 v[16:17], v[18:19], 3, s[4:5]
	s_mov_b32 s3, s6
	v_lshl_add_u64 v[12:13], v[12:13], 3, v[14:15]
	s_mov_b32 s6, s7
	s_mov_b32 s4, s11
	v_add_nc_u64_e32 v[14:15], v[16:17], v[2:3]
	s_mov_b32 s5, s10
	v_or_b32_e32 v12, 4, v12
	s_lshl_b64 s[12:13], s[26:27], 6
	s_and_b32 s26, s34, s35
	s_xor_b32 s27, vcc_lo, -1
	s_xor_b32 s30, s0, -1
	s_lshl_b64 s[0:1], s[28:29], 3
	s_branch .LBB386_6
.LBB386_5:                              ;   in Loop: Header=BB386_6 Depth=1
	s_wait_xcnt 0x0
	s_or_b32 exec_lo, exec_lo, s28
	s_add_co_i32 s24, s24, 0x10000
	s_delay_alu instid0(SALU_CYCLE_1)
	s_cmp_lt_u32 s24, s19
	s_cbranch_scc0 .LBB386_37
.LBB386_6:                              ; =>This Loop Header: Depth=1
                                        ;     Child Loop BB386_9 Depth 2
	v_dual_mov_b32 v2, s24 :: v_dual_mov_b32 v32, 0
	v_dual_mov_b32 v34, 0 :: v_dual_mov_b32 v28, 0
	;; [unrolled: 1-line block ×3, first 2 shown]
	global_load_b64 v[16:17], v2, s[20:21] scale_offset
	s_wait_xcnt 0x0
	v_dual_mov_b32 v26, 0 :: v_dual_mov_b32 v2, 0
	v_mov_b32_e32 v22, 0
	s_and_not1_b32 vcc_lo, exec_lo, s26
	s_cbranch_vccnz .LBB386_17
; %bb.7:                                ;   in Loop: Header=BB386_6 Depth=1
	s_lshl_b64 s[28:29], s[24:25], 3
	v_dual_mov_b32 v22, 0 :: v_dual_mov_b32 v2, 0
	s_add_nc_u64 s[34:35], s[16:17], s[28:29]
	s_add_nc_u64 s[28:29], s[14:15], s[28:29]
	s_clause 0x1
	global_load_b64 v[18:19], v3, s[34:35]
	global_load_b64 v[20:21], v3, s[28:29]
	v_dual_mov_b32 v26, 0 :: v_dual_mov_b32 v24, 0
	v_dual_mov_b32 v30, 0 :: v_dual_mov_b32 v28, 0
	;; [unrolled: 1-line block ×3, first 2 shown]
	s_wait_xcnt 0x0
	s_mov_b32 s28, 0
	s_wait_loadcnt 0x1
	v_add_nc_u64_e32 v[18:19], v[18:19], v[14:15]
	s_wait_loadcnt 0x0
	v_add_nc_u64_e32 v[20:21], v[20:21], v[12:13]
	s_branch .LBB386_9
.LBB386_8:                              ;   in Loop: Header=BB386_9 Depth=2
	s_wait_xcnt 0x0
	s_or_b32 exec_lo, exec_lo, s29
	ds_store_b32 v1, v31 offset:4
	s_wait_dscnt 0x0
	s_barrier_signal -1
	s_barrier_wait -1
	ds_load_b128 v[36:39], v29
	ds_load_2addr_b64 v[40:43], v27 offset1:16
	ds_load_b128 v[44:47], v29 offset:1024
	ds_load_b128 v[48:51], v29 offset:16
	ds_load_2addr_b64 v[52:55], v27 offset0:32 offset1:48
	ds_load_b128 v[56:59], v29 offset:32
	ds_load_b128 v[60:63], v29 offset:48
	;; [unrolled: 1-line block ×3, first 2 shown]
	v_add_nc_u64_e32 v[18:19], 64, v[18:19]
	v_add_nc_u64_e32 v[20:21], s[12:13], v[20:21]
	s_add_co_i32 s28, s28, 8
	s_delay_alu instid0(SALU_CYCLE_1)
	s_cmp_lt_i32 s28, s9
	s_wait_dscnt 0x6
	v_dual_mul_f32 v31, v37, v41 :: v_dual_mul_f32 v33, v36, v41
	v_dual_mul_f32 v35, v37, v43 :: v_dual_mul_f32 v68, v36, v43
	s_wait_dscnt 0x5
	v_dual_mul_f32 v69, v45, v41 :: v_dual_mul_f32 v41, v44, v41
	v_dual_mul_f32 v70, v45, v43 :: v_dual_mul_f32 v43, v44, v43
	v_dual_fma_f32 v31, v36, v40, -v31 :: v_dual_fmac_f32 v33, v37, v40
	v_dual_fma_f32 v35, v36, v42, -v35 :: v_dual_fmac_f32 v68, v37, v42
	s_delay_alu instid0(VALU_DEP_3) | instskip(NEXT) | instid1(VALU_DEP_3)
	v_dual_fma_f32 v36, v44, v40, -v69 :: v_dual_fma_f32 v37, v44, v42, -v70
	v_dual_fmac_f32 v41, v45, v40 :: v_dual_add_f32 v40, v32, v31
	s_delay_alu instid0(VALU_DEP_3) | instskip(NEXT) | instid1(VALU_DEP_4)
	v_dual_add_f32 v34, v34, v33 :: v_dual_add_f32 v28, v28, v35
	v_add_f32_e32 v35, v30, v68
	s_delay_alu instid0(VALU_DEP_3)
	v_dual_add_f32 v24, v24, v36 :: v_dual_add_f32 v26, v26, v41
	s_wait_dscnt 0x3
	v_mul_f32_e32 v36, v39, v53
	ds_load_2addr_b64 v[30:33], v27 offset0:64 offset1:80
	v_dual_fmac_f32 v43, v45, v42 :: v_dual_add_f32 v2, v2, v37
	v_dual_mul_f32 v37, v38, v53 :: v_dual_fma_f32 v36, v38, v52, -v36
	v_mul_f32_e32 v41, v39, v55
	s_delay_alu instid0(VALU_DEP_2) | instskip(NEXT) | instid1(VALU_DEP_3)
	v_dual_add_f32 v22, v22, v43 :: v_dual_fmac_f32 v37, v39, v52
	v_dual_mul_f32 v42, v38, v55 :: v_dual_add_f32 v40, v40, v36
	s_delay_alu instid0(VALU_DEP_3) | instskip(NEXT) | instid1(VALU_DEP_2)
	v_dual_fma_f32 v36, v38, v54, -v41 :: v_dual_mul_f32 v38, v47, v53
	v_dual_add_f32 v41, v34, v37 :: v_dual_fmac_f32 v42, v39, v54
	s_delay_alu instid0(VALU_DEP_2) | instskip(NEXT) | instid1(VALU_DEP_3)
	v_dual_mul_f32 v34, v46, v53 :: v_dual_add_f32 v28, v28, v36
	v_dual_mul_f32 v37, v47, v55 :: v_dual_fma_f32 v36, v46, v52, -v38
	s_delay_alu instid0(VALU_DEP_3) | instskip(NEXT) | instid1(VALU_DEP_3)
	v_add_f32_e32 v38, v35, v42
	v_dual_fmac_f32 v34, v47, v52 :: v_dual_mul_f32 v39, v46, v55
	s_delay_alu instid0(VALU_DEP_3) | instskip(SKIP_1) | instid1(VALU_DEP_2)
	v_dual_fma_f32 v35, v46, v54, -v37 :: v_dual_add_f32 v24, v24, v36
	s_wait_dscnt 0x0
	v_dual_mul_f32 v36, v49, v31 :: v_dual_add_f32 v26, v26, v34
	s_delay_alu instid0(VALU_DEP_3) | instskip(NEXT) | instid1(VALU_DEP_2)
	v_dual_fmac_f32 v39, v47, v54 :: v_dual_mul_f32 v42, v48, v31
	v_dual_add_f32 v2, v2, v35 :: v_dual_fma_f32 v43, v48, v30, -v36
	v_mul_f32_e32 v44, v49, v33
	ds_load_2addr_b64 v[34:37], v27 offset0:96 offset1:112
	v_dual_fmac_f32 v42, v49, v30 :: v_dual_add_f32 v22, v22, v39
	v_add_f32_e32 v39, v40, v43
	v_dual_fma_f32 v43, v48, v32, -v44 :: v_dual_mul_f32 v40, v48, v33
	s_delay_alu instid0(VALU_DEP_3) | instskip(SKIP_1) | instid1(VALU_DEP_3)
	v_add_f32_e32 v41, v41, v42
	v_dual_mul_f32 v42, v65, v31 :: v_dual_mul_f32 v31, v64, v31
	v_dual_add_f32 v28, v28, v43 :: v_dual_mul_f32 v43, v65, v33
	s_delay_alu instid0(VALU_DEP_2) | instskip(NEXT) | instid1(VALU_DEP_3)
	v_dual_fmac_f32 v40, v49, v32 :: v_dual_fma_f32 v42, v64, v30, -v42
	v_dual_fmac_f32 v31, v65, v30 :: v_dual_mul_f32 v44, v64, v33
	s_delay_alu instid0(VALU_DEP_3) | instskip(NEXT) | instid1(VALU_DEP_3)
	v_fma_f32 v30, v64, v32, -v43
	v_dual_add_f32 v45, v38, v40 :: v_dual_add_f32 v24, v24, v42
	s_delay_alu instid0(VALU_DEP_3) | instskip(SKIP_1) | instid1(VALU_DEP_3)
	v_dual_add_f32 v26, v26, v31 :: v_dual_fmac_f32 v44, v65, v32
	s_wait_dscnt 0x0
	v_dual_mul_f32 v38, v51, v35 :: v_dual_add_f32 v2, v2, v30
	ds_load_2addr_b64 v[30:33], v27 offset0:128 offset1:144
	v_dual_mul_f32 v40, v50, v35 :: v_dual_mul_f32 v42, v51, v37
	v_dual_fma_f32 v38, v50, v34, -v38 :: v_dual_mul_f32 v43, v50, v37
	s_delay_alu instid0(VALU_DEP_2) | instskip(NEXT) | instid1(VALU_DEP_2)
	v_dual_fmac_f32 v40, v51, v34 :: v_dual_add_f32 v22, v22, v44
	v_dual_add_f32 v44, v39, v38 :: v_dual_fma_f32 v42, v50, v36, -v42
	s_delay_alu instid0(VALU_DEP_2) | instskip(NEXT) | instid1(VALU_DEP_4)
	v_dual_mul_f32 v38, v67, v35 :: v_dual_add_f32 v46, v41, v40
	v_dual_fmac_f32 v43, v51, v36 :: v_dual_mul_f32 v35, v66, v35
	s_delay_alu instid0(VALU_DEP_3) | instskip(NEXT) | instid1(VALU_DEP_3)
	v_add_f32_e32 v28, v28, v42
	v_dual_fma_f32 v42, v66, v34, -v38 :: v_dual_mul_f32 v47, v67, v37
	s_delay_alu instid0(VALU_DEP_3)
	v_add_f32_e32 v48, v45, v43
	ds_load_b128 v[38:41], v29 offset:1056
	v_dual_fmac_f32 v35, v67, v34 :: v_dual_mul_f32 v43, v66, v37
	v_dual_fma_f32 v34, v66, v36, -v47 :: v_dual_add_f32 v24, v24, v42
	s_wait_dscnt 0x1
	v_dual_mul_f32 v37, v57, v31 :: v_dual_mul_f32 v47, v56, v31
	s_delay_alu instid0(VALU_DEP_3) | instskip(NEXT) | instid1(VALU_DEP_3)
	v_dual_fmac_f32 v43, v67, v36 :: v_dual_add_f32 v26, v26, v35
	v_add_f32_e32 v2, v2, v34
	s_delay_alu instid0(VALU_DEP_3) | instskip(SKIP_4) | instid1(VALU_DEP_3)
	v_fma_f32 v42, v56, v30, -v37
	ds_load_2addr_b64 v[34:37], v27 offset0:160 offset1:176
	v_dual_mul_f32 v45, v57, v33 :: v_dual_add_f32 v22, v22, v43
	v_dual_fmac_f32 v47, v57, v30 :: v_dual_mul_f32 v50, v56, v33
	v_add_f32_e32 v49, v44, v42
	v_fma_f32 v51, v56, v32, -v45
	ds_load_b128 v[42:45], v29 offset:1072
	v_add_f32_e32 v46, v46, v47
	s_wait_dscnt 0x2
	v_dual_mul_f32 v52, v39, v31 :: v_dual_fmac_f32 v50, v57, v32
	v_mul_f32_e32 v31, v38, v31
	v_dual_add_f32 v28, v28, v51 :: v_dual_mul_f32 v51, v39, v33
	s_delay_alu instid0(VALU_DEP_3) | instskip(NEXT) | instid1(VALU_DEP_4)
	v_fma_f32 v47, v38, v30, -v52
	v_add_f32_e32 v48, v48, v50
	s_delay_alu instid0(VALU_DEP_4) | instskip(NEXT) | instid1(VALU_DEP_3)
	v_dual_fmac_f32 v31, v39, v30 :: v_dual_mul_f32 v50, v38, v33
	v_dual_fma_f32 v30, v38, v32, -v51 :: v_dual_add_f32 v24, v24, v47
	s_wait_dscnt 0x1
	v_dual_mul_f32 v33, v59, v35 :: v_dual_mul_f32 v38, v58, v35
	s_delay_alu instid0(VALU_DEP_3) | instskip(NEXT) | instid1(VALU_DEP_3)
	v_dual_add_f32 v26, v26, v31 :: v_dual_fmac_f32 v50, v39, v32
	v_dual_add_f32 v2, v2, v30 :: v_dual_mul_f32 v47, v59, v37
	s_delay_alu instid0(VALU_DEP_3)
	v_dual_fma_f32 v39, v58, v34, -v33 :: v_dual_fmac_f32 v38, v59, v34
	ds_load_2addr_b64 v[30:33], v27 offset0:192 offset1:208
	v_add_f32_e32 v22, v22, v50
	v_dual_fma_f32 v47, v58, v36, -v47 :: v_dual_add_f32 v49, v49, v39
	v_mul_f32_e32 v39, v58, v37
	v_dual_add_f32 v46, v46, v38 :: v_dual_mul_f32 v38, v41, v35
	v_mul_f32_e32 v35, v40, v35
	s_delay_alu instid0(VALU_DEP_4) | instskip(NEXT) | instid1(VALU_DEP_3)
	v_dual_add_f32 v28, v28, v47 :: v_dual_mul_f32 v47, v41, v37
	v_dual_fmac_f32 v39, v59, v36 :: v_dual_fma_f32 v38, v40, v34, -v38
	s_delay_alu instid0(VALU_DEP_1) | instskip(NEXT) | instid1(VALU_DEP_3)
	v_dual_fmac_f32 v35, v41, v34 :: v_dual_add_f32 v34, v48, v39
	v_dual_mul_f32 v48, v40, v37 :: v_dual_fma_f32 v37, v40, v36, -v47
	s_delay_alu instid0(VALU_DEP_2) | instskip(SKIP_2) | instid1(VALU_DEP_3)
	v_dual_add_f32 v24, v24, v38 :: v_dual_add_f32 v26, v26, v35
	s_wait_dscnt 0x0
	v_mul_f32_e32 v35, v61, v31
	v_dual_fmac_f32 v48, v41, v36 :: v_dual_add_f32 v2, v2, v37
	ds_load_2addr_b64 v[36:39], v27 offset0:224 offset1:240
	v_dual_mul_f32 v40, v60, v31 :: v_dual_fma_f32 v35, v60, v30, -v35
	v_dual_add_f32 v22, v22, v48 :: v_dual_mul_f32 v41, v61, v33
	s_delay_alu instid0(VALU_DEP_2) | instskip(NEXT) | instid1(VALU_DEP_3)
	v_dual_mul_f32 v47, v60, v33 :: v_dual_fmac_f32 v40, v61, v30
	v_add_f32_e32 v35, v49, v35
	s_delay_alu instid0(VALU_DEP_3) | instskip(NEXT) | instid1(VALU_DEP_3)
	v_dual_mul_f32 v48, v43, v31 :: v_dual_fma_f32 v41, v60, v32, -v41
	v_dual_fmac_f32 v47, v61, v32 :: v_dual_mul_f32 v31, v42, v31
	s_delay_alu instid0(VALU_DEP_4) | instskip(NEXT) | instid1(VALU_DEP_3)
	v_add_f32_e32 v40, v46, v40
	v_dual_fma_f32 v46, v42, v30, -v48 :: v_dual_add_f32 v28, v28, v41
	s_delay_alu instid0(VALU_DEP_3) | instskip(NEXT) | instid1(VALU_DEP_4)
	v_dual_mul_f32 v41, v43, v33 :: v_dual_add_f32 v47, v34, v47
	v_dual_fmac_f32 v31, v43, v30 :: v_dual_mul_f32 v30, v42, v33
	s_delay_alu instid0(VALU_DEP_2) | instskip(SKIP_2) | instid1(VALU_DEP_3)
	v_dual_add_f32 v24, v24, v46 :: v_dual_fma_f32 v33, v42, v32, -v41
	s_wait_dscnt 0x0
	v_dual_mul_f32 v34, v63, v37 :: v_dual_mul_f32 v41, v62, v37
	v_dual_add_f32 v26, v26, v31 :: v_dual_fmac_f32 v30, v43, v32
	s_delay_alu instid0(VALU_DEP_3) | instskip(NEXT) | instid1(VALU_DEP_3)
	v_add_f32_e32 v2, v2, v33
	v_dual_fma_f32 v31, v62, v36, -v34 :: v_dual_mul_f32 v33, v63, v39
	s_delay_alu instid0(VALU_DEP_4) | instskip(NEXT) | instid1(VALU_DEP_2)
	v_dual_fmac_f32 v41, v63, v36 :: v_dual_mul_f32 v42, v62, v39
	v_dual_add_f32 v22, v22, v30 :: v_dual_add_f32 v32, v35, v31
	v_mul_f32_e32 v31, v45, v37
	s_delay_alu instid0(VALU_DEP_3) | instskip(NEXT) | instid1(VALU_DEP_4)
	v_dual_add_f32 v34, v40, v41 :: v_dual_fma_f32 v30, v62, v38, -v33
	v_dual_fmac_f32 v42, v63, v38 :: v_dual_mul_f32 v33, v44, v37
	v_dual_mul_f32 v35, v45, v39 :: v_dual_mul_f32 v37, v44, v39
	s_delay_alu instid0(VALU_DEP_3) | instskip(NEXT) | instid1(VALU_DEP_3)
	v_add_f32_e32 v28, v28, v30
	v_dual_fma_f32 v31, v44, v36, -v31 :: v_dual_fmac_f32 v33, v45, v36
	s_delay_alu instid0(VALU_DEP_3) | instskip(NEXT) | instid1(VALU_DEP_2)
	v_dual_fma_f32 v35, v44, v38, -v35 :: v_dual_fmac_f32 v37, v45, v38
	v_dual_add_f32 v30, v47, v42 :: v_dual_add_f32 v24, v24, v31
	s_delay_alu instid0(VALU_DEP_3) | instskip(NEXT) | instid1(VALU_DEP_3)
	v_add_f32_e32 v26, v26, v33
	v_add_f32_e32 v2, v2, v35
	s_delay_alu instid0(VALU_DEP_4)
	v_add_f32_e32 v22, v22, v37
	s_barrier_signal -1
	s_barrier_wait -1
	s_cbranch_scc0 .LBB386_17
.LBB386_9:                              ;   Parent Loop BB386_6 Depth=1
                                        ; =>  This Inner Loop Header: Depth=2
	v_add_nc_u32_e32 v31, s28, v23
	s_delay_alu instid0(VALU_DEP_1) | instskip(SKIP_1) | instid1(SALU_CYCLE_1)
	v_cmp_le_i32_e32 vcc_lo, s9, v31
	s_or_b32 s29, s27, vcc_lo
	s_and_saveexec_b32 s31, s29
	s_delay_alu instid0(SALU_CYCLE_1)
	s_xor_b32 s29, exec_lo, s31
; %bb.10:                               ;   in Loop: Header=BB386_9 Depth=2
	ds_store_b32 v25, v3
; %bb.11:                               ;   in Loop: Header=BB386_9 Depth=2
	s_or_saveexec_b32 s29, s29
	v_mov_b32_e32 v31, 0
	s_xor_b32 exec_lo, exec_lo, s29
	s_cbranch_execz .LBB386_13
; %bb.12:                               ;   in Loop: Header=BB386_9 Depth=2
	flat_load_b64 v[36:37], v[18:19]
	s_wait_loadcnt_dscnt 0x0
	v_xor_b32_e32 v31, 0x80000000, v37
	ds_store_b32 v25, v36
.LBB386_13:                             ;   in Loop: Header=BB386_9 Depth=2
	s_wait_xcnt 0x0
	s_or_b32 exec_lo, exec_lo, s29
	v_add_nc_u32_e32 v33, s28, v0
	ds_store_b32 v25, v31 offset:4
	v_cmp_le_i32_e32 vcc_lo, s9, v33
	s_or_b32 s29, vcc_lo, s30
	s_delay_alu instid0(SALU_CYCLE_1) | instskip(NEXT) | instid1(SALU_CYCLE_1)
	s_and_saveexec_b32 s31, s29
	s_xor_b32 s29, exec_lo, s31
; %bb.14:                               ;   in Loop: Header=BB386_9 Depth=2
	ds_store_b32 v1, v3
; %bb.15:                               ;   in Loop: Header=BB386_9 Depth=2
	s_or_saveexec_b32 s29, s29
	v_mov_b32_e32 v31, 0
	s_xor_b32 exec_lo, exec_lo, s29
	s_cbranch_execz .LBB386_8
; %bb.16:                               ;   in Loop: Header=BB386_9 Depth=2
	flat_load_b64 v[36:37], v[20:21] offset:-4
	s_wait_loadcnt_dscnt 0x0
	v_xor_b32_e32 v31, 0x80000000, v37
	ds_store_b32 v1, v36
	s_branch .LBB386_8
.LBB386_17:                             ;   in Loop: Header=BB386_6 Depth=1
	s_wait_loadcnt 0x0
	v_add_nc_u64_e32 v[16:17], s[0:1], v[16:17]
	s_delay_alu instid0(VALU_DEP_1)
	v_lshl_add_u64 v[18:19], v[8:9], 3, v[16:17]
	s_and_saveexec_b32 s28, s22
	s_cbranch_execz .LBB386_22
; %bb.18:                               ;   in Loop: Header=BB386_6 Depth=1
	v_mov_b64_e32 v[20:21], s[4:5]
	v_mov_b64_e32 v[36:37], s[10:11]
	s_and_b32 vcc_lo, exec_lo, s18
	s_mov_b32 s29, -1
	s_delay_alu instid0(VALU_DEP_2) | instskip(NEXT) | instid1(VALU_DEP_1)
	v_pk_mul_f32 v[20:21], v[34:35], v[20:21] op_sel_hi:[0,1]
	v_pk_fma_f32 v[34:35], v[32:33], v[36:37], v[20:21] op_sel_hi:[0,1,1]
	v_pk_fma_f32 v[20:21], v[32:33], v[36:37], v[20:21] neg_lo:[0,0,1] neg_hi:[0,0,1]
	v_lshl_add_u64 v[32:33], v[4:5], 3, v[18:19]
	s_delay_alu instid0(VALU_DEP_3)
	v_mov_b32_e32 v21, v35
	s_cbranch_vccz .LBB386_20
; %bb.19:                               ;   in Loop: Header=BB386_6 Depth=1
	flat_load_b64 v[34:35], v[32:33]
	v_mov_b64_e32 v[36:37], s[6:7]
	v_mov_b64_e32 v[38:39], s[2:3]
	s_mov_b32 s29, 0
	s_wait_loadcnt_dscnt 0x0
	s_delay_alu instid0(VALU_DEP_2) | instskip(NEXT) | instid1(VALU_DEP_1)
	v_pk_mul_f32 v[36:37], v[34:35], v[36:37]
	v_pk_fma_f32 v[40:41], v[34:35], v[38:39], v[36:37] op_sel:[0,0,1] op_sel_hi:[1,1,0]
	v_pk_fma_f32 v[34:35], v[34:35], v[38:39], v[36:37] op_sel:[0,0,1] op_sel_hi:[1,1,0] neg_lo:[0,0,1] neg_hi:[0,0,1]
	s_delay_alu instid0(VALU_DEP_2) | instskip(NEXT) | instid1(VALU_DEP_1)
	v_mov_b32_e32 v35, v41
	v_pk_add_f32 v[34:35], v[20:21], v[34:35]
	flat_store_b64 v[32:33], v[34:35]
.LBB386_20:                             ;   in Loop: Header=BB386_6 Depth=1
	s_and_not1_b32 vcc_lo, exec_lo, s29
	s_cbranch_vccnz .LBB386_22
; %bb.21:                               ;   in Loop: Header=BB386_6 Depth=1
	flat_store_b64 v[32:33], v[20:21]
.LBB386_22:                             ;   in Loop: Header=BB386_6 Depth=1
	s_wait_xcnt 0x0
	s_or_b32 exec_lo, exec_lo, s28
	s_and_saveexec_b32 s28, s8
	s_cbranch_execz .LBB386_27
; %bb.23:                               ;   in Loop: Header=BB386_6 Depth=1
	v_mov_b64_e32 v[20:21], s[4:5]
	v_mov_b64_e32 v[32:33], s[10:11]
	v_lshl_add_u64 v[18:19], v[6:7], 3, v[18:19]
	s_and_not1_b32 vcc_lo, exec_lo, s18
	s_mov_b32 s29, -1
	s_delay_alu instid0(VALU_DEP_3) | instskip(NEXT) | instid1(VALU_DEP_1)
	v_pk_mul_f32 v[20:21], v[30:31], v[20:21] op_sel_hi:[0,1]
	v_pk_fma_f32 v[30:31], v[28:29], v[32:33], v[20:21] op_sel_hi:[0,1,1]
	v_pk_fma_f32 v[20:21], v[28:29], v[32:33], v[20:21] neg_lo:[0,0,1] neg_hi:[0,0,1]
	s_delay_alu instid0(VALU_DEP_2)
	v_mov_b32_e32 v21, v31
	s_cbranch_vccnz .LBB386_25
; %bb.24:                               ;   in Loop: Header=BB386_6 Depth=1
	flat_load_b64 v[30:31], v[18:19]
	v_mov_b64_e32 v[32:33], s[6:7]
	v_mov_b64_e32 v[34:35], s[2:3]
	s_mov_b32 s29, 0
	s_wait_loadcnt_dscnt 0x0
	s_delay_alu instid0(VALU_DEP_2) | instskip(NEXT) | instid1(VALU_DEP_1)
	v_pk_mul_f32 v[32:33], v[30:31], v[32:33]
	v_pk_fma_f32 v[36:37], v[30:31], v[34:35], v[32:33] op_sel:[0,0,1] op_sel_hi:[1,1,0]
	v_pk_fma_f32 v[30:31], v[30:31], v[34:35], v[32:33] op_sel:[0,0,1] op_sel_hi:[1,1,0] neg_lo:[0,0,1] neg_hi:[0,0,1]
	s_delay_alu instid0(VALU_DEP_2) | instskip(NEXT) | instid1(VALU_DEP_1)
	v_mov_b32_e32 v31, v37
	v_pk_add_f32 v[30:31], v[20:21], v[30:31]
	flat_store_b64 v[18:19], v[30:31]
.LBB386_25:                             ;   in Loop: Header=BB386_6 Depth=1
	s_and_not1_b32 vcc_lo, exec_lo, s29
	s_cbranch_vccnz .LBB386_27
; %bb.26:                               ;   in Loop: Header=BB386_6 Depth=1
	flat_store_b64 v[18:19], v[20:21]
.LBB386_27:                             ;   in Loop: Header=BB386_6 Depth=1
	s_wait_xcnt 0x0
	s_or_b32 exec_lo, exec_lo, s28
	v_lshl_add_u64 v[16:17], v[10:11], 3, v[16:17]
	s_and_saveexec_b32 s28, s23
	s_cbranch_execz .LBB386_32
; %bb.28:                               ;   in Loop: Header=BB386_6 Depth=1
	v_mov_b64_e32 v[18:19], s[4:5]
	v_mov_b64_e32 v[20:21], s[10:11]
	s_and_not1_b32 vcc_lo, exec_lo, s18
	s_mov_b32 s29, -1
	s_delay_alu instid0(VALU_DEP_2) | instskip(NEXT) | instid1(VALU_DEP_1)
	v_pk_mul_f32 v[18:19], v[26:27], v[18:19] op_sel_hi:[0,1]
	v_pk_fma_f32 v[30:31], v[24:25], v[20:21], v[18:19] op_sel_hi:[0,1,1]
	v_pk_fma_f32 v[18:19], v[24:25], v[20:21], v[18:19] neg_lo:[0,0,1] neg_hi:[0,0,1]
	v_lshl_add_u64 v[20:21], v[4:5], 3, v[16:17]
	s_delay_alu instid0(VALU_DEP_3)
	v_mov_b32_e32 v19, v31
	s_cbranch_vccnz .LBB386_30
; %bb.29:                               ;   in Loop: Header=BB386_6 Depth=1
	flat_load_b64 v[30:31], v[20:21]
	v_mov_b64_e32 v[32:33], s[6:7]
	v_mov_b64_e32 v[34:35], s[2:3]
	s_mov_b32 s29, 0
	s_wait_loadcnt_dscnt 0x0
	s_delay_alu instid0(VALU_DEP_2) | instskip(NEXT) | instid1(VALU_DEP_1)
	v_pk_mul_f32 v[32:33], v[30:31], v[32:33]
	v_pk_fma_f32 v[36:37], v[30:31], v[34:35], v[32:33] op_sel:[0,0,1] op_sel_hi:[1,1,0]
	v_pk_fma_f32 v[30:31], v[30:31], v[34:35], v[32:33] op_sel:[0,0,1] op_sel_hi:[1,1,0] neg_lo:[0,0,1] neg_hi:[0,0,1]
	s_delay_alu instid0(VALU_DEP_2) | instskip(NEXT) | instid1(VALU_DEP_1)
	v_mov_b32_e32 v31, v37
	v_pk_add_f32 v[30:31], v[18:19], v[30:31]
	flat_store_b64 v[20:21], v[30:31]
.LBB386_30:                             ;   in Loop: Header=BB386_6 Depth=1
	s_and_not1_b32 vcc_lo, exec_lo, s29
	s_cbranch_vccnz .LBB386_32
; %bb.31:                               ;   in Loop: Header=BB386_6 Depth=1
	flat_store_b64 v[20:21], v[18:19]
.LBB386_32:                             ;   in Loop: Header=BB386_6 Depth=1
	s_wait_xcnt 0x0
	s_or_b32 exec_lo, exec_lo, s28
	s_and_saveexec_b32 s28, s33
	s_cbranch_execz .LBB386_5
; %bb.33:                               ;   in Loop: Header=BB386_6 Depth=1
	v_mov_b64_e32 v[18:19], s[4:5]
	v_mov_b64_e32 v[20:21], s[10:11]
	v_lshl_add_u64 v[16:17], v[6:7], 3, v[16:17]
	s_and_not1_b32 vcc_lo, exec_lo, s18
	s_mov_b32 s29, -1
	s_delay_alu instid0(VALU_DEP_3) | instskip(NEXT) | instid1(VALU_DEP_1)
	v_pk_mul_f32 v[18:19], v[22:23], v[18:19] op_sel_hi:[0,1]
	v_pk_fma_f32 v[30:31], v[2:3], v[20:21], v[18:19] op_sel_hi:[0,1,1]
	v_pk_fma_f32 v[18:19], v[2:3], v[20:21], v[18:19] neg_lo:[0,0,1] neg_hi:[0,0,1]
	s_delay_alu instid0(VALU_DEP_2)
	v_mov_b32_e32 v19, v31
	s_cbranch_vccnz .LBB386_35
; %bb.34:                               ;   in Loop: Header=BB386_6 Depth=1
	flat_load_b64 v[20:21], v[16:17]
	v_mov_b64_e32 v[30:31], s[6:7]
	v_mov_b64_e32 v[32:33], s[2:3]
	s_mov_b32 s29, 0
	s_wait_loadcnt_dscnt 0x0
	s_delay_alu instid0(VALU_DEP_2) | instskip(NEXT) | instid1(VALU_DEP_1)
	v_pk_mul_f32 v[30:31], v[20:21], v[30:31]
	v_pk_fma_f32 v[34:35], v[20:21], v[32:33], v[30:31] op_sel:[0,0,1] op_sel_hi:[1,1,0]
	v_pk_fma_f32 v[20:21], v[20:21], v[32:33], v[30:31] op_sel:[0,0,1] op_sel_hi:[1,1,0] neg_lo:[0,0,1] neg_hi:[0,0,1]
	s_delay_alu instid0(VALU_DEP_2) | instskip(NEXT) | instid1(VALU_DEP_1)
	v_mov_b32_e32 v21, v35
	v_pk_add_f32 v[20:21], v[18:19], v[20:21]
	flat_store_b64 v[16:17], v[20:21]
.LBB386_35:                             ;   in Loop: Header=BB386_6 Depth=1
	s_and_not1_b32 vcc_lo, exec_lo, s29
	s_cbranch_vccnz .LBB386_5
; %bb.36:                               ;   in Loop: Header=BB386_6 Depth=1
	flat_store_b64 v[16:17], v[18:19]
	s_branch .LBB386_5
.LBB386_37:
	s_sendmsg sendmsg(MSG_DEALLOC_VGPRS)
	s_endpgm
	.section	.rodata,"a",@progbits
	.p2align	6, 0x0
	.amdhsa_kernel _ZL29rocblas_internal_gemmt_kernelIiLi16ELi32ELi8ELc67ELc67ELc85ELb1ELb1E19rocblas_complex_numIfES1_PKPKS1_PKPS1_EviT_T9_T10_S9_lSB_S9_lSA_T11_S9_li
		.amdhsa_group_segment_fixed_size 4096
		.amdhsa_private_segment_fixed_size 0
		.amdhsa_kernarg_size 100
		.amdhsa_user_sgpr_count 2
		.amdhsa_user_sgpr_dispatch_ptr 0
		.amdhsa_user_sgpr_queue_ptr 0
		.amdhsa_user_sgpr_kernarg_segment_ptr 1
		.amdhsa_user_sgpr_dispatch_id 0
		.amdhsa_user_sgpr_kernarg_preload_length 0
		.amdhsa_user_sgpr_kernarg_preload_offset 0
		.amdhsa_user_sgpr_private_segment_size 0
		.amdhsa_wavefront_size32 1
		.amdhsa_uses_dynamic_stack 0
		.amdhsa_enable_private_segment 0
		.amdhsa_system_sgpr_workgroup_id_x 1
		.amdhsa_system_sgpr_workgroup_id_y 1
		.amdhsa_system_sgpr_workgroup_id_z 1
		.amdhsa_system_sgpr_workgroup_info 0
		.amdhsa_system_vgpr_workitem_id 1
		.amdhsa_next_free_vgpr 71
		.amdhsa_next_free_sgpr 36
		.amdhsa_named_barrier_count 0
		.amdhsa_reserve_vcc 1
		.amdhsa_float_round_mode_32 0
		.amdhsa_float_round_mode_16_64 0
		.amdhsa_float_denorm_mode_32 3
		.amdhsa_float_denorm_mode_16_64 3
		.amdhsa_fp16_overflow 0
		.amdhsa_memory_ordered 1
		.amdhsa_forward_progress 1
		.amdhsa_inst_pref_size 26
		.amdhsa_round_robin_scheduling 0
		.amdhsa_exception_fp_ieee_invalid_op 0
		.amdhsa_exception_fp_denorm_src 0
		.amdhsa_exception_fp_ieee_div_zero 0
		.amdhsa_exception_fp_ieee_overflow 0
		.amdhsa_exception_fp_ieee_underflow 0
		.amdhsa_exception_fp_ieee_inexact 0
		.amdhsa_exception_int_div_zero 0
	.end_amdhsa_kernel
	.section	.text._ZL29rocblas_internal_gemmt_kernelIiLi16ELi32ELi8ELc67ELc67ELc85ELb1ELb1E19rocblas_complex_numIfES1_PKPKS1_PKPS1_EviT_T9_T10_S9_lSB_S9_lSA_T11_S9_li,"axG",@progbits,_ZL29rocblas_internal_gemmt_kernelIiLi16ELi32ELi8ELc67ELc67ELc85ELb1ELb1E19rocblas_complex_numIfES1_PKPKS1_PKPS1_EviT_T9_T10_S9_lSB_S9_lSA_T11_S9_li,comdat
.Lfunc_end386:
	.size	_ZL29rocblas_internal_gemmt_kernelIiLi16ELi32ELi8ELc67ELc67ELc85ELb1ELb1E19rocblas_complex_numIfES1_PKPKS1_PKPS1_EviT_T9_T10_S9_lSB_S9_lSA_T11_S9_li, .Lfunc_end386-_ZL29rocblas_internal_gemmt_kernelIiLi16ELi32ELi8ELc67ELc67ELc85ELb1ELb1E19rocblas_complex_numIfES1_PKPKS1_PKPS1_EviT_T9_T10_S9_lSB_S9_lSA_T11_S9_li
                                        ; -- End function
	.set _ZL29rocblas_internal_gemmt_kernelIiLi16ELi32ELi8ELc67ELc67ELc85ELb1ELb1E19rocblas_complex_numIfES1_PKPKS1_PKPS1_EviT_T9_T10_S9_lSB_S9_lSA_T11_S9_li.num_vgpr, 71
	.set _ZL29rocblas_internal_gemmt_kernelIiLi16ELi32ELi8ELc67ELc67ELc85ELb1ELb1E19rocblas_complex_numIfES1_PKPKS1_PKPS1_EviT_T9_T10_S9_lSB_S9_lSA_T11_S9_li.num_agpr, 0
	.set _ZL29rocblas_internal_gemmt_kernelIiLi16ELi32ELi8ELc67ELc67ELc85ELb1ELb1E19rocblas_complex_numIfES1_PKPKS1_PKPS1_EviT_T9_T10_S9_lSB_S9_lSA_T11_S9_li.numbered_sgpr, 36
	.set _ZL29rocblas_internal_gemmt_kernelIiLi16ELi32ELi8ELc67ELc67ELc85ELb1ELb1E19rocblas_complex_numIfES1_PKPKS1_PKPS1_EviT_T9_T10_S9_lSB_S9_lSA_T11_S9_li.num_named_barrier, 0
	.set _ZL29rocblas_internal_gemmt_kernelIiLi16ELi32ELi8ELc67ELc67ELc85ELb1ELb1E19rocblas_complex_numIfES1_PKPKS1_PKPS1_EviT_T9_T10_S9_lSB_S9_lSA_T11_S9_li.private_seg_size, 0
	.set _ZL29rocblas_internal_gemmt_kernelIiLi16ELi32ELi8ELc67ELc67ELc85ELb1ELb1E19rocblas_complex_numIfES1_PKPKS1_PKPS1_EviT_T9_T10_S9_lSB_S9_lSA_T11_S9_li.uses_vcc, 1
	.set _ZL29rocblas_internal_gemmt_kernelIiLi16ELi32ELi8ELc67ELc67ELc85ELb1ELb1E19rocblas_complex_numIfES1_PKPKS1_PKPS1_EviT_T9_T10_S9_lSB_S9_lSA_T11_S9_li.uses_flat_scratch, 0
	.set _ZL29rocblas_internal_gemmt_kernelIiLi16ELi32ELi8ELc67ELc67ELc85ELb1ELb1E19rocblas_complex_numIfES1_PKPKS1_PKPS1_EviT_T9_T10_S9_lSB_S9_lSA_T11_S9_li.has_dyn_sized_stack, 0
	.set _ZL29rocblas_internal_gemmt_kernelIiLi16ELi32ELi8ELc67ELc67ELc85ELb1ELb1E19rocblas_complex_numIfES1_PKPKS1_PKPS1_EviT_T9_T10_S9_lSB_S9_lSA_T11_S9_li.has_recursion, 0
	.set _ZL29rocblas_internal_gemmt_kernelIiLi16ELi32ELi8ELc67ELc67ELc85ELb1ELb1E19rocblas_complex_numIfES1_PKPKS1_PKPS1_EviT_T9_T10_S9_lSB_S9_lSA_T11_S9_li.has_indirect_call, 0
	.section	.AMDGPU.csdata,"",@progbits
; Kernel info:
; codeLenInByte = 3312
; TotalNumSgprs: 38
; NumVgprs: 71
; ScratchSize: 0
; MemoryBound: 0
; FloatMode: 240
; IeeeMode: 1
; LDSByteSize: 4096 bytes/workgroup (compile time only)
; SGPRBlocks: 0
; VGPRBlocks: 4
; NumSGPRsForWavesPerEU: 38
; NumVGPRsForWavesPerEU: 71
; NamedBarCnt: 0
; Occupancy: 12
; WaveLimiterHint : 1
; COMPUTE_PGM_RSRC2:SCRATCH_EN: 0
; COMPUTE_PGM_RSRC2:USER_SGPR: 2
; COMPUTE_PGM_RSRC2:TRAP_HANDLER: 0
; COMPUTE_PGM_RSRC2:TGID_X_EN: 1
; COMPUTE_PGM_RSRC2:TGID_Y_EN: 1
; COMPUTE_PGM_RSRC2:TGID_Z_EN: 1
; COMPUTE_PGM_RSRC2:TIDIG_COMP_CNT: 1
	.section	.text._ZL29rocblas_internal_gemmt_kernelIiLi16ELi32ELi8ELc78ELc78ELc76ELb0ELb0E19rocblas_complex_numIfES1_PKPKS1_PKPS1_EviT_T9_T10_S9_lSB_S9_lSA_T11_S9_li,"axG",@progbits,_ZL29rocblas_internal_gemmt_kernelIiLi16ELi32ELi8ELc78ELc78ELc76ELb0ELb0E19rocblas_complex_numIfES1_PKPKS1_PKPS1_EviT_T9_T10_S9_lSB_S9_lSA_T11_S9_li,comdat
	.globl	_ZL29rocblas_internal_gemmt_kernelIiLi16ELi32ELi8ELc78ELc78ELc76ELb0ELb0E19rocblas_complex_numIfES1_PKPKS1_PKPS1_EviT_T9_T10_S9_lSB_S9_lSA_T11_S9_li ; -- Begin function _ZL29rocblas_internal_gemmt_kernelIiLi16ELi32ELi8ELc78ELc78ELc76ELb0ELb0E19rocblas_complex_numIfES1_PKPKS1_PKPS1_EviT_T9_T10_S9_lSB_S9_lSA_T11_S9_li
	.p2align	8
	.type	_ZL29rocblas_internal_gemmt_kernelIiLi16ELi32ELi8ELc78ELc78ELc76ELb0ELb0E19rocblas_complex_numIfES1_PKPKS1_PKPS1_EviT_T9_T10_S9_lSB_S9_lSA_T11_S9_li,@function
_ZL29rocblas_internal_gemmt_kernelIiLi16ELi32ELi8ELc78ELc78ELc76ELb0ELb0E19rocblas_complex_numIfES1_PKPKS1_PKPS1_EviT_T9_T10_S9_lSB_S9_lSA_T11_S9_li: ; @_ZL29rocblas_internal_gemmt_kernelIiLi16ELi32ELi8ELc78ELc78ELc76ELb0ELb0E19rocblas_complex_numIfES1_PKPKS1_PKPS1_EviT_T9_T10_S9_lSB_S9_lSA_T11_S9_li
; %bb.0:
	s_clause 0x1
	s_load_b64 s[6:7], s[0:1], 0x40
	s_load_b128 s[8:11], s[0:1], 0x0
	s_wait_kmcnt 0x0
	s_cmp_neq_f32 s6, 1.0
	s_cselect_b32 s2, -1, 0
	s_and_b32 s3, s7, 0x7fffffff
	s_delay_alu instid0(SALU_CYCLE_1) | instskip(SKIP_3) | instid1(SALU_CYCLE_1)
	s_cmp_eq_u32 s3, 0
	s_cselect_b32 s30, -1, 0
	s_cmp_lg_u32 s3, 0
	s_cselect_b32 s3, -1, 0
	s_or_b32 s2, s2, s3
	s_delay_alu instid0(SALU_CYCLE_1)
	s_and_b32 vcc_lo, exec_lo, s2
	s_cbranch_vccnz .LBB387_2
; %bb.1:
	s_cmp_lg_u32 s9, 0
	s_cselect_b32 s2, -1, 0
	s_cmp_neq_f32 s10, 0
	s_cselect_b32 s3, -1, 0
	s_cmp_neq_f32 s11, 0
	s_cselect_b32 s4, -1, 0
	s_delay_alu instid0(SALU_CYCLE_1) | instskip(NEXT) | instid1(SALU_CYCLE_1)
	s_or_b32 s3, s3, s4
	s_and_b32 s2, s2, s3
.LBB387_2:
	s_delay_alu instid0(SALU_CYCLE_1)
	s_and_not1_b32 vcc_lo, exec_lo, s2
	s_cbranch_vccnz .LBB387_33
; %bb.3:
	s_load_b32 s23, s[0:1], 0x60
	s_bfe_u32 s2, ttmp6, 0x40014
	s_lshr_b32 s3, ttmp7, 16
	s_add_co_i32 s2, s2, 1
	s_bfe_u32 s5, ttmp6, 0x40008
	s_mul_i32 s2, s3, s2
	s_getreg_b32 s4, hwreg(HW_REG_IB_STS2, 6, 4)
	s_add_co_i32 s5, s5, s2
	s_cmp_eq_u32 s4, 0
	s_mov_b32 s25, 0
	s_cselect_b32 s24, s3, s5
	s_wait_kmcnt 0x0
	s_cmp_ge_u32 s24, s23
	s_cbranch_scc1 .LBB387_33
; %bb.4:
	s_clause 0x2
	s_load_b96 s[16:18], s[0:1], 0x10
	s_load_b32 s2, s[0:1], 0x30
	s_load_b96 s[20:22], s[0:1], 0x48
	v_and_b32_e32 v4, 0x3ff, v0
	v_bfe_u32 v7, v0, 10, 10
	s_clause 0x2
	s_load_b128 s[12:15], s[0:1], 0x20
	s_load_b64 s[26:27], s[0:1], 0x38
	s_load_b64 s[28:29], s[0:1], 0x58
	s_wait_xcnt 0x0
	s_bfe_u32 s1, ttmp6, 0x4000c
	s_bfe_u32 s3, ttmp6, 0x40010
	s_and_b32 s31, ttmp7, 0xffff
	s_add_co_i32 s1, s1, 1
	s_add_co_i32 s3, s3, 1
	v_lshl_add_u32 v1, v7, 4, v4
	s_and_b32 s0, ttmp6, 15
	s_bfe_u32 s33, ttmp6, 0x40004
	s_mul_i32 s1, ttmp9, s1
	s_mul_i32 s34, s31, s3
	s_add_co_i32 s0, s0, s1
	s_add_co_i32 s33, s33, s34
	v_dual_lshrrev_b32 v2, 5, v1 :: v_dual_bitop2_b32 v21, 7, v0 bitop3:0x40
	s_wait_kmcnt 0x0
	s_ashr_i32 s19, s18, 31
	s_ashr_i32 s3, s2, 31
	;; [unrolled: 1-line block ×3, first 2 shown]
	s_cmp_eq_u32 s4, 0
	v_dual_lshrrev_b32 v5, 3, v1 :: v_dual_bitop2_b32 v1, 31, v1 bitop3:0x40
	s_cselect_b32 s0, ttmp9, s0
	s_cselect_b32 s1, s31, s33
	s_lshl_b32 s31, s0, 5
	s_lshl_b32 s1, s1, 5
	v_dual_lshlrev_b32 v1, 3, v1 :: v_dual_bitop2_b32 v10, s31, v1 bitop3:0x54
	v_dual_mov_b32 v3, 0 :: v_dual_add_nc_u32 v0, s1, v5
	v_dual_lshlrev_b32 v12, 3, v21 :: v_dual_add_nc_u32 v16, s1, v7
	v_lshlrev_b32_e32 v27, 3, v4
	s_delay_alu instid0(VALU_DEP_4) | instskip(NEXT) | instid1(VALU_DEP_4)
	v_lshl_or_b32 v23, v2, 8, v1
	v_ashrrev_i32_e32 v1, 31, v0
	v_mul_u64_e32 v[14:15], s[18:19], v[2:3]
	v_dual_add_nc_u32 v28, 16, v16 :: v_dual_ashrrev_i32 v17, 31, v16
	s_cmp_neq_f32 s10, 0
	s_delay_alu instid0(VALU_DEP_3) | instskip(SKIP_1) | instid1(VALU_DEP_3)
	v_mul_u64_e32 v[18:19], s[2:3], v[0:1]
	v_lshl_or_b32 v5, v5, 6, v12
	v_dual_ashrrev_i32 v29, 31, v28 :: v_dual_ashrrev_i32 v11, 31, v10
	s_cselect_b32 s0, -1, 0
	s_cmp_neq_f32 s11, 0
	s_mov_b32 s4, s22
	v_cmp_gt_i32_e64 s1, s8, v0
	v_add_nc_u32_e32 v25, 0x800, v5
	s_cselect_b32 s22, -1, 0
	v_add_nc_u32_e32 v0, s31, v4
	v_mul_u64_e32 v[4:5], s[4:5], v[16:17]
	v_mul_u64_e32 v[8:9], s[4:5], v[28:29]
	s_or_b32 s34, s0, s22
	s_cmp_gt_i32 s9, 0
	v_add_nc_u32_e32 v6, 16, v0
	s_cselect_b32 s35, -1, 0
	s_cmp_neq_f32 s6, 0
	v_lshl_add_u32 v29, v7, 6, 0x800
	s_delay_alu instid0(VALU_DEP_2)
	v_dual_mov_b32 v13, v3 :: v_dual_ashrrev_i32 v7, 31, v6
	s_cselect_b32 s3, -1, 0
	s_xor_b32 s22, s30, -1
	v_ashrrev_i32_e32 v1, 31, v0
	s_or_b32 s22, s3, s22
	v_cmp_le_i32_e64 s3, v16, v6
	v_cmp_gt_i32_e64 s4, s8, v6
	v_cmp_le_i32_e64 s5, v28, v6
	v_cmp_le_i32_e32 vcc_lo, v16, v0
	v_cmp_gt_i32_e64 s2, s8, v0
	v_cmp_gt_i32_e64 s0, s8, v10
	s_and_b32 s30, s3, s4
	s_and_b32 s33, s5, s4
	s_lshl_b64 s[4:5], s[12:13], 3
	s_and_b32 s8, vcc_lo, s2
	v_lshl_add_u64 v[14:15], v[14:15], 3, s[4:5]
	s_lshl_b64 s[4:5], s[26:27], 3
	v_cmp_le_i32_e32 vcc_lo, v28, v0
	v_lshl_add_u64 v[16:17], v[18:19], 3, s[4:5]
	s_mov_b32 s3, s6
	v_lshl_add_u64 v[10:11], v[10:11], 3, v[14:15]
	s_mov_b32 s4, s11
	s_and_b32 s31, vcc_lo, s2
	v_add_nc_u64_e32 v[12:13], v[16:17], v[12:13]
	s_mov_b32 s2, s6
	s_mov_b32 s6, s7
	s_and_b32 s26, s34, s35
	s_mov_b32 s5, s10
	s_lshl_b64 s[12:13], s[18:19], 6
	s_lshl_b64 s[18:19], s[28:29], 3
	s_branch .LBB387_6
.LBB387_5:                              ;   in Loop: Header=BB387_6 Depth=1
	s_wait_xcnt 0x0
	s_or_b32 exec_lo, exec_lo, s27
	s_add_co_i32 s24, s24, 0x10000
	s_delay_alu instid0(SALU_CYCLE_1)
	s_cmp_lt_u32 s24, s23
	s_cbranch_scc0 .LBB387_33
.LBB387_6:                              ; =>This Loop Header: Depth=1
                                        ;     Child Loop BB387_9 Depth 2
	v_dual_mov_b32 v14, s24 :: v_dual_mov_b32 v32, 0
	v_dual_mov_b32 v34, 0 :: v_dual_mov_b32 v28, 0
	;; [unrolled: 1-line block ×3, first 2 shown]
	global_load_b64 v[14:15], v14, s[20:21] scale_offset
	v_dual_mov_b32 v26, 0 :: v_dual_mov_b32 v20, 0
	v_mov_b32_e32 v22, 0
	s_and_not1_b32 vcc_lo, exec_lo, s26
	s_cbranch_vccnz .LBB387_13
; %bb.7:                                ;   in Loop: Header=BB387_6 Depth=1
	s_lshl_b64 s[28:29], s[24:25], 3
	v_dual_mov_b32 v22, 0 :: v_dual_mov_b32 v20, 0
	s_add_nc_u64 s[34:35], s[16:17], s[28:29]
	s_add_nc_u64 s[28:29], s[14:15], s[28:29]
	s_clause 0x1
	global_load_b64 v[16:17], v3, s[34:35]
	global_load_b64 v[18:19], v3, s[28:29]
	v_dual_mov_b32 v26, 0 :: v_dual_mov_b32 v24, 0
	v_dual_mov_b32 v30, 0 :: v_dual_mov_b32 v28, 0
	;; [unrolled: 1-line block ×3, first 2 shown]
	s_mov_b32 s27, 0
	s_wait_loadcnt 0x1
	v_add_nc_u64_e32 v[16:17], v[16:17], v[10:11]
	s_wait_loadcnt 0x0
	v_add_nc_u64_e32 v[18:19], v[18:19], v[12:13]
	s_branch .LBB387_9
.LBB387_8:                              ;   in Loop: Header=BB387_9 Depth=2
	s_wait_xcnt 0x0
	s_or_b32 exec_lo, exec_lo, s28
	s_wait_loadcnt_dscnt 0x0
	ds_store_b64 v25, v[38:39]
	s_wait_dscnt 0x0
	s_barrier_signal -1
	s_barrier_wait -1
	ds_load_b128 v[36:39], v29
	ds_load_2addr_b64 v[40:43], v27 offset1:16
	ds_load_b128 v[44:47], v29 offset:1024
	ds_load_b128 v[48:51], v29 offset:16
	ds_load_2addr_b64 v[52:55], v27 offset0:32 offset1:48
	ds_load_b128 v[56:59], v29 offset:32
	ds_load_b128 v[60:63], v29 offset:48
	;; [unrolled: 1-line block ×3, first 2 shown]
	v_add_nc_u64_e32 v[16:17], s[12:13], v[16:17]
	v_add_nc_u64_e32 v[18:19], 64, v[18:19]
	s_add_co_i32 s27, s27, 8
	s_delay_alu instid0(SALU_CYCLE_1)
	s_cmp_lt_i32 s27, s9
	s_wait_dscnt 0x6
	v_dual_mul_f32 v31, v37, v41 :: v_dual_mul_f32 v33, v36, v41
	v_dual_mul_f32 v35, v37, v43 :: v_dual_mul_f32 v68, v36, v43
	s_wait_dscnt 0x5
	v_dual_mul_f32 v69, v45, v41 :: v_dual_mul_f32 v41, v44, v41
	v_dual_mul_f32 v70, v45, v43 :: v_dual_mul_f32 v43, v44, v43
	v_dual_fma_f32 v31, v36, v40, -v31 :: v_dual_fmac_f32 v33, v37, v40
	v_dual_fma_f32 v35, v36, v42, -v35 :: v_dual_fmac_f32 v68, v37, v42
	s_delay_alu instid0(VALU_DEP_3) | instskip(NEXT) | instid1(VALU_DEP_3)
	v_dual_fma_f32 v36, v44, v40, -v69 :: v_dual_fma_f32 v37, v44, v42, -v70
	v_dual_fmac_f32 v41, v45, v40 :: v_dual_add_f32 v40, v32, v31
	s_delay_alu instid0(VALU_DEP_3) | instskip(NEXT) | instid1(VALU_DEP_4)
	v_dual_add_f32 v34, v34, v33 :: v_dual_add_f32 v28, v28, v35
	v_add_f32_e32 v35, v30, v68
	s_delay_alu instid0(VALU_DEP_3)
	v_dual_add_f32 v24, v24, v36 :: v_dual_add_f32 v26, v26, v41
	s_wait_dscnt 0x3
	v_mul_f32_e32 v36, v39, v53
	ds_load_2addr_b64 v[30:33], v27 offset0:64 offset1:80
	v_dual_fmac_f32 v43, v45, v42 :: v_dual_add_f32 v20, v20, v37
	v_dual_mul_f32 v37, v38, v53 :: v_dual_fma_f32 v36, v38, v52, -v36
	v_mul_f32_e32 v41, v39, v55
	s_delay_alu instid0(VALU_DEP_2) | instskip(NEXT) | instid1(VALU_DEP_3)
	v_dual_add_f32 v22, v22, v43 :: v_dual_fmac_f32 v37, v39, v52
	v_dual_mul_f32 v42, v38, v55 :: v_dual_add_f32 v40, v40, v36
	s_delay_alu instid0(VALU_DEP_3) | instskip(NEXT) | instid1(VALU_DEP_2)
	v_dual_fma_f32 v36, v38, v54, -v41 :: v_dual_mul_f32 v38, v47, v53
	v_dual_add_f32 v41, v34, v37 :: v_dual_fmac_f32 v42, v39, v54
	s_delay_alu instid0(VALU_DEP_2) | instskip(NEXT) | instid1(VALU_DEP_3)
	v_dual_mul_f32 v34, v46, v53 :: v_dual_add_f32 v28, v28, v36
	v_dual_mul_f32 v37, v47, v55 :: v_dual_fma_f32 v36, v46, v52, -v38
	s_delay_alu instid0(VALU_DEP_3) | instskip(NEXT) | instid1(VALU_DEP_3)
	v_add_f32_e32 v38, v35, v42
	v_dual_fmac_f32 v34, v47, v52 :: v_dual_mul_f32 v39, v46, v55
	s_delay_alu instid0(VALU_DEP_3) | instskip(SKIP_1) | instid1(VALU_DEP_2)
	v_dual_fma_f32 v35, v46, v54, -v37 :: v_dual_add_f32 v24, v24, v36
	s_wait_dscnt 0x0
	v_dual_mul_f32 v36, v49, v31 :: v_dual_add_f32 v26, v26, v34
	s_delay_alu instid0(VALU_DEP_3) | instskip(NEXT) | instid1(VALU_DEP_3)
	v_dual_fmac_f32 v39, v47, v54 :: v_dual_mul_f32 v42, v48, v31
	v_dual_add_f32 v20, v20, v35 :: v_dual_mul_f32 v44, v49, v33
	s_delay_alu instid0(VALU_DEP_3) | instskip(SKIP_4) | instid1(VALU_DEP_3)
	v_fma_f32 v43, v48, v30, -v36
	ds_load_2addr_b64 v[34:37], v27 offset0:96 offset1:112
	v_dual_fmac_f32 v42, v49, v30 :: v_dual_add_f32 v22, v22, v39
	v_add_f32_e32 v39, v40, v43
	v_dual_fma_f32 v43, v48, v32, -v44 :: v_dual_mul_f32 v40, v48, v33
	v_add_f32_e32 v41, v41, v42
	v_dual_mul_f32 v42, v65, v31 :: v_dual_mul_f32 v31, v64, v31
	s_delay_alu instid0(VALU_DEP_3) | instskip(NEXT) | instid1(VALU_DEP_2)
	v_dual_add_f32 v28, v28, v43 :: v_dual_mul_f32 v43, v65, v33
	v_dual_fmac_f32 v40, v49, v32 :: v_dual_fma_f32 v42, v64, v30, -v42
	s_delay_alu instid0(VALU_DEP_3) | instskip(NEXT) | instid1(VALU_DEP_3)
	v_dual_fmac_f32 v31, v65, v30 :: v_dual_mul_f32 v44, v64, v33
	v_fma_f32 v30, v64, v32, -v43
	s_delay_alu instid0(VALU_DEP_3) | instskip(NEXT) | instid1(VALU_DEP_3)
	v_dual_add_f32 v45, v38, v40 :: v_dual_add_f32 v24, v24, v42
	v_dual_add_f32 v26, v26, v31 :: v_dual_fmac_f32 v44, v65, v32
	s_wait_dscnt 0x0
	s_delay_alu instid0(VALU_DEP_3) | instskip(SKIP_3) | instid1(VALU_DEP_2)
	v_dual_mul_f32 v38, v51, v35 :: v_dual_add_f32 v20, v20, v30
	ds_load_2addr_b64 v[30:33], v27 offset0:128 offset1:144
	v_dual_mul_f32 v40, v50, v35 :: v_dual_mul_f32 v42, v51, v37
	v_dual_fma_f32 v38, v50, v34, -v38 :: v_dual_mul_f32 v43, v50, v37
	v_dual_fmac_f32 v40, v51, v34 :: v_dual_add_f32 v22, v22, v44
	s_delay_alu instid0(VALU_DEP_2) | instskip(NEXT) | instid1(VALU_DEP_2)
	v_dual_add_f32 v44, v39, v38 :: v_dual_fma_f32 v42, v50, v36, -v42
	v_dual_mul_f32 v38, v67, v35 :: v_dual_add_f32 v46, v41, v40
	s_delay_alu instid0(VALU_DEP_4) | instskip(NEXT) | instid1(VALU_DEP_3)
	v_dual_fmac_f32 v43, v51, v36 :: v_dual_mul_f32 v35, v66, v35
	v_add_f32_e32 v28, v28, v42
	s_delay_alu instid0(VALU_DEP_3) | instskip(NEXT) | instid1(VALU_DEP_3)
	v_dual_fma_f32 v42, v66, v34, -v38 :: v_dual_mul_f32 v47, v67, v37
	v_add_f32_e32 v48, v45, v43
	ds_load_b128 v[38:41], v29 offset:1056
	v_dual_fmac_f32 v35, v67, v34 :: v_dual_mul_f32 v43, v66, v37
	v_dual_fma_f32 v34, v66, v36, -v47 :: v_dual_add_f32 v24, v24, v42
	s_wait_dscnt 0x1
	v_mul_f32_e32 v37, v57, v31
	s_delay_alu instid0(VALU_DEP_3) | instskip(NEXT) | instid1(VALU_DEP_3)
	v_dual_add_f32 v26, v26, v35 :: v_dual_fmac_f32 v43, v67, v36
	v_add_f32_e32 v20, v20, v34
	s_delay_alu instid0(VALU_DEP_3) | instskip(SKIP_4) | instid1(VALU_DEP_3)
	v_dual_mul_f32 v47, v56, v31 :: v_dual_fma_f32 v42, v56, v30, -v37
	ds_load_2addr_b64 v[34:37], v27 offset0:160 offset1:176
	v_dual_mul_f32 v45, v57, v33 :: v_dual_add_f32 v22, v22, v43
	v_dual_fmac_f32 v47, v57, v30 :: v_dual_mul_f32 v50, v56, v33
	v_add_f32_e32 v49, v44, v42
	v_fma_f32 v51, v56, v32, -v45
	ds_load_b128 v[42:45], v29 offset:1072
	v_add_f32_e32 v46, v46, v47
	s_wait_dscnt 0x2
	v_dual_mul_f32 v52, v39, v31 :: v_dual_fmac_f32 v50, v57, v32
	v_mul_f32_e32 v31, v38, v31
	v_dual_add_f32 v28, v28, v51 :: v_dual_mul_f32 v51, v39, v33
	s_delay_alu instid0(VALU_DEP_3) | instskip(NEXT) | instid1(VALU_DEP_4)
	v_fma_f32 v47, v38, v30, -v52
	v_add_f32_e32 v48, v48, v50
	s_delay_alu instid0(VALU_DEP_4) | instskip(NEXT) | instid1(VALU_DEP_3)
	v_dual_fmac_f32 v31, v39, v30 :: v_dual_mul_f32 v50, v38, v33
	v_dual_fma_f32 v30, v38, v32, -v51 :: v_dual_add_f32 v24, v24, v47
	s_wait_dscnt 0x1
	v_dual_mul_f32 v33, v59, v35 :: v_dual_mul_f32 v38, v58, v35
	s_delay_alu instid0(VALU_DEP_3) | instskip(NEXT) | instid1(VALU_DEP_3)
	v_dual_add_f32 v26, v26, v31 :: v_dual_fmac_f32 v50, v39, v32
	v_dual_add_f32 v20, v20, v30 :: v_dual_mul_f32 v47, v59, v37
	s_delay_alu instid0(VALU_DEP_3)
	v_dual_fma_f32 v39, v58, v34, -v33 :: v_dual_fmac_f32 v38, v59, v34
	ds_load_2addr_b64 v[30:33], v27 offset0:192 offset1:208
	v_add_f32_e32 v22, v22, v50
	v_dual_fma_f32 v47, v58, v36, -v47 :: v_dual_add_f32 v49, v49, v39
	v_mul_f32_e32 v39, v58, v37
	v_dual_add_f32 v46, v46, v38 :: v_dual_mul_f32 v38, v41, v35
	v_mul_f32_e32 v35, v40, v35
	s_delay_alu instid0(VALU_DEP_4) | instskip(NEXT) | instid1(VALU_DEP_3)
	v_dual_add_f32 v28, v28, v47 :: v_dual_mul_f32 v47, v41, v37
	v_dual_fmac_f32 v39, v59, v36 :: v_dual_fma_f32 v38, v40, v34, -v38
	s_delay_alu instid0(VALU_DEP_1) | instskip(NEXT) | instid1(VALU_DEP_3)
	v_dual_fmac_f32 v35, v41, v34 :: v_dual_add_f32 v34, v48, v39
	v_dual_mul_f32 v48, v40, v37 :: v_dual_fma_f32 v37, v40, v36, -v47
	s_delay_alu instid0(VALU_DEP_2) | instskip(SKIP_2) | instid1(VALU_DEP_3)
	v_dual_add_f32 v24, v24, v38 :: v_dual_add_f32 v26, v26, v35
	s_wait_dscnt 0x0
	v_mul_f32_e32 v35, v61, v31
	v_dual_fmac_f32 v48, v41, v36 :: v_dual_add_f32 v20, v20, v37
	ds_load_2addr_b64 v[36:39], v27 offset0:224 offset1:240
	v_dual_mul_f32 v40, v60, v31 :: v_dual_fma_f32 v35, v60, v30, -v35
	v_dual_add_f32 v22, v22, v48 :: v_dual_mul_f32 v41, v61, v33
	s_delay_alu instid0(VALU_DEP_2) | instskip(NEXT) | instid1(VALU_DEP_3)
	v_dual_mul_f32 v47, v60, v33 :: v_dual_fmac_f32 v40, v61, v30
	v_add_f32_e32 v35, v49, v35
	s_delay_alu instid0(VALU_DEP_3) | instskip(NEXT) | instid1(VALU_DEP_3)
	v_dual_mul_f32 v48, v43, v31 :: v_dual_fma_f32 v41, v60, v32, -v41
	v_dual_fmac_f32 v47, v61, v32 :: v_dual_mul_f32 v31, v42, v31
	s_delay_alu instid0(VALU_DEP_4) | instskip(NEXT) | instid1(VALU_DEP_3)
	v_add_f32_e32 v40, v46, v40
	v_dual_fma_f32 v46, v42, v30, -v48 :: v_dual_add_f32 v28, v28, v41
	s_delay_alu instid0(VALU_DEP_3) | instskip(NEXT) | instid1(VALU_DEP_4)
	v_dual_mul_f32 v41, v43, v33 :: v_dual_add_f32 v47, v34, v47
	v_dual_fmac_f32 v31, v43, v30 :: v_dual_mul_f32 v30, v42, v33
	s_delay_alu instid0(VALU_DEP_2) | instskip(SKIP_2) | instid1(VALU_DEP_3)
	v_dual_add_f32 v24, v24, v46 :: v_dual_fma_f32 v33, v42, v32, -v41
	s_wait_dscnt 0x0
	v_dual_mul_f32 v34, v63, v37 :: v_dual_mul_f32 v41, v62, v37
	v_dual_add_f32 v26, v26, v31 :: v_dual_fmac_f32 v30, v43, v32
	s_delay_alu instid0(VALU_DEP_2) | instskip(NEXT) | instid1(VALU_DEP_3)
	v_dual_add_f32 v20, v20, v33 :: v_dual_fma_f32 v31, v62, v36, -v34
	v_dual_fmac_f32 v41, v63, v36 :: v_dual_mul_f32 v33, v63, v39
	v_mul_f32_e32 v42, v62, v39
	s_delay_alu instid0(VALU_DEP_3) | instskip(NEXT) | instid1(VALU_DEP_3)
	v_dual_add_f32 v22, v22, v30 :: v_dual_add_f32 v32, v35, v31
	v_dual_add_f32 v34, v40, v41 :: v_dual_fma_f32 v30, v62, v38, -v33
	s_delay_alu instid0(VALU_DEP_3) | instskip(SKIP_2) | instid1(VALU_DEP_4)
	v_dual_fmac_f32 v42, v63, v38 :: v_dual_mul_f32 v31, v45, v37
	v_dual_mul_f32 v33, v44, v37 :: v_dual_mul_f32 v35, v45, v39
	v_mul_f32_e32 v37, v44, v39
	v_add_f32_e32 v28, v28, v30
	s_delay_alu instid0(VALU_DEP_3) | instskip(NEXT) | instid1(VALU_DEP_3)
	v_dual_fma_f32 v31, v44, v36, -v31 :: v_dual_fmac_f32 v33, v45, v36
	v_dual_fma_f32 v35, v44, v38, -v35 :: v_dual_fmac_f32 v37, v45, v38
	s_delay_alu instid0(VALU_DEP_2) | instskip(NEXT) | instid1(VALU_DEP_2)
	v_dual_add_f32 v30, v47, v42 :: v_dual_add_f32 v24, v24, v31
	v_dual_add_f32 v26, v26, v33 :: v_dual_add_f32 v20, v20, v35
	s_delay_alu instid0(VALU_DEP_3)
	v_add_f32_e32 v22, v22, v37
	s_barrier_signal -1
	s_barrier_wait -1
	s_cbranch_scc0 .LBB387_13
.LBB387_9:                              ;   Parent Loop BB387_6 Depth=1
                                        ; =>  This Inner Loop Header: Depth=2
	v_dual_mov_b32 v36, 0 :: v_dual_add_nc_u32 v31, s27, v2
	v_mov_b32_e32 v37, 0
	s_delay_alu instid0(VALU_DEP_2) | instskip(SKIP_2) | instid1(SALU_CYCLE_1)
	v_cmp_gt_i32_e32 vcc_lo, s9, v31
	s_wait_xcnt 0x0
	s_and_b32 s29, s0, vcc_lo
	s_and_saveexec_b32 s28, s29
	s_cbranch_execz .LBB387_11
; %bb.10:                               ;   in Loop: Header=BB387_9 Depth=2
	flat_load_b64 v[36:37], v[16:17]
.LBB387_11:                             ;   in Loop: Header=BB387_9 Depth=2
	s_wait_xcnt 0x0
	s_or_b32 exec_lo, exec_lo, s28
	v_dual_mov_b32 v38, 0 :: v_dual_add_nc_u32 v31, s27, v21
	v_mov_b32_e32 v39, 0
	s_wait_loadcnt_dscnt 0x0
	ds_store_b64 v23, v[36:37]
	v_cmp_gt_i32_e32 vcc_lo, s9, v31
	s_and_b32 s29, vcc_lo, s1
	s_delay_alu instid0(SALU_CYCLE_1)
	s_and_saveexec_b32 s28, s29
	s_cbranch_execz .LBB387_8
; %bb.12:                               ;   in Loop: Header=BB387_9 Depth=2
	flat_load_b64 v[38:39], v[18:19]
	s_branch .LBB387_8
.LBB387_13:                             ;   in Loop: Header=BB387_6 Depth=1
	s_wait_loadcnt 0x0
	s_wait_xcnt 0x0
	v_add_nc_u64_e32 v[14:15], s[18:19], v[14:15]
	s_delay_alu instid0(VALU_DEP_1)
	v_lshl_add_u64 v[16:17], v[4:5], 3, v[14:15]
	s_and_saveexec_b32 s27, s8
	s_cbranch_execz .LBB387_18
; %bb.14:                               ;   in Loop: Header=BB387_6 Depth=1
	v_mov_b64_e32 v[18:19], s[4:5]
	v_mov_b64_e32 v[36:37], s[10:11]
	s_and_b32 vcc_lo, exec_lo, s22
	s_mov_b32 s28, -1
	s_delay_alu instid0(VALU_DEP_2) | instskip(NEXT) | instid1(VALU_DEP_1)
	v_pk_mul_f32 v[18:19], v[34:35], v[18:19] op_sel_hi:[0,1]
	v_pk_fma_f32 v[34:35], v[32:33], v[36:37], v[18:19] op_sel_hi:[0,1,1]
	v_pk_fma_f32 v[18:19], v[32:33], v[36:37], v[18:19] neg_lo:[0,0,1] neg_hi:[0,0,1]
	v_lshl_add_u64 v[32:33], v[0:1], 3, v[16:17]
	s_delay_alu instid0(VALU_DEP_3)
	v_mov_b32_e32 v19, v35
	s_cbranch_vccz .LBB387_16
; %bb.15:                               ;   in Loop: Header=BB387_6 Depth=1
	flat_load_b64 v[34:35], v[32:33]
	v_mov_b64_e32 v[36:37], s[6:7]
	v_mov_b64_e32 v[38:39], s[2:3]
	s_mov_b32 s28, 0
	s_wait_loadcnt_dscnt 0x0
	s_delay_alu instid0(VALU_DEP_2) | instskip(NEXT) | instid1(VALU_DEP_1)
	v_pk_mul_f32 v[36:37], v[34:35], v[36:37]
	v_pk_fma_f32 v[40:41], v[34:35], v[38:39], v[36:37] op_sel:[0,0,1] op_sel_hi:[1,1,0]
	v_pk_fma_f32 v[34:35], v[34:35], v[38:39], v[36:37] op_sel:[0,0,1] op_sel_hi:[1,1,0] neg_lo:[0,0,1] neg_hi:[0,0,1]
	s_delay_alu instid0(VALU_DEP_2) | instskip(NEXT) | instid1(VALU_DEP_1)
	v_mov_b32_e32 v35, v41
	v_pk_add_f32 v[34:35], v[18:19], v[34:35]
	flat_store_b64 v[32:33], v[34:35]
.LBB387_16:                             ;   in Loop: Header=BB387_6 Depth=1
	s_and_not1_b32 vcc_lo, exec_lo, s28
	s_cbranch_vccnz .LBB387_18
; %bb.17:                               ;   in Loop: Header=BB387_6 Depth=1
	flat_store_b64 v[32:33], v[18:19]
.LBB387_18:                             ;   in Loop: Header=BB387_6 Depth=1
	s_wait_xcnt 0x0
	s_or_b32 exec_lo, exec_lo, s27
	s_and_saveexec_b32 s27, s30
	s_cbranch_execz .LBB387_23
; %bb.19:                               ;   in Loop: Header=BB387_6 Depth=1
	v_mov_b64_e32 v[18:19], s[4:5]
	v_mov_b64_e32 v[32:33], s[10:11]
	v_lshl_add_u64 v[16:17], v[6:7], 3, v[16:17]
	s_and_not1_b32 vcc_lo, exec_lo, s22
	s_mov_b32 s28, -1
	s_delay_alu instid0(VALU_DEP_3) | instskip(NEXT) | instid1(VALU_DEP_1)
	v_pk_mul_f32 v[18:19], v[30:31], v[18:19] op_sel_hi:[0,1]
	v_pk_fma_f32 v[30:31], v[28:29], v[32:33], v[18:19] op_sel_hi:[0,1,1]
	v_pk_fma_f32 v[18:19], v[28:29], v[32:33], v[18:19] neg_lo:[0,0,1] neg_hi:[0,0,1]
	s_delay_alu instid0(VALU_DEP_2)
	v_mov_b32_e32 v19, v31
	s_cbranch_vccnz .LBB387_21
; %bb.20:                               ;   in Loop: Header=BB387_6 Depth=1
	flat_load_b64 v[30:31], v[16:17]
	v_mov_b64_e32 v[32:33], s[6:7]
	v_mov_b64_e32 v[34:35], s[2:3]
	s_mov_b32 s28, 0
	s_wait_loadcnt_dscnt 0x0
	s_delay_alu instid0(VALU_DEP_2) | instskip(NEXT) | instid1(VALU_DEP_1)
	v_pk_mul_f32 v[32:33], v[30:31], v[32:33]
	v_pk_fma_f32 v[36:37], v[30:31], v[34:35], v[32:33] op_sel:[0,0,1] op_sel_hi:[1,1,0]
	v_pk_fma_f32 v[30:31], v[30:31], v[34:35], v[32:33] op_sel:[0,0,1] op_sel_hi:[1,1,0] neg_lo:[0,0,1] neg_hi:[0,0,1]
	s_delay_alu instid0(VALU_DEP_2) | instskip(NEXT) | instid1(VALU_DEP_1)
	v_mov_b32_e32 v31, v37
	v_pk_add_f32 v[30:31], v[18:19], v[30:31]
	flat_store_b64 v[16:17], v[30:31]
.LBB387_21:                             ;   in Loop: Header=BB387_6 Depth=1
	s_and_not1_b32 vcc_lo, exec_lo, s28
	s_cbranch_vccnz .LBB387_23
; %bb.22:                               ;   in Loop: Header=BB387_6 Depth=1
	flat_store_b64 v[16:17], v[18:19]
.LBB387_23:                             ;   in Loop: Header=BB387_6 Depth=1
	s_wait_xcnt 0x0
	s_or_b32 exec_lo, exec_lo, s27
	v_lshl_add_u64 v[14:15], v[8:9], 3, v[14:15]
	s_and_saveexec_b32 s27, s31
	s_cbranch_execz .LBB387_28
; %bb.24:                               ;   in Loop: Header=BB387_6 Depth=1
	v_mov_b64_e32 v[16:17], s[4:5]
	v_mov_b64_e32 v[18:19], s[10:11]
	s_and_not1_b32 vcc_lo, exec_lo, s22
	s_mov_b32 s28, -1
	s_delay_alu instid0(VALU_DEP_2) | instskip(NEXT) | instid1(VALU_DEP_1)
	v_pk_mul_f32 v[16:17], v[26:27], v[16:17] op_sel_hi:[0,1]
	v_pk_fma_f32 v[30:31], v[24:25], v[18:19], v[16:17] op_sel_hi:[0,1,1]
	v_pk_fma_f32 v[16:17], v[24:25], v[18:19], v[16:17] neg_lo:[0,0,1] neg_hi:[0,0,1]
	v_lshl_add_u64 v[18:19], v[0:1], 3, v[14:15]
	s_delay_alu instid0(VALU_DEP_3)
	v_mov_b32_e32 v17, v31
	s_cbranch_vccnz .LBB387_26
; %bb.25:                               ;   in Loop: Header=BB387_6 Depth=1
	flat_load_b64 v[30:31], v[18:19]
	v_mov_b64_e32 v[32:33], s[6:7]
	v_mov_b64_e32 v[34:35], s[2:3]
	s_mov_b32 s28, 0
	s_wait_loadcnt_dscnt 0x0
	s_delay_alu instid0(VALU_DEP_2) | instskip(NEXT) | instid1(VALU_DEP_1)
	v_pk_mul_f32 v[32:33], v[30:31], v[32:33]
	v_pk_fma_f32 v[36:37], v[30:31], v[34:35], v[32:33] op_sel:[0,0,1] op_sel_hi:[1,1,0]
	v_pk_fma_f32 v[30:31], v[30:31], v[34:35], v[32:33] op_sel:[0,0,1] op_sel_hi:[1,1,0] neg_lo:[0,0,1] neg_hi:[0,0,1]
	s_delay_alu instid0(VALU_DEP_2) | instskip(NEXT) | instid1(VALU_DEP_1)
	v_mov_b32_e32 v31, v37
	v_pk_add_f32 v[30:31], v[16:17], v[30:31]
	flat_store_b64 v[18:19], v[30:31]
.LBB387_26:                             ;   in Loop: Header=BB387_6 Depth=1
	s_and_not1_b32 vcc_lo, exec_lo, s28
	s_cbranch_vccnz .LBB387_28
; %bb.27:                               ;   in Loop: Header=BB387_6 Depth=1
	flat_store_b64 v[18:19], v[16:17]
.LBB387_28:                             ;   in Loop: Header=BB387_6 Depth=1
	s_wait_xcnt 0x0
	s_or_b32 exec_lo, exec_lo, s27
	s_and_saveexec_b32 s27, s33
	s_cbranch_execz .LBB387_5
; %bb.29:                               ;   in Loop: Header=BB387_6 Depth=1
	v_mov_b64_e32 v[16:17], s[4:5]
	v_mov_b64_e32 v[18:19], s[10:11]
	v_lshl_add_u64 v[14:15], v[6:7], 3, v[14:15]
	s_and_not1_b32 vcc_lo, exec_lo, s22
	s_mov_b32 s28, -1
	s_delay_alu instid0(VALU_DEP_3) | instskip(NEXT) | instid1(VALU_DEP_1)
	v_pk_mul_f32 v[16:17], v[22:23], v[16:17] op_sel_hi:[0,1]
	v_pk_fma_f32 v[30:31], v[20:21], v[18:19], v[16:17] op_sel_hi:[0,1,1]
	v_pk_fma_f32 v[16:17], v[20:21], v[18:19], v[16:17] neg_lo:[0,0,1] neg_hi:[0,0,1]
	s_delay_alu instid0(VALU_DEP_2)
	v_mov_b32_e32 v17, v31
	s_cbranch_vccnz .LBB387_31
; %bb.30:                               ;   in Loop: Header=BB387_6 Depth=1
	flat_load_b64 v[18:19], v[14:15]
	v_mov_b64_e32 v[30:31], s[6:7]
	v_mov_b64_e32 v[32:33], s[2:3]
	s_mov_b32 s28, 0
	s_wait_loadcnt_dscnt 0x0
	s_delay_alu instid0(VALU_DEP_2) | instskip(NEXT) | instid1(VALU_DEP_1)
	v_pk_mul_f32 v[30:31], v[18:19], v[30:31]
	v_pk_fma_f32 v[34:35], v[18:19], v[32:33], v[30:31] op_sel:[0,0,1] op_sel_hi:[1,1,0]
	v_pk_fma_f32 v[18:19], v[18:19], v[32:33], v[30:31] op_sel:[0,0,1] op_sel_hi:[1,1,0] neg_lo:[0,0,1] neg_hi:[0,0,1]
	s_delay_alu instid0(VALU_DEP_2) | instskip(NEXT) | instid1(VALU_DEP_1)
	v_mov_b32_e32 v19, v35
	v_pk_add_f32 v[18:19], v[16:17], v[18:19]
	flat_store_b64 v[14:15], v[18:19]
.LBB387_31:                             ;   in Loop: Header=BB387_6 Depth=1
	s_and_not1_b32 vcc_lo, exec_lo, s28
	s_cbranch_vccnz .LBB387_5
; %bb.32:                               ;   in Loop: Header=BB387_6 Depth=1
	flat_store_b64 v[14:15], v[16:17]
	s_branch .LBB387_5
.LBB387_33:
	s_sendmsg sendmsg(MSG_DEALLOC_VGPRS)
	s_endpgm
	.section	.rodata,"a",@progbits
	.p2align	6, 0x0
	.amdhsa_kernel _ZL29rocblas_internal_gemmt_kernelIiLi16ELi32ELi8ELc78ELc78ELc76ELb0ELb0E19rocblas_complex_numIfES1_PKPKS1_PKPS1_EviT_T9_T10_S9_lSB_S9_lSA_T11_S9_li
		.amdhsa_group_segment_fixed_size 4096
		.amdhsa_private_segment_fixed_size 0
		.amdhsa_kernarg_size 100
		.amdhsa_user_sgpr_count 2
		.amdhsa_user_sgpr_dispatch_ptr 0
		.amdhsa_user_sgpr_queue_ptr 0
		.amdhsa_user_sgpr_kernarg_segment_ptr 1
		.amdhsa_user_sgpr_dispatch_id 0
		.amdhsa_user_sgpr_kernarg_preload_length 0
		.amdhsa_user_sgpr_kernarg_preload_offset 0
		.amdhsa_user_sgpr_private_segment_size 0
		.amdhsa_wavefront_size32 1
		.amdhsa_uses_dynamic_stack 0
		.amdhsa_enable_private_segment 0
		.amdhsa_system_sgpr_workgroup_id_x 1
		.amdhsa_system_sgpr_workgroup_id_y 1
		.amdhsa_system_sgpr_workgroup_id_z 1
		.amdhsa_system_sgpr_workgroup_info 0
		.amdhsa_system_vgpr_workitem_id 1
		.amdhsa_next_free_vgpr 71
		.amdhsa_next_free_sgpr 36
		.amdhsa_named_barrier_count 0
		.amdhsa_reserve_vcc 1
		.amdhsa_float_round_mode_32 0
		.amdhsa_float_round_mode_16_64 0
		.amdhsa_float_denorm_mode_32 3
		.amdhsa_float_denorm_mode_16_64 3
		.amdhsa_fp16_overflow 0
		.amdhsa_memory_ordered 1
		.amdhsa_forward_progress 1
		.amdhsa_inst_pref_size 26
		.amdhsa_round_robin_scheduling 0
		.amdhsa_exception_fp_ieee_invalid_op 0
		.amdhsa_exception_fp_denorm_src 0
		.amdhsa_exception_fp_ieee_div_zero 0
		.amdhsa_exception_fp_ieee_overflow 0
		.amdhsa_exception_fp_ieee_underflow 0
		.amdhsa_exception_fp_ieee_inexact 0
		.amdhsa_exception_int_div_zero 0
	.end_amdhsa_kernel
	.section	.text._ZL29rocblas_internal_gemmt_kernelIiLi16ELi32ELi8ELc78ELc78ELc76ELb0ELb0E19rocblas_complex_numIfES1_PKPKS1_PKPS1_EviT_T9_T10_S9_lSB_S9_lSA_T11_S9_li,"axG",@progbits,_ZL29rocblas_internal_gemmt_kernelIiLi16ELi32ELi8ELc78ELc78ELc76ELb0ELb0E19rocblas_complex_numIfES1_PKPKS1_PKPS1_EviT_T9_T10_S9_lSB_S9_lSA_T11_S9_li,comdat
.Lfunc_end387:
	.size	_ZL29rocblas_internal_gemmt_kernelIiLi16ELi32ELi8ELc78ELc78ELc76ELb0ELb0E19rocblas_complex_numIfES1_PKPKS1_PKPS1_EviT_T9_T10_S9_lSB_S9_lSA_T11_S9_li, .Lfunc_end387-_ZL29rocblas_internal_gemmt_kernelIiLi16ELi32ELi8ELc78ELc78ELc76ELb0ELb0E19rocblas_complex_numIfES1_PKPKS1_PKPS1_EviT_T9_T10_S9_lSB_S9_lSA_T11_S9_li
                                        ; -- End function
	.set _ZL29rocblas_internal_gemmt_kernelIiLi16ELi32ELi8ELc78ELc78ELc76ELb0ELb0E19rocblas_complex_numIfES1_PKPKS1_PKPS1_EviT_T9_T10_S9_lSB_S9_lSA_T11_S9_li.num_vgpr, 71
	.set _ZL29rocblas_internal_gemmt_kernelIiLi16ELi32ELi8ELc78ELc78ELc76ELb0ELb0E19rocblas_complex_numIfES1_PKPKS1_PKPS1_EviT_T9_T10_S9_lSB_S9_lSA_T11_S9_li.num_agpr, 0
	.set _ZL29rocblas_internal_gemmt_kernelIiLi16ELi32ELi8ELc78ELc78ELc76ELb0ELb0E19rocblas_complex_numIfES1_PKPKS1_PKPS1_EviT_T9_T10_S9_lSB_S9_lSA_T11_S9_li.numbered_sgpr, 36
	.set _ZL29rocblas_internal_gemmt_kernelIiLi16ELi32ELi8ELc78ELc78ELc76ELb0ELb0E19rocblas_complex_numIfES1_PKPKS1_PKPS1_EviT_T9_T10_S9_lSB_S9_lSA_T11_S9_li.num_named_barrier, 0
	.set _ZL29rocblas_internal_gemmt_kernelIiLi16ELi32ELi8ELc78ELc78ELc76ELb0ELb0E19rocblas_complex_numIfES1_PKPKS1_PKPS1_EviT_T9_T10_S9_lSB_S9_lSA_T11_S9_li.private_seg_size, 0
	.set _ZL29rocblas_internal_gemmt_kernelIiLi16ELi32ELi8ELc78ELc78ELc76ELb0ELb0E19rocblas_complex_numIfES1_PKPKS1_PKPS1_EviT_T9_T10_S9_lSB_S9_lSA_T11_S9_li.uses_vcc, 1
	.set _ZL29rocblas_internal_gemmt_kernelIiLi16ELi32ELi8ELc78ELc78ELc76ELb0ELb0E19rocblas_complex_numIfES1_PKPKS1_PKPS1_EviT_T9_T10_S9_lSB_S9_lSA_T11_S9_li.uses_flat_scratch, 0
	.set _ZL29rocblas_internal_gemmt_kernelIiLi16ELi32ELi8ELc78ELc78ELc76ELb0ELb0E19rocblas_complex_numIfES1_PKPKS1_PKPS1_EviT_T9_T10_S9_lSB_S9_lSA_T11_S9_li.has_dyn_sized_stack, 0
	.set _ZL29rocblas_internal_gemmt_kernelIiLi16ELi32ELi8ELc78ELc78ELc76ELb0ELb0E19rocblas_complex_numIfES1_PKPKS1_PKPS1_EviT_T9_T10_S9_lSB_S9_lSA_T11_S9_li.has_recursion, 0
	.set _ZL29rocblas_internal_gemmt_kernelIiLi16ELi32ELi8ELc78ELc78ELc76ELb0ELb0E19rocblas_complex_numIfES1_PKPKS1_PKPS1_EviT_T9_T10_S9_lSB_S9_lSA_T11_S9_li.has_indirect_call, 0
	.section	.AMDGPU.csdata,"",@progbits
; Kernel info:
; codeLenInByte = 3228
; TotalNumSgprs: 38
; NumVgprs: 71
; ScratchSize: 0
; MemoryBound: 0
; FloatMode: 240
; IeeeMode: 1
; LDSByteSize: 4096 bytes/workgroup (compile time only)
; SGPRBlocks: 0
; VGPRBlocks: 4
; NumSGPRsForWavesPerEU: 38
; NumVGPRsForWavesPerEU: 71
; NamedBarCnt: 0
; Occupancy: 12
; WaveLimiterHint : 1
; COMPUTE_PGM_RSRC2:SCRATCH_EN: 0
; COMPUTE_PGM_RSRC2:USER_SGPR: 2
; COMPUTE_PGM_RSRC2:TRAP_HANDLER: 0
; COMPUTE_PGM_RSRC2:TGID_X_EN: 1
; COMPUTE_PGM_RSRC2:TGID_Y_EN: 1
; COMPUTE_PGM_RSRC2:TGID_Z_EN: 1
; COMPUTE_PGM_RSRC2:TIDIG_COMP_CNT: 1
	.section	.text._ZL29rocblas_internal_gemmt_kernelIiLi16ELi32ELi8ELc78ELc84ELc76ELb0ELb0E19rocblas_complex_numIfES1_PKPKS1_PKPS1_EviT_T9_T10_S9_lSB_S9_lSA_T11_S9_li,"axG",@progbits,_ZL29rocblas_internal_gemmt_kernelIiLi16ELi32ELi8ELc78ELc84ELc76ELb0ELb0E19rocblas_complex_numIfES1_PKPKS1_PKPS1_EviT_T9_T10_S9_lSB_S9_lSA_T11_S9_li,comdat
	.globl	_ZL29rocblas_internal_gemmt_kernelIiLi16ELi32ELi8ELc78ELc84ELc76ELb0ELb0E19rocblas_complex_numIfES1_PKPKS1_PKPS1_EviT_T9_T10_S9_lSB_S9_lSA_T11_S9_li ; -- Begin function _ZL29rocblas_internal_gemmt_kernelIiLi16ELi32ELi8ELc78ELc84ELc76ELb0ELb0E19rocblas_complex_numIfES1_PKPKS1_PKPS1_EviT_T9_T10_S9_lSB_S9_lSA_T11_S9_li
	.p2align	8
	.type	_ZL29rocblas_internal_gemmt_kernelIiLi16ELi32ELi8ELc78ELc84ELc76ELb0ELb0E19rocblas_complex_numIfES1_PKPKS1_PKPS1_EviT_T9_T10_S9_lSB_S9_lSA_T11_S9_li,@function
_ZL29rocblas_internal_gemmt_kernelIiLi16ELi32ELi8ELc78ELc84ELc76ELb0ELb0E19rocblas_complex_numIfES1_PKPKS1_PKPS1_EviT_T9_T10_S9_lSB_S9_lSA_T11_S9_li: ; @_ZL29rocblas_internal_gemmt_kernelIiLi16ELi32ELi8ELc78ELc84ELc76ELb0ELb0E19rocblas_complex_numIfES1_PKPKS1_PKPS1_EviT_T9_T10_S9_lSB_S9_lSA_T11_S9_li
; %bb.0:
	s_clause 0x1
	s_load_b64 s[6:7], s[0:1], 0x40
	s_load_b128 s[8:11], s[0:1], 0x0
	s_wait_kmcnt 0x0
	s_cmp_neq_f32 s6, 1.0
	s_cselect_b32 s2, -1, 0
	s_and_b32 s3, s7, 0x7fffffff
	s_delay_alu instid0(SALU_CYCLE_1) | instskip(SKIP_3) | instid1(SALU_CYCLE_1)
	s_cmp_eq_u32 s3, 0
	s_cselect_b32 s4, -1, 0
	s_cmp_lg_u32 s3, 0
	s_cselect_b32 s3, -1, 0
	s_or_b32 s2, s2, s3
	s_delay_alu instid0(SALU_CYCLE_1)
	s_and_b32 vcc_lo, exec_lo, s2
	s_cbranch_vccnz .LBB388_2
; %bb.1:
	s_cmp_lg_u32 s9, 0
	s_cselect_b32 s2, -1, 0
	s_cmp_neq_f32 s10, 0
	s_cselect_b32 s3, -1, 0
	s_cmp_neq_f32 s11, 0
	s_cselect_b32 s5, -1, 0
	s_delay_alu instid0(SALU_CYCLE_1) | instskip(NEXT) | instid1(SALU_CYCLE_1)
	s_or_b32 s3, s3, s5
	s_and_b32 s2, s2, s3
.LBB388_2:
	s_delay_alu instid0(SALU_CYCLE_1)
	s_and_not1_b32 vcc_lo, exec_lo, s2
	s_cbranch_vccnz .LBB388_33
; %bb.3:
	s_load_b32 s33, s[0:1], 0x60
	s_bfe_u32 s2, ttmp6, 0x40014
	s_lshr_b32 s3, ttmp7, 16
	s_add_co_i32 s2, s2, 1
	s_bfe_u32 s12, ttmp6, 0x40008
	s_mul_i32 s5, s3, s2
	s_getreg_b32 s2, hwreg(HW_REG_IB_STS2, 6, 4)
	s_add_co_i32 s12, s12, s5
	s_cmp_eq_u32 s2, 0
	s_mov_b32 s25, 0
	s_cselect_b32 s24, s3, s12
	s_wait_kmcnt 0x0
	s_cmp_ge_u32 s24, s33
	s_cbranch_scc1 .LBB388_33
; %bb.4:
	s_clause 0x2
	s_load_b96 s[16:18], s[0:1], 0x10
	s_load_b32 s26, s[0:1], 0x30
	s_load_b96 s[20:22], s[0:1], 0x48
	v_and_b32_e32 v4, 0x3ff, v0
	v_bfe_u32 v5, v0, 10, 10
	s_clause 0x2
	s_load_b128 s[12:15], s[0:1], 0x20
	s_load_b64 s[28:29], s[0:1], 0x38
	s_load_b64 s[30:31], s[0:1], 0x58
	s_wait_xcnt 0x0
	s_bfe_u32 s1, ttmp6, 0x4000c
	s_bfe_u32 s3, ttmp6, 0x40010
	s_and_b32 s5, ttmp7, 0xffff
	s_add_co_i32 s1, s1, 1
	s_add_co_i32 s3, s3, 1
	v_lshl_add_u32 v1, v5, 4, v4
	s_and_b32 s0, ttmp6, 15
	s_bfe_u32 s23, ttmp6, 0x40004
	s_mul_i32 s1, ttmp9, s1
	s_mul_i32 s34, s5, s3
	s_add_co_i32 s0, s0, s1
	s_add_co_i32 s23, s23, s34
	v_dual_lshrrev_b32 v2, 5, v1 :: v_dual_bitop2_b32 v0, 7, v0 bitop3:0x40
	s_wait_kmcnt 0x0
	s_ashr_i32 s19, s18, 31
	s_ashr_i32 s27, s26, 31
	;; [unrolled: 1-line block ×3, first 2 shown]
	s_cmp_eq_u32 s2, 0
	v_dual_lshrrev_b32 v6, 3, v1 :: v_dual_bitop2_b32 v1, 31, v1 bitop3:0x40
	s_cselect_b32 s0, ttmp9, s0
	s_cselect_b32 s1, s5, s23
	s_lshl_b32 s5, s0, 5
	s_lshl_b32 s23, s1, 5
	s_delay_alu instid0(SALU_CYCLE_1) | instskip(SKIP_2) | instid1(VALU_DEP_3)
	v_dual_add_nc_u32 v14, s23, v6 :: v_dual_bitop2_b32 v12, s5, v1 bitop3:0x54
	v_dual_lshlrev_b32 v1, 3, v1 :: v_dual_lshlrev_b32 v7, 3, v0
	v_dual_mov_b32 v3, 0 :: v_dual_add_nc_u32 v16, s23, v5
	v_ashrrev_i32_e32 v15, 31, v14
	s_delay_alu instid0(VALU_DEP_3) | instskip(SKIP_1) | instid1(VALU_DEP_3)
	v_lshl_or_b32 v23, v2, 8, v1
	s_cmp_neq_f32 s10, 0
	v_mov_b32_e32 v1, v3
	v_mul_u64_e32 v[18:19], s[18:19], v[2:3]
	v_dual_add_nc_u32 v26, 16, v16 :: v_dual_ashrrev_i32 v17, 31, v16
	v_lshl_or_b32 v6, v6, 6, v7
	s_delay_alu instid0(VALU_DEP_4) | instskip(SKIP_1) | instid1(VALU_DEP_4)
	v_mul_u64_e32 v[20:21], s[26:27], v[0:1]
	v_dual_lshlrev_b32 v1, 3, v4 :: v_dual_add_nc_u32 v4, s5, v4
	v_ashrrev_i32_e32 v27, 31, v26
	s_cselect_b32 s0, -1, 0
	s_cmp_neq_f32 s11, 0
	s_mov_b32 s2, s22
	v_add_nc_u32_e32 v25, 0x800, v6
	v_mul_u64_e32 v[6:7], s[2:3], v[16:17]
	v_add_nc_u32_e32 v8, 16, v4
	v_mul_u64_e32 v[10:11], s[2:3], v[26:27]
	s_cselect_b32 s1, -1, 0
	v_cmp_le_i32_e32 vcc_lo, v16, v4
	s_or_b32 s22, s0, s1
	s_cmp_gt_i32 s9, 0
	v_cmp_le_i32_e64 s3, v16, v8
	s_cselect_b32 s38, -1, 0
	s_cmp_neq_f32 s6, 0
	v_cmp_gt_i32_e64 s2, s8, v4
	v_ashrrev_i32_e32 v13, 31, v12
	v_cmp_gt_i32_e64 s0, s8, v12
	s_cselect_b32 s5, -1, 0
	s_xor_b32 s4, s4, -1
	v_cmp_gt_i32_e64 s1, s8, v14
	s_or_b32 s34, s5, s4
	v_cmp_gt_i32_e64 s4, s8, v8
	v_cmp_le_i32_e64 s5, v26, v8
	s_and_b32 s8, vcc_lo, s2
	v_cmp_le_i32_e32 vcc_lo, v26, v4
	v_lshl_add_u32 v27, v5, 6, 0x800
	s_and_b32 s35, s3, s4
	s_and_b32 s37, s5, s4
	s_lshl_b64 s[4:5], s[12:13], 3
	v_ashrrev_i32_e32 v5, 31, v4
	v_lshl_add_u64 v[16:17], v[18:19], 3, s[4:5]
	s_lshl_b64 s[4:5], s[28:29], 3
	v_ashrrev_i32_e32 v9, 31, v8
	v_lshl_add_u64 v[18:19], v[20:21], 3, s[4:5]
	s_and_b32 s36, vcc_lo, s2
	v_lshl_add_u64 v[12:13], v[12:13], 3, v[16:17]
	s_mov_b32 s2, s6
	s_mov_b32 s3, s6
	v_lshl_add_u64 v[14:15], v[14:15], 3, v[18:19]
	s_mov_b32 s6, s7
	s_mov_b32 s4, s11
	;; [unrolled: 1-line block ×3, first 2 shown]
	s_and_b32 s28, s22, s38
	s_lshl_b64 s[12:13], s[18:19], 6
	s_lshl_b64 s[18:19], s[26:27], 6
	;; [unrolled: 1-line block ×3, first 2 shown]
	s_branch .LBB388_6
.LBB388_5:                              ;   in Loop: Header=BB388_6 Depth=1
	s_wait_xcnt 0x0
	s_or_b32 exec_lo, exec_lo, s26
	s_add_co_i32 s24, s24, 0x10000
	s_delay_alu instid0(SALU_CYCLE_1)
	s_cmp_lt_u32 s24, s33
	s_cbranch_scc0 .LBB388_33
.LBB388_6:                              ; =>This Loop Header: Depth=1
                                        ;     Child Loop BB388_9 Depth 2
	v_dual_mov_b32 v16, s24 :: v_dual_mov_b32 v34, 0
	v_dual_mov_b32 v36, 0 :: v_dual_mov_b32 v30, 0
	;; [unrolled: 1-line block ×3, first 2 shown]
	global_load_b64 v[16:17], v16, s[20:21] scale_offset
	v_dual_mov_b32 v28, 0 :: v_dual_mov_b32 v22, 0
	v_mov_b32_e32 v24, 0
	s_and_not1_b32 vcc_lo, exec_lo, s28
	s_cbranch_vccnz .LBB388_13
; %bb.7:                                ;   in Loop: Header=BB388_6 Depth=1
	s_lshl_b64 s[26:27], s[24:25], 3
	v_dual_mov_b32 v24, 0 :: v_dual_mov_b32 v22, 0
	s_add_nc_u64 s[30:31], s[16:17], s[26:27]
	s_add_nc_u64 s[26:27], s[14:15], s[26:27]
	s_clause 0x1
	global_load_b64 v[18:19], v3, s[30:31]
	global_load_b64 v[20:21], v3, s[26:27]
	v_dual_mov_b32 v28, 0 :: v_dual_mov_b32 v26, 0
	v_dual_mov_b32 v32, 0 :: v_dual_mov_b32 v30, 0
	;; [unrolled: 1-line block ×3, first 2 shown]
	s_wait_xcnt 0x0
	s_mov_b32 s26, 0
	s_wait_loadcnt 0x1
	v_add_nc_u64_e32 v[18:19], v[18:19], v[12:13]
	s_wait_loadcnt 0x0
	v_add_nc_u64_e32 v[20:21], v[20:21], v[14:15]
	s_branch .LBB388_9
.LBB388_8:                              ;   in Loop: Header=BB388_9 Depth=2
	s_wait_xcnt 0x0
	s_or_b32 exec_lo, exec_lo, s27
	s_wait_loadcnt_dscnt 0x0
	ds_store_b64 v25, v[40:41]
	s_wait_dscnt 0x0
	s_barrier_signal -1
	s_barrier_wait -1
	ds_load_b128 v[38:41], v27
	ds_load_2addr_b64 v[42:45], v1 offset1:16
	ds_load_b128 v[46:49], v27 offset:1024
	ds_load_b128 v[50:53], v27 offset:16
	ds_load_2addr_b64 v[54:57], v1 offset0:32 offset1:48
	ds_load_b128 v[58:61], v27 offset:32
	ds_load_b128 v[62:65], v27 offset:48
	;; [unrolled: 1-line block ×3, first 2 shown]
	v_add_nc_u64_e32 v[18:19], s[12:13], v[18:19]
	v_add_nc_u64_e32 v[20:21], s[18:19], v[20:21]
	s_add_co_i32 s26, s26, 8
	s_delay_alu instid0(SALU_CYCLE_1)
	s_cmp_lt_i32 s26, s9
	s_wait_dscnt 0x6
	v_dual_mul_f32 v29, v39, v43 :: v_dual_mul_f32 v31, v38, v43
	v_dual_mul_f32 v33, v39, v45 :: v_dual_mul_f32 v35, v38, v45
	s_wait_dscnt 0x5
	v_dual_mul_f32 v37, v47, v43 :: v_dual_mul_f32 v43, v46, v43
	v_dual_mul_f32 v70, v47, v45 :: v_dual_mul_f32 v45, v46, v45
	v_dual_fma_f32 v29, v38, v42, -v29 :: v_dual_fmac_f32 v31, v39, v42
	v_dual_fma_f32 v33, v38, v44, -v33 :: v_dual_fmac_f32 v35, v39, v44
	s_delay_alu instid0(VALU_DEP_4) | instskip(NEXT) | instid1(VALU_DEP_3)
	v_dual_fma_f32 v37, v46, v42, -v37 :: v_dual_fmac_f32 v43, v47, v42
	v_dual_fma_f32 v38, v46, v44, -v70 :: v_dual_add_f32 v36, v36, v31
	s_delay_alu instid0(VALU_DEP_3) | instskip(NEXT) | instid1(VALU_DEP_3)
	v_dual_add_f32 v34, v34, v29 :: v_dual_add_f32 v32, v32, v35
	v_dual_add_f32 v33, v30, v33 :: v_dual_add_f32 v35, v28, v43
	s_wait_dscnt 0x3
	v_dual_add_f32 v26, v26, v37 :: v_dual_mul_f32 v37, v41, v55
	ds_load_2addr_b64 v[28:31], v1 offset0:64 offset1:80
	v_dual_fmac_f32 v45, v47, v44 :: v_dual_add_f32 v22, v22, v38
	v_dual_mul_f32 v38, v40, v55 :: v_dual_fma_f32 v37, v40, v54, -v37
	v_mul_f32_e32 v39, v41, v57
	s_delay_alu instid0(VALU_DEP_2) | instskip(SKIP_1) | instid1(VALU_DEP_3)
	v_dual_add_f32 v24, v24, v45 :: v_dual_fmac_f32 v38, v41, v54
	v_mul_f32_e32 v42, v40, v57
	v_dual_add_f32 v37, v34, v37 :: v_dual_fma_f32 v34, v40, v56, -v39
	s_delay_alu instid0(VALU_DEP_3) | instskip(NEXT) | instid1(VALU_DEP_3)
	v_dual_mul_f32 v39, v49, v55 :: v_dual_add_f32 v36, v36, v38
	v_dual_fmac_f32 v42, v41, v56 :: v_dual_mul_f32 v38, v48, v55
	s_delay_alu instid0(VALU_DEP_3) | instskip(NEXT) | instid1(VALU_DEP_3)
	v_dual_add_f32 v40, v33, v34 :: v_dual_mul_f32 v41, v48, v57
	v_dual_fma_f32 v33, v48, v54, -v39 :: v_dual_mul_f32 v34, v49, v57
	s_delay_alu instid0(VALU_DEP_3) | instskip(NEXT) | instid1(VALU_DEP_3)
	v_add_f32_e32 v39, v32, v42
	v_dual_fmac_f32 v38, v49, v54 :: v_dual_fmac_f32 v41, v49, v56
	s_wait_dscnt 0x0
	v_mul_f32_e32 v42, v50, v29
	v_add_f32_e32 v26, v26, v33
	v_dual_mul_f32 v33, v51, v29 :: v_dual_fma_f32 v32, v48, v56, -v34
	v_add_f32_e32 v38, v35, v38
	s_delay_alu instid0(VALU_DEP_4) | instskip(NEXT) | instid1(VALU_DEP_3)
	v_dual_mul_f32 v44, v51, v31 :: v_dual_fmac_f32 v42, v51, v28
	v_fma_f32 v43, v50, v28, -v33
	s_delay_alu instid0(VALU_DEP_4) | instskip(SKIP_4) | instid1(VALU_DEP_3)
	v_add_f32_e32 v22, v22, v32
	ds_load_2addr_b64 v[32:35], v1 offset0:96 offset1:112
	v_dual_add_f32 v24, v24, v41 :: v_dual_mul_f32 v41, v50, v31
	v_dual_add_f32 v37, v37, v43 :: v_dual_fma_f32 v43, v50, v30, -v44
	v_dual_add_f32 v36, v36, v42 :: v_dual_mul_f32 v42, v67, v29
	v_dual_mul_f32 v29, v66, v29 :: v_dual_fmac_f32 v41, v51, v30
	s_delay_alu instid0(VALU_DEP_3) | instskip(NEXT) | instid1(VALU_DEP_3)
	v_add_f32_e32 v40, v40, v43
	v_dual_mul_f32 v43, v67, v31 :: v_dual_fma_f32 v42, v66, v28, -v42
	s_delay_alu instid0(VALU_DEP_3) | instskip(NEXT) | instid1(VALU_DEP_2)
	v_dual_fmac_f32 v29, v67, v28 :: v_dual_mul_f32 v44, v66, v31
	v_dual_add_f32 v41, v39, v41 :: v_dual_fma_f32 v28, v66, v30, -v43
	s_delay_alu instid0(VALU_DEP_3) | instskip(NEXT) | instid1(VALU_DEP_3)
	v_add_f32_e32 v26, v26, v42
	v_dual_add_f32 v42, v38, v29 :: v_dual_fmac_f32 v44, v67, v30
	s_wait_dscnt 0x0
	s_delay_alu instid0(VALU_DEP_3)
	v_dual_mul_f32 v38, v53, v33 :: v_dual_add_f32 v22, v22, v28
	v_mul_f32_e32 v39, v52, v33
	ds_load_2addr_b64 v[28:31], v1 offset0:128 offset1:144
	v_dual_mul_f32 v43, v53, v35 :: v_dual_fma_f32 v38, v52, v32, -v38
	v_fmac_f32_e32 v39, v53, v32
	v_add_f32_e32 v24, v24, v44
	s_delay_alu instid0(VALU_DEP_3) | instskip(NEXT) | instid1(VALU_DEP_4)
	v_dual_mul_f32 v44, v52, v35 :: v_dual_fma_f32 v43, v52, v34, -v43
	v_add_f32_e32 v45, v37, v38
	s_delay_alu instid0(VALU_DEP_4) | instskip(NEXT) | instid1(VALU_DEP_3)
	v_dual_mul_f32 v37, v69, v33 :: v_dual_add_f32 v46, v36, v39
	v_dual_fmac_f32 v44, v53, v34 :: v_dual_add_f32 v47, v40, v43
	s_delay_alu instid0(VALU_DEP_2)
	v_dual_mul_f32 v33, v68, v33 :: v_dual_fma_f32 v40, v68, v32, -v37
	v_mul_f32_e32 v43, v69, v35
	ds_load_b128 v[36:39], v27 offset:1056
	v_dual_add_f32 v44, v41, v44 :: v_dual_mul_f32 v41, v68, v35
	v_dual_fmac_f32 v33, v69, v32 :: v_dual_fma_f32 v32, v68, v34, -v43
	s_wait_dscnt 0x1
	v_dual_add_f32 v26, v26, v40 :: v_dual_mul_f32 v35, v59, v29
	s_delay_alu instid0(VALU_DEP_2) | instskip(NEXT) | instid1(VALU_DEP_3)
	v_dual_fmac_f32 v41, v69, v34 :: v_dual_add_f32 v48, v42, v33
	v_dual_mul_f32 v42, v59, v31 :: v_dual_add_f32 v22, v22, v32
	s_delay_alu instid0(VALU_DEP_3)
	v_dual_mul_f32 v49, v58, v29 :: v_dual_fma_f32 v40, v58, v28, -v35
	ds_load_2addr_b64 v[32:35], v1 offset0:160 offset1:176
	v_dual_add_f32 v24, v24, v41 :: v_dual_mul_f32 v50, v58, v31
	v_fmac_f32_e32 v49, v59, v28
	v_dual_add_f32 v45, v45, v40 :: v_dual_fma_f32 v51, v58, v30, -v42
	ds_load_b128 v[40:43], v27 offset:1072
	s_wait_dscnt 0x2
	v_dual_mul_f32 v52, v37, v29 :: v_dual_fmac_f32 v50, v59, v30
	v_dual_add_f32 v46, v46, v49 :: v_dual_add_f32 v47, v47, v51
	s_delay_alu instid0(VALU_DEP_2) | instskip(NEXT) | instid1(VALU_DEP_3)
	v_dual_mul_f32 v29, v36, v29 :: v_dual_fma_f32 v49, v36, v28, -v52
	v_dual_mul_f32 v51, v37, v31 :: v_dual_add_f32 v44, v44, v50
	s_delay_alu instid0(VALU_DEP_2) | instskip(NEXT) | instid1(VALU_DEP_2)
	v_dual_mul_f32 v50, v36, v31 :: v_dual_fmac_f32 v29, v37, v28
	v_dual_add_f32 v26, v26, v49 :: v_dual_fma_f32 v28, v36, v30, -v51
	s_wait_dscnt 0x1
	v_mul_f32_e32 v31, v61, v33
	s_delay_alu instid0(VALU_DEP_3) | instskip(NEXT) | instid1(VALU_DEP_3)
	v_dual_add_f32 v36, v48, v29 :: v_dual_fmac_f32 v50, v37, v30
	v_dual_mul_f32 v37, v60, v33 :: v_dual_add_f32 v22, v22, v28
	s_delay_alu instid0(VALU_DEP_3) | instskip(SKIP_3) | instid1(VALU_DEP_2)
	v_dual_mul_f32 v49, v61, v35 :: v_dual_fma_f32 v48, v60, v32, -v31
	ds_load_2addr_b64 v[28:31], v1 offset0:192 offset1:208
	v_dual_fmac_f32 v37, v61, v32 :: v_dual_add_f32 v24, v24, v50
	v_dual_fma_f32 v49, v60, v34, -v49 :: v_dual_add_f32 v48, v45, v48
	v_dual_mul_f32 v45, v60, v35 :: v_dual_add_f32 v37, v46, v37
	v_dual_mul_f32 v46, v39, v33 :: v_dual_mul_f32 v33, v38, v33
	s_delay_alu instid0(VALU_DEP_2) | instskip(NEXT) | instid1(VALU_DEP_2)
	v_dual_add_f32 v49, v47, v49 :: v_dual_fmac_f32 v45, v61, v34
	v_dual_mul_f32 v47, v39, v35 :: v_dual_fma_f32 v46, v38, v32, -v46
	s_delay_alu instid0(VALU_DEP_3) | instskip(NEXT) | instid1(VALU_DEP_2)
	v_dual_fmac_f32 v33, v39, v32 :: v_dual_mul_f32 v35, v38, v35
	v_dual_add_f32 v32, v44, v45 :: v_dual_fma_f32 v38, v38, v34, -v47
	s_delay_alu instid0(VALU_DEP_2)
	v_dual_add_f32 v26, v26, v46 :: v_dual_add_f32 v33, v36, v33
	ds_load_2addr_b64 v[44:47], v1 offset0:224 offset1:240
	s_wait_dscnt 0x1
	v_mul_f32_e32 v36, v63, v29
	v_dual_fmac_f32 v35, v39, v34 :: v_dual_mul_f32 v34, v62, v29
	v_add_f32_e32 v22, v22, v38
	s_delay_alu instid0(VALU_DEP_3) | instskip(NEXT) | instid1(VALU_DEP_3)
	v_dual_mul_f32 v38, v62, v31 :: v_dual_fma_f32 v36, v62, v28, -v36
	v_add_f32_e32 v24, v24, v35
	s_delay_alu instid0(VALU_DEP_4) | instskip(NEXT) | instid1(VALU_DEP_3)
	v_dual_mul_f32 v35, v63, v31 :: v_dual_fmac_f32 v34, v63, v28
	v_dual_mul_f32 v39, v41, v29 :: v_dual_add_f32 v36, v48, v36
	s_delay_alu instid0(VALU_DEP_2) | instskip(NEXT) | instid1(VALU_DEP_3)
	v_dual_fmac_f32 v38, v63, v30 :: v_dual_fma_f32 v35, v62, v30, -v35
	v_dual_add_f32 v37, v37, v34 :: v_dual_mul_f32 v29, v40, v29
	s_delay_alu instid0(VALU_DEP_3) | instskip(NEXT) | instid1(VALU_DEP_3)
	v_dual_fma_f32 v34, v40, v28, -v39 :: v_dual_mul_f32 v39, v41, v31
	v_dual_add_f32 v32, v32, v38 :: v_dual_add_f32 v35, v49, v35
	s_delay_alu instid0(VALU_DEP_2) | instskip(NEXT) | instid1(VALU_DEP_3)
	v_dual_fmac_f32 v29, v41, v28 :: v_dual_add_f32 v26, v26, v34
	v_dual_mul_f32 v28, v40, v31 :: v_dual_fma_f32 v31, v40, v30, -v39
	s_wait_dscnt 0x0
	v_dual_mul_f32 v34, v65, v45 :: v_dual_mul_f32 v38, v64, v45
	s_delay_alu instid0(VALU_DEP_3) | instskip(NEXT) | instid1(VALU_DEP_3)
	v_add_f32_e32 v29, v33, v29
	v_dual_fmac_f32 v28, v41, v30 :: v_dual_add_f32 v22, v22, v31
	s_delay_alu instid0(VALU_DEP_3) | instskip(NEXT) | instid1(VALU_DEP_4)
	v_fma_f32 v30, v64, v44, -v34
	v_dual_fmac_f32 v38, v65, v44 :: v_dual_mul_f32 v31, v65, v47
	v_dual_mul_f32 v33, v64, v47 :: v_dual_mul_f32 v39, v42, v47
	s_delay_alu instid0(VALU_DEP_3) | instskip(NEXT) | instid1(VALU_DEP_3)
	v_add_f32_e32 v34, v36, v30
	v_dual_add_f32 v36, v37, v38 :: v_dual_add_f32 v24, v24, v28
	s_delay_alu instid0(VALU_DEP_3) | instskip(SKIP_2) | instid1(VALU_DEP_3)
	v_dual_fmac_f32 v33, v65, v46 :: v_dual_fma_f32 v28, v64, v46, -v31
	v_dual_mul_f32 v37, v42, v45 :: v_dual_mul_f32 v31, v43, v45
	v_dual_mul_f32 v38, v43, v47 :: v_dual_fmac_f32 v39, v43, v46
	v_dual_add_f32 v32, v32, v33 :: v_dual_add_f32 v30, v35, v28
	s_delay_alu instid0(VALU_DEP_3) | instskip(NEXT) | instid1(VALU_DEP_3)
	v_dual_fma_f32 v28, v42, v44, -v31 :: v_dual_fmac_f32 v37, v43, v44
	v_dual_fma_f32 v31, v42, v46, -v38 :: v_dual_add_f32 v24, v24, v39
	s_delay_alu instid0(VALU_DEP_2) | instskip(NEXT) | instid1(VALU_DEP_2)
	v_dual_add_f32 v26, v26, v28 :: v_dual_add_f32 v28, v29, v37
	v_add_f32_e32 v22, v22, v31
	s_barrier_signal -1
	s_barrier_wait -1
	s_cbranch_scc0 .LBB388_13
.LBB388_9:                              ;   Parent Loop BB388_6 Depth=1
                                        ; =>  This Inner Loop Header: Depth=2
	v_dual_mov_b32 v38, 0 :: v_dual_add_nc_u32 v29, s26, v2
	v_mov_b32_e32 v39, 0
	s_delay_alu instid0(VALU_DEP_2) | instskip(SKIP_1) | instid1(SALU_CYCLE_1)
	v_cmp_gt_i32_e32 vcc_lo, s9, v29
	s_and_b32 s29, s0, vcc_lo
	s_and_saveexec_b32 s27, s29
	s_cbranch_execz .LBB388_11
; %bb.10:                               ;   in Loop: Header=BB388_9 Depth=2
	flat_load_b64 v[38:39], v[18:19]
.LBB388_11:                             ;   in Loop: Header=BB388_9 Depth=2
	s_wait_xcnt 0x0
	s_or_b32 exec_lo, exec_lo, s27
	v_dual_mov_b32 v40, 0 :: v_dual_add_nc_u32 v29, s26, v0
	v_mov_b32_e32 v41, 0
	s_wait_loadcnt_dscnt 0x0
	ds_store_b64 v23, v[38:39]
	v_cmp_gt_i32_e32 vcc_lo, s9, v29
	s_and_b32 s29, vcc_lo, s1
	s_delay_alu instid0(SALU_CYCLE_1)
	s_and_saveexec_b32 s27, s29
	s_cbranch_execz .LBB388_8
; %bb.12:                               ;   in Loop: Header=BB388_9 Depth=2
	flat_load_b64 v[40:41], v[20:21]
	s_branch .LBB388_8
.LBB388_13:                             ;   in Loop: Header=BB388_6 Depth=1
	s_wait_loadcnt 0x0
	s_wait_xcnt 0x0
	v_add_nc_u64_e32 v[16:17], s[22:23], v[16:17]
	s_delay_alu instid0(VALU_DEP_1)
	v_lshl_add_u64 v[18:19], v[6:7], 3, v[16:17]
	s_and_saveexec_b32 s26, s8
	s_cbranch_execz .LBB388_18
; %bb.14:                               ;   in Loop: Header=BB388_6 Depth=1
	v_mov_b64_e32 v[20:21], s[4:5]
	v_mov_b64_e32 v[38:39], s[10:11]
	s_and_b32 vcc_lo, exec_lo, s34
	s_mov_b32 s27, -1
	s_delay_alu instid0(VALU_DEP_2) | instskip(NEXT) | instid1(VALU_DEP_1)
	v_pk_mul_f32 v[20:21], v[36:37], v[20:21] op_sel_hi:[0,1]
	v_pk_fma_f32 v[36:37], v[34:35], v[38:39], v[20:21] op_sel_hi:[0,1,1]
	v_pk_fma_f32 v[20:21], v[34:35], v[38:39], v[20:21] neg_lo:[0,0,1] neg_hi:[0,0,1]
	v_lshl_add_u64 v[34:35], v[4:5], 3, v[18:19]
	s_delay_alu instid0(VALU_DEP_3)
	v_mov_b32_e32 v21, v37
	s_cbranch_vccz .LBB388_16
; %bb.15:                               ;   in Loop: Header=BB388_6 Depth=1
	flat_load_b64 v[36:37], v[34:35]
	v_mov_b64_e32 v[38:39], s[6:7]
	v_mov_b64_e32 v[40:41], s[2:3]
	s_mov_b32 s27, 0
	s_wait_loadcnt_dscnt 0x0
	s_delay_alu instid0(VALU_DEP_2) | instskip(NEXT) | instid1(VALU_DEP_1)
	v_pk_mul_f32 v[38:39], v[36:37], v[38:39]
	v_pk_fma_f32 v[42:43], v[36:37], v[40:41], v[38:39] op_sel:[0,0,1] op_sel_hi:[1,1,0]
	v_pk_fma_f32 v[36:37], v[36:37], v[40:41], v[38:39] op_sel:[0,0,1] op_sel_hi:[1,1,0] neg_lo:[0,0,1] neg_hi:[0,0,1]
	s_delay_alu instid0(VALU_DEP_2) | instskip(NEXT) | instid1(VALU_DEP_1)
	v_mov_b32_e32 v37, v43
	v_pk_add_f32 v[36:37], v[20:21], v[36:37]
	flat_store_b64 v[34:35], v[36:37]
.LBB388_16:                             ;   in Loop: Header=BB388_6 Depth=1
	s_and_not1_b32 vcc_lo, exec_lo, s27
	s_cbranch_vccnz .LBB388_18
; %bb.17:                               ;   in Loop: Header=BB388_6 Depth=1
	flat_store_b64 v[34:35], v[20:21]
.LBB388_18:                             ;   in Loop: Header=BB388_6 Depth=1
	s_wait_xcnt 0x0
	s_or_b32 exec_lo, exec_lo, s26
	s_and_saveexec_b32 s26, s35
	s_cbranch_execz .LBB388_23
; %bb.19:                               ;   in Loop: Header=BB388_6 Depth=1
	v_mov_b64_e32 v[20:21], s[4:5]
	v_mov_b64_e32 v[34:35], s[10:11]
	v_lshl_add_u64 v[18:19], v[8:9], 3, v[18:19]
	s_and_not1_b32 vcc_lo, exec_lo, s34
	s_mov_b32 s27, -1
	s_delay_alu instid0(VALU_DEP_3) | instskip(NEXT) | instid1(VALU_DEP_1)
	v_pk_mul_f32 v[20:21], v[32:33], v[20:21] op_sel_hi:[0,1]
	v_pk_fma_f32 v[32:33], v[30:31], v[34:35], v[20:21] op_sel_hi:[0,1,1]
	v_pk_fma_f32 v[20:21], v[30:31], v[34:35], v[20:21] neg_lo:[0,0,1] neg_hi:[0,0,1]
	s_delay_alu instid0(VALU_DEP_2)
	v_mov_b32_e32 v21, v33
	s_cbranch_vccnz .LBB388_21
; %bb.20:                               ;   in Loop: Header=BB388_6 Depth=1
	flat_load_b64 v[30:31], v[18:19]
	v_mov_b64_e32 v[32:33], s[6:7]
	v_mov_b64_e32 v[34:35], s[2:3]
	s_mov_b32 s27, 0
	s_wait_loadcnt_dscnt 0x0
	s_delay_alu instid0(VALU_DEP_2) | instskip(NEXT) | instid1(VALU_DEP_1)
	v_pk_mul_f32 v[32:33], v[30:31], v[32:33]
	v_pk_fma_f32 v[36:37], v[30:31], v[34:35], v[32:33] op_sel:[0,0,1] op_sel_hi:[1,1,0]
	v_pk_fma_f32 v[30:31], v[30:31], v[34:35], v[32:33] op_sel:[0,0,1] op_sel_hi:[1,1,0] neg_lo:[0,0,1] neg_hi:[0,0,1]
	s_delay_alu instid0(VALU_DEP_2) | instskip(NEXT) | instid1(VALU_DEP_1)
	v_mov_b32_e32 v31, v37
	v_pk_add_f32 v[30:31], v[20:21], v[30:31]
	flat_store_b64 v[18:19], v[30:31]
.LBB388_21:                             ;   in Loop: Header=BB388_6 Depth=1
	s_and_not1_b32 vcc_lo, exec_lo, s27
	s_cbranch_vccnz .LBB388_23
; %bb.22:                               ;   in Loop: Header=BB388_6 Depth=1
	flat_store_b64 v[18:19], v[20:21]
.LBB388_23:                             ;   in Loop: Header=BB388_6 Depth=1
	s_wait_xcnt 0x0
	s_or_b32 exec_lo, exec_lo, s26
	v_lshl_add_u64 v[16:17], v[10:11], 3, v[16:17]
	s_and_saveexec_b32 s26, s36
	s_cbranch_execz .LBB388_28
; %bb.24:                               ;   in Loop: Header=BB388_6 Depth=1
	v_mov_b64_e32 v[18:19], s[4:5]
	v_mov_b64_e32 v[20:21], s[10:11]
	s_and_not1_b32 vcc_lo, exec_lo, s34
	s_mov_b32 s27, -1
	s_delay_alu instid0(VALU_DEP_2) | instskip(NEXT) | instid1(VALU_DEP_1)
	v_pk_mul_f32 v[18:19], v[28:29], v[18:19] op_sel_hi:[0,1]
	v_pk_fma_f32 v[28:29], v[26:27], v[20:21], v[18:19] op_sel_hi:[0,1,1]
	v_pk_fma_f32 v[18:19], v[26:27], v[20:21], v[18:19] neg_lo:[0,0,1] neg_hi:[0,0,1]
	v_lshl_add_u64 v[20:21], v[4:5], 3, v[16:17]
	s_delay_alu instid0(VALU_DEP_3)
	v_mov_b32_e32 v19, v29
	s_cbranch_vccnz .LBB388_26
; %bb.25:                               ;   in Loop: Header=BB388_6 Depth=1
	flat_load_b64 v[28:29], v[20:21]
	v_mov_b64_e32 v[30:31], s[6:7]
	v_mov_b64_e32 v[32:33], s[2:3]
	s_mov_b32 s27, 0
	s_wait_loadcnt_dscnt 0x0
	s_delay_alu instid0(VALU_DEP_2) | instskip(NEXT) | instid1(VALU_DEP_1)
	v_pk_mul_f32 v[30:31], v[28:29], v[30:31]
	v_pk_fma_f32 v[34:35], v[28:29], v[32:33], v[30:31] op_sel:[0,0,1] op_sel_hi:[1,1,0]
	v_pk_fma_f32 v[28:29], v[28:29], v[32:33], v[30:31] op_sel:[0,0,1] op_sel_hi:[1,1,0] neg_lo:[0,0,1] neg_hi:[0,0,1]
	s_delay_alu instid0(VALU_DEP_2) | instskip(NEXT) | instid1(VALU_DEP_1)
	v_mov_b32_e32 v29, v35
	v_pk_add_f32 v[28:29], v[18:19], v[28:29]
	flat_store_b64 v[20:21], v[28:29]
.LBB388_26:                             ;   in Loop: Header=BB388_6 Depth=1
	s_and_not1_b32 vcc_lo, exec_lo, s27
	s_cbranch_vccnz .LBB388_28
; %bb.27:                               ;   in Loop: Header=BB388_6 Depth=1
	flat_store_b64 v[20:21], v[18:19]
.LBB388_28:                             ;   in Loop: Header=BB388_6 Depth=1
	s_wait_xcnt 0x0
	s_or_b32 exec_lo, exec_lo, s26
	s_and_saveexec_b32 s26, s37
	s_cbranch_execz .LBB388_5
; %bb.29:                               ;   in Loop: Header=BB388_6 Depth=1
	v_mov_b64_e32 v[18:19], s[4:5]
	v_mov_b64_e32 v[20:21], s[10:11]
	v_lshl_add_u64 v[16:17], v[8:9], 3, v[16:17]
	s_and_not1_b32 vcc_lo, exec_lo, s34
	s_mov_b32 s27, -1
	s_delay_alu instid0(VALU_DEP_3) | instskip(NEXT) | instid1(VALU_DEP_1)
	v_pk_mul_f32 v[18:19], v[24:25], v[18:19] op_sel_hi:[0,1]
	v_pk_fma_f32 v[28:29], v[22:23], v[20:21], v[18:19] op_sel_hi:[0,1,1]
	v_pk_fma_f32 v[18:19], v[22:23], v[20:21], v[18:19] neg_lo:[0,0,1] neg_hi:[0,0,1]
	s_delay_alu instid0(VALU_DEP_2)
	v_mov_b32_e32 v19, v29
	s_cbranch_vccnz .LBB388_31
; %bb.30:                               ;   in Loop: Header=BB388_6 Depth=1
	flat_load_b64 v[20:21], v[16:17]
	v_mov_b64_e32 v[28:29], s[6:7]
	v_mov_b64_e32 v[30:31], s[2:3]
	s_mov_b32 s27, 0
	s_wait_loadcnt_dscnt 0x0
	s_delay_alu instid0(VALU_DEP_2) | instskip(NEXT) | instid1(VALU_DEP_1)
	v_pk_mul_f32 v[28:29], v[20:21], v[28:29]
	v_pk_fma_f32 v[32:33], v[20:21], v[30:31], v[28:29] op_sel:[0,0,1] op_sel_hi:[1,1,0]
	v_pk_fma_f32 v[20:21], v[20:21], v[30:31], v[28:29] op_sel:[0,0,1] op_sel_hi:[1,1,0] neg_lo:[0,0,1] neg_hi:[0,0,1]
	s_delay_alu instid0(VALU_DEP_2) | instskip(NEXT) | instid1(VALU_DEP_1)
	v_mov_b32_e32 v21, v33
	v_pk_add_f32 v[20:21], v[18:19], v[20:21]
	flat_store_b64 v[16:17], v[20:21]
.LBB388_31:                             ;   in Loop: Header=BB388_6 Depth=1
	s_and_not1_b32 vcc_lo, exec_lo, s27
	s_cbranch_vccnz .LBB388_5
; %bb.32:                               ;   in Loop: Header=BB388_6 Depth=1
	flat_store_b64 v[16:17], v[18:19]
	s_branch .LBB388_5
.LBB388_33:
	s_sendmsg sendmsg(MSG_DEALLOC_VGPRS)
	s_endpgm
	.section	.rodata,"a",@progbits
	.p2align	6, 0x0
	.amdhsa_kernel _ZL29rocblas_internal_gemmt_kernelIiLi16ELi32ELi8ELc78ELc84ELc76ELb0ELb0E19rocblas_complex_numIfES1_PKPKS1_PKPS1_EviT_T9_T10_S9_lSB_S9_lSA_T11_S9_li
		.amdhsa_group_segment_fixed_size 4096
		.amdhsa_private_segment_fixed_size 0
		.amdhsa_kernarg_size 100
		.amdhsa_user_sgpr_count 2
		.amdhsa_user_sgpr_dispatch_ptr 0
		.amdhsa_user_sgpr_queue_ptr 0
		.amdhsa_user_sgpr_kernarg_segment_ptr 1
		.amdhsa_user_sgpr_dispatch_id 0
		.amdhsa_user_sgpr_kernarg_preload_length 0
		.amdhsa_user_sgpr_kernarg_preload_offset 0
		.amdhsa_user_sgpr_private_segment_size 0
		.amdhsa_wavefront_size32 1
		.amdhsa_uses_dynamic_stack 0
		.amdhsa_enable_private_segment 0
		.amdhsa_system_sgpr_workgroup_id_x 1
		.amdhsa_system_sgpr_workgroup_id_y 1
		.amdhsa_system_sgpr_workgroup_id_z 1
		.amdhsa_system_sgpr_workgroup_info 0
		.amdhsa_system_vgpr_workitem_id 1
		.amdhsa_next_free_vgpr 71
		.amdhsa_next_free_sgpr 39
		.amdhsa_named_barrier_count 0
		.amdhsa_reserve_vcc 1
		.amdhsa_float_round_mode_32 0
		.amdhsa_float_round_mode_16_64 0
		.amdhsa_float_denorm_mode_32 3
		.amdhsa_float_denorm_mode_16_64 3
		.amdhsa_fp16_overflow 0
		.amdhsa_memory_ordered 1
		.amdhsa_forward_progress 1
		.amdhsa_inst_pref_size 26
		.amdhsa_round_robin_scheduling 0
		.amdhsa_exception_fp_ieee_invalid_op 0
		.amdhsa_exception_fp_denorm_src 0
		.amdhsa_exception_fp_ieee_div_zero 0
		.amdhsa_exception_fp_ieee_overflow 0
		.amdhsa_exception_fp_ieee_underflow 0
		.amdhsa_exception_fp_ieee_inexact 0
		.amdhsa_exception_int_div_zero 0
	.end_amdhsa_kernel
	.section	.text._ZL29rocblas_internal_gemmt_kernelIiLi16ELi32ELi8ELc78ELc84ELc76ELb0ELb0E19rocblas_complex_numIfES1_PKPKS1_PKPS1_EviT_T9_T10_S9_lSB_S9_lSA_T11_S9_li,"axG",@progbits,_ZL29rocblas_internal_gemmt_kernelIiLi16ELi32ELi8ELc78ELc84ELc76ELb0ELb0E19rocblas_complex_numIfES1_PKPKS1_PKPS1_EviT_T9_T10_S9_lSB_S9_lSA_T11_S9_li,comdat
.Lfunc_end388:
	.size	_ZL29rocblas_internal_gemmt_kernelIiLi16ELi32ELi8ELc78ELc84ELc76ELb0ELb0E19rocblas_complex_numIfES1_PKPKS1_PKPS1_EviT_T9_T10_S9_lSB_S9_lSA_T11_S9_li, .Lfunc_end388-_ZL29rocblas_internal_gemmt_kernelIiLi16ELi32ELi8ELc78ELc84ELc76ELb0ELb0E19rocblas_complex_numIfES1_PKPKS1_PKPS1_EviT_T9_T10_S9_lSB_S9_lSA_T11_S9_li
                                        ; -- End function
	.set _ZL29rocblas_internal_gemmt_kernelIiLi16ELi32ELi8ELc78ELc84ELc76ELb0ELb0E19rocblas_complex_numIfES1_PKPKS1_PKPS1_EviT_T9_T10_S9_lSB_S9_lSA_T11_S9_li.num_vgpr, 71
	.set _ZL29rocblas_internal_gemmt_kernelIiLi16ELi32ELi8ELc78ELc84ELc76ELb0ELb0E19rocblas_complex_numIfES1_PKPKS1_PKPS1_EviT_T9_T10_S9_lSB_S9_lSA_T11_S9_li.num_agpr, 0
	.set _ZL29rocblas_internal_gemmt_kernelIiLi16ELi32ELi8ELc78ELc84ELc76ELb0ELb0E19rocblas_complex_numIfES1_PKPKS1_PKPS1_EviT_T9_T10_S9_lSB_S9_lSA_T11_S9_li.numbered_sgpr, 39
	.set _ZL29rocblas_internal_gemmt_kernelIiLi16ELi32ELi8ELc78ELc84ELc76ELb0ELb0E19rocblas_complex_numIfES1_PKPKS1_PKPS1_EviT_T9_T10_S9_lSB_S9_lSA_T11_S9_li.num_named_barrier, 0
	.set _ZL29rocblas_internal_gemmt_kernelIiLi16ELi32ELi8ELc78ELc84ELc76ELb0ELb0E19rocblas_complex_numIfES1_PKPKS1_PKPS1_EviT_T9_T10_S9_lSB_S9_lSA_T11_S9_li.private_seg_size, 0
	.set _ZL29rocblas_internal_gemmt_kernelIiLi16ELi32ELi8ELc78ELc84ELc76ELb0ELb0E19rocblas_complex_numIfES1_PKPKS1_PKPS1_EviT_T9_T10_S9_lSB_S9_lSA_T11_S9_li.uses_vcc, 1
	.set _ZL29rocblas_internal_gemmt_kernelIiLi16ELi32ELi8ELc78ELc84ELc76ELb0ELb0E19rocblas_complex_numIfES1_PKPKS1_PKPS1_EviT_T9_T10_S9_lSB_S9_lSA_T11_S9_li.uses_flat_scratch, 0
	.set _ZL29rocblas_internal_gemmt_kernelIiLi16ELi32ELi8ELc78ELc84ELc76ELb0ELb0E19rocblas_complex_numIfES1_PKPKS1_PKPS1_EviT_T9_T10_S9_lSB_S9_lSA_T11_S9_li.has_dyn_sized_stack, 0
	.set _ZL29rocblas_internal_gemmt_kernelIiLi16ELi32ELi8ELc78ELc84ELc76ELb0ELb0E19rocblas_complex_numIfES1_PKPKS1_PKPS1_EviT_T9_T10_S9_lSB_S9_lSA_T11_S9_li.has_recursion, 0
	.set _ZL29rocblas_internal_gemmt_kernelIiLi16ELi32ELi8ELc78ELc84ELc76ELb0ELb0E19rocblas_complex_numIfES1_PKPKS1_PKPS1_EviT_T9_T10_S9_lSB_S9_lSA_T11_S9_li.has_indirect_call, 0
	.section	.AMDGPU.csdata,"",@progbits
; Kernel info:
; codeLenInByte = 3220
; TotalNumSgprs: 41
; NumVgprs: 71
; ScratchSize: 0
; MemoryBound: 0
; FloatMode: 240
; IeeeMode: 1
; LDSByteSize: 4096 bytes/workgroup (compile time only)
; SGPRBlocks: 0
; VGPRBlocks: 4
; NumSGPRsForWavesPerEU: 41
; NumVGPRsForWavesPerEU: 71
; NamedBarCnt: 0
; Occupancy: 12
; WaveLimiterHint : 1
; COMPUTE_PGM_RSRC2:SCRATCH_EN: 0
; COMPUTE_PGM_RSRC2:USER_SGPR: 2
; COMPUTE_PGM_RSRC2:TRAP_HANDLER: 0
; COMPUTE_PGM_RSRC2:TGID_X_EN: 1
; COMPUTE_PGM_RSRC2:TGID_Y_EN: 1
; COMPUTE_PGM_RSRC2:TGID_Z_EN: 1
; COMPUTE_PGM_RSRC2:TIDIG_COMP_CNT: 1
	.section	.text._ZL29rocblas_internal_gemmt_kernelIiLi16ELi32ELi8ELc78ELc67ELc76ELb0ELb1E19rocblas_complex_numIfES1_PKPKS1_PKPS1_EviT_T9_T10_S9_lSB_S9_lSA_T11_S9_li,"axG",@progbits,_ZL29rocblas_internal_gemmt_kernelIiLi16ELi32ELi8ELc78ELc67ELc76ELb0ELb1E19rocblas_complex_numIfES1_PKPKS1_PKPS1_EviT_T9_T10_S9_lSB_S9_lSA_T11_S9_li,comdat
	.globl	_ZL29rocblas_internal_gemmt_kernelIiLi16ELi32ELi8ELc78ELc67ELc76ELb0ELb1E19rocblas_complex_numIfES1_PKPKS1_PKPS1_EviT_T9_T10_S9_lSB_S9_lSA_T11_S9_li ; -- Begin function _ZL29rocblas_internal_gemmt_kernelIiLi16ELi32ELi8ELc78ELc67ELc76ELb0ELb1E19rocblas_complex_numIfES1_PKPKS1_PKPS1_EviT_T9_T10_S9_lSB_S9_lSA_T11_S9_li
	.p2align	8
	.type	_ZL29rocblas_internal_gemmt_kernelIiLi16ELi32ELi8ELc78ELc67ELc76ELb0ELb1E19rocblas_complex_numIfES1_PKPKS1_PKPS1_EviT_T9_T10_S9_lSB_S9_lSA_T11_S9_li,@function
_ZL29rocblas_internal_gemmt_kernelIiLi16ELi32ELi8ELc78ELc67ELc76ELb0ELb1E19rocblas_complex_numIfES1_PKPKS1_PKPS1_EviT_T9_T10_S9_lSB_S9_lSA_T11_S9_li: ; @_ZL29rocblas_internal_gemmt_kernelIiLi16ELi32ELi8ELc78ELc67ELc76ELb0ELb1E19rocblas_complex_numIfES1_PKPKS1_PKPS1_EviT_T9_T10_S9_lSB_S9_lSA_T11_S9_li
; %bb.0:
	s_clause 0x1
	s_load_b64 s[6:7], s[0:1], 0x40
	s_load_b128 s[8:11], s[0:1], 0x0
	s_wait_kmcnt 0x0
	s_cmp_neq_f32 s6, 1.0
	s_cselect_b32 s3, -1, 0
	s_and_b32 s4, s7, 0x7fffffff
	s_delay_alu instid0(SALU_CYCLE_1) | instskip(SKIP_3) | instid1(SALU_CYCLE_1)
	s_cmp_eq_u32 s4, 0
	s_cselect_b32 s2, -1, 0
	s_cmp_lg_u32 s4, 0
	s_cselect_b32 s4, -1, 0
	s_or_b32 s3, s3, s4
	s_delay_alu instid0(SALU_CYCLE_1)
	s_and_b32 vcc_lo, exec_lo, s3
	s_cbranch_vccnz .LBB389_2
; %bb.1:
	s_cmp_lg_u32 s9, 0
	s_cselect_b32 s3, -1, 0
	s_cmp_neq_f32 s10, 0
	s_cselect_b32 s4, -1, 0
	s_cmp_neq_f32 s11, 0
	s_cselect_b32 s5, -1, 0
	s_delay_alu instid0(SALU_CYCLE_1) | instskip(NEXT) | instid1(SALU_CYCLE_1)
	s_or_b32 s4, s4, s5
	s_and_b32 s3, s3, s4
.LBB389_2:
	s_delay_alu instid0(SALU_CYCLE_1)
	s_and_not1_b32 vcc_lo, exec_lo, s3
	s_cbranch_vccnz .LBB389_35
; %bb.3:
	s_load_b32 s33, s[0:1], 0x60
	s_bfe_u32 s3, ttmp6, 0x40014
	s_lshr_b32 s4, ttmp7, 16
	s_add_co_i32 s3, s3, 1
	s_bfe_u32 s12, ttmp6, 0x40008
	s_mul_i32 s5, s4, s3
	s_getreg_b32 s3, hwreg(HW_REG_IB_STS2, 6, 4)
	s_add_co_i32 s12, s12, s5
	s_cmp_eq_u32 s3, 0
	s_mov_b32 s25, 0
	s_cselect_b32 s24, s4, s12
	s_wait_kmcnt 0x0
	s_cmp_ge_u32 s24, s33
	s_cbranch_scc1 .LBB389_35
; %bb.4:
	s_clause 0x2
	s_load_b96 s[16:18], s[0:1], 0x10
	s_load_b32 s26, s[0:1], 0x30
	s_load_b96 s[20:22], s[0:1], 0x48
	v_and_b32_e32 v4, 0x3ff, v0
	v_bfe_u32 v5, v0, 10, 10
	s_clause 0x2
	s_load_b128 s[12:15], s[0:1], 0x20
	s_load_b64 s[30:31], s[0:1], 0x38
	s_load_b64 s[28:29], s[0:1], 0x58
	s_wait_xcnt 0x0
	s_bfe_u32 s1, ttmp6, 0x4000c
	s_bfe_u32 s5, ttmp6, 0x40010
	s_and_b32 s4, ttmp7, 0xffff
	v_lshl_add_u32 v1, v5, 4, v4
	s_add_co_i32 s1, s1, 1
	s_add_co_i32 s5, s5, 1
	v_and_b32_e32 v0, 7, v0
	s_and_b32 s0, ttmp6, 15
	v_lshrrev_b32_e32 v2, 5, v1
	s_bfe_u32 s23, ttmp6, 0x40004
	s_mul_i32 s1, ttmp9, s1
	s_mul_i32 s34, s4, s5
	s_add_co_i32 s0, s0, s1
	s_add_co_i32 s23, s23, s34
	s_wait_kmcnt 0x0
	s_ashr_i32 s19, s18, 31
	s_ashr_i32 s27, s26, 31
	;; [unrolled: 1-line block ×3, first 2 shown]
	s_cmp_eq_u32 s3, 0
	v_dual_lshrrev_b32 v6, 3, v1 :: v_dual_bitop2_b32 v1, 31, v1 bitop3:0x40
	v_dual_lshlrev_b32 v7, 3, v0 :: v_dual_mov_b32 v3, 0
	s_cselect_b32 s0, ttmp9, s0
	s_cselect_b32 s1, s4, s23
	s_lshl_b32 s3, s0, 5
	s_lshl_b32 s1, s1, 5
	s_delay_alu instid0(SALU_CYCLE_1) | instskip(SKIP_3) | instid1(VALU_DEP_4)
	v_dual_add_nc_u32 v12, s1, v6 :: v_dual_bitop2_b32 v14, s3, v1 bitop3:0x54
	v_dual_mov_b32 v1, v3 :: v_dual_lshlrev_b32 v8, 3, v1
	v_add_nc_u32_e32 v18, s1, v5
	v_mul_u64_e32 v[20:21], s[18:19], v[2:3]
	v_ashrrev_i32_e32 v13, 31, v12
	s_cmp_neq_f32 s10, 0
	v_mul_u64_e32 v[16:17], s[26:27], v[0:1]
	v_dual_lshlrev_b32 v1, 3, v4 :: v_dual_add_nc_u32 v28, 16, v18
	s_cselect_b32 s0, -1, 0
	s_cmp_neq_f32 s11, 0
	v_lshl_or_b32 v6, v6, 6, v7
	v_dual_ashrrev_i32 v19, 31, v18 :: v_dual_add_nc_u32 v4, s3, v4
	v_dual_ashrrev_i32 v29, 31, v28 :: v_dual_ashrrev_i32 v15, 31, v14
	s_mov_b32 s4, s22
	s_cselect_b32 s22, -1, 0
	v_add_nc_u32_e32 v25, 0x800, v6
	v_mul_u64_e32 v[6:7], s[4:5], v[18:19]
	v_mul_u64_e32 v[10:11], s[4:5], v[28:29]
	s_or_b32 s22, s0, s22
	s_cmp_gt_i32 s9, 0
	v_lshl_or_b32 v23, v2, 8, v8
	s_cselect_b32 s23, -1, 0
	s_cmp_neq_f32 s6, 0
	v_add_nc_u32_e32 v8, 16, v4
	v_lshl_add_u32 v27, v5, 6, 0x800
	v_ashrrev_i32_e32 v5, 31, v4
	s_cselect_b32 s3, -1, 0
	s_xor_b32 s34, s2, -1
	v_cmp_gt_i32_e64 s4, s8, v8
	s_or_b32 s34, s3, s34
	v_cmp_le_i32_e64 s3, v18, v8
	v_cmp_le_i32_e64 s5, v28, v8
	;; [unrolled: 1-line block ×3, first 2 shown]
	v_cmp_gt_i32_e64 s2, s8, v4
	s_lshl_b64 s[12:13], s[12:13], 3
	s_and_b32 s35, s3, s4
	s_and_b32 s36, s5, s4
	s_lshl_b64 s[4:5], s[30:31], 3
	v_cmp_gt_i32_e32 vcc_lo, s8, v12
	v_lshl_add_u64 v[16:17], v[16:17], 3, s[4:5]
	v_lshl_add_u64 v[18:19], v[20:21], 3, s[12:13]
	v_cmp_gt_i32_e64 s0, s8, v14
	s_and_b32 s8, s1, s2
	v_cmp_le_i32_e64 s1, v28, v4
	v_lshl_add_u64 v[12:13], v[12:13], 3, v[16:17]
	v_ashrrev_i32_e32 v9, 31, v8
	v_lshl_add_u64 v[14:15], v[14:15], 3, v[18:19]
	s_mov_b32 s3, s6
	s_and_b32 s1, s1, s2
	v_or_b32_e32 v12, 4, v12
	s_mov_b32 s2, s6
	s_mov_b32 s6, s7
	;; [unrolled: 1-line block ×4, first 2 shown]
	s_lshl_b64 s[12:13], s[18:19], 6
	s_and_b32 s30, s22, s23
	s_lshl_b64 s[18:19], s[26:27], 6
	s_xor_b32 s26, vcc_lo, -1
	s_lshl_b64 s[22:23], s[28:29], 3
	s_branch .LBB389_6
.LBB389_5:                              ;   in Loop: Header=BB389_6 Depth=1
	s_wait_xcnt 0x0
	s_or_b32 exec_lo, exec_lo, s27
	s_add_co_i32 s24, s24, 0x10000
	s_delay_alu instid0(SALU_CYCLE_1)
	s_cmp_lt_u32 s24, s33
	s_cbranch_scc0 .LBB389_35
.LBB389_6:                              ; =>This Loop Header: Depth=1
                                        ;     Child Loop BB389_9 Depth 2
	v_dual_mov_b32 v16, s24 :: v_dual_mov_b32 v34, 0
	v_dual_mov_b32 v36, 0 :: v_dual_mov_b32 v30, 0
	;; [unrolled: 1-line block ×3, first 2 shown]
	global_load_b64 v[16:17], v16, s[20:21] scale_offset
	v_dual_mov_b32 v28, 0 :: v_dual_mov_b32 v22, 0
	v_mov_b32_e32 v24, 0
	s_and_not1_b32 vcc_lo, exec_lo, s30
	s_cbranch_vccnz .LBB389_15
; %bb.7:                                ;   in Loop: Header=BB389_6 Depth=1
	s_lshl_b64 s[28:29], s[24:25], 3
	v_dual_mov_b32 v24, 0 :: v_dual_mov_b32 v22, 0
	s_add_nc_u64 s[38:39], s[16:17], s[28:29]
	s_add_nc_u64 s[28:29], s[14:15], s[28:29]
	s_clause 0x1
	global_load_b64 v[18:19], v3, s[38:39]
	global_load_b64 v[20:21], v3, s[28:29]
	v_dual_mov_b32 v28, 0 :: v_dual_mov_b32 v26, 0
	v_dual_mov_b32 v32, 0 :: v_dual_mov_b32 v30, 0
	;; [unrolled: 1-line block ×3, first 2 shown]
	s_mov_b32 s27, 0
	s_wait_loadcnt 0x1
	v_add_nc_u64_e32 v[18:19], v[18:19], v[14:15]
	s_wait_loadcnt 0x0
	v_add_nc_u64_e32 v[20:21], v[20:21], v[12:13]
	s_branch .LBB389_9
.LBB389_8:                              ;   in Loop: Header=BB389_9 Depth=2
	s_wait_xcnt 0x0
	s_or_b32 exec_lo, exec_lo, s28
	ds_store_b32 v25, v29 offset:4
	s_wait_dscnt 0x0
	s_barrier_signal -1
	s_barrier_wait -1
	ds_load_b128 v[38:41], v27
	ds_load_2addr_b64 v[42:45], v1 offset1:16
	ds_load_b128 v[46:49], v27 offset:1024
	ds_load_b128 v[50:53], v27 offset:16
	ds_load_2addr_b64 v[54:57], v1 offset0:32 offset1:48
	ds_load_b128 v[58:61], v27 offset:32
	ds_load_b128 v[62:65], v27 offset:48
	;; [unrolled: 1-line block ×3, first 2 shown]
	v_add_nc_u64_e32 v[18:19], s[12:13], v[18:19]
	v_add_nc_u64_e32 v[20:21], s[18:19], v[20:21]
	s_add_co_i32 s27, s27, 8
	s_delay_alu instid0(SALU_CYCLE_1)
	s_cmp_lt_i32 s27, s9
	s_wait_dscnt 0x6
	v_dual_mul_f32 v29, v39, v43 :: v_dual_mul_f32 v31, v38, v43
	v_dual_mul_f32 v33, v39, v45 :: v_dual_mul_f32 v35, v38, v45
	s_wait_dscnt 0x5
	v_dual_mul_f32 v37, v47, v43 :: v_dual_mul_f32 v43, v46, v43
	v_dual_mul_f32 v70, v47, v45 :: v_dual_mul_f32 v45, v46, v45
	v_dual_fma_f32 v29, v38, v42, -v29 :: v_dual_fmac_f32 v31, v39, v42
	v_dual_fma_f32 v33, v38, v44, -v33 :: v_dual_fmac_f32 v35, v39, v44
	s_delay_alu instid0(VALU_DEP_4) | instskip(NEXT) | instid1(VALU_DEP_3)
	v_dual_fma_f32 v37, v46, v42, -v37 :: v_dual_fmac_f32 v43, v47, v42
	v_dual_fma_f32 v38, v46, v44, -v70 :: v_dual_add_f32 v36, v36, v31
	s_delay_alu instid0(VALU_DEP_3) | instskip(NEXT) | instid1(VALU_DEP_3)
	v_dual_add_f32 v34, v34, v29 :: v_dual_add_f32 v32, v32, v35
	v_dual_add_f32 v33, v30, v33 :: v_dual_add_f32 v35, v28, v43
	s_wait_dscnt 0x3
	v_dual_add_f32 v26, v26, v37 :: v_dual_mul_f32 v37, v41, v55
	ds_load_2addr_b64 v[28:31], v1 offset0:64 offset1:80
	v_dual_fmac_f32 v45, v47, v44 :: v_dual_add_f32 v22, v22, v38
	v_dual_mul_f32 v38, v40, v55 :: v_dual_fma_f32 v37, v40, v54, -v37
	v_mul_f32_e32 v39, v41, v57
	s_delay_alu instid0(VALU_DEP_2) | instskip(SKIP_1) | instid1(VALU_DEP_3)
	v_dual_add_f32 v24, v24, v45 :: v_dual_fmac_f32 v38, v41, v54
	v_mul_f32_e32 v42, v40, v57
	v_dual_add_f32 v37, v34, v37 :: v_dual_fma_f32 v34, v40, v56, -v39
	s_delay_alu instid0(VALU_DEP_3) | instskip(NEXT) | instid1(VALU_DEP_3)
	v_dual_mul_f32 v39, v49, v55 :: v_dual_add_f32 v36, v36, v38
	v_dual_fmac_f32 v42, v41, v56 :: v_dual_mul_f32 v38, v48, v55
	s_delay_alu instid0(VALU_DEP_3) | instskip(NEXT) | instid1(VALU_DEP_3)
	v_dual_add_f32 v40, v33, v34 :: v_dual_mul_f32 v41, v48, v57
	v_dual_fma_f32 v33, v48, v54, -v39 :: v_dual_mul_f32 v34, v49, v57
	s_delay_alu instid0(VALU_DEP_3) | instskip(NEXT) | instid1(VALU_DEP_3)
	v_add_f32_e32 v39, v32, v42
	v_dual_fmac_f32 v38, v49, v54 :: v_dual_fmac_f32 v41, v49, v56
	s_wait_dscnt 0x0
	v_mul_f32_e32 v42, v50, v29
	v_add_f32_e32 v26, v26, v33
	v_dual_mul_f32 v33, v51, v29 :: v_dual_fma_f32 v32, v48, v56, -v34
	v_add_f32_e32 v38, v35, v38
	s_delay_alu instid0(VALU_DEP_4) | instskip(NEXT) | instid1(VALU_DEP_3)
	v_dual_mul_f32 v44, v51, v31 :: v_dual_fmac_f32 v42, v51, v28
	v_fma_f32 v43, v50, v28, -v33
	s_delay_alu instid0(VALU_DEP_4) | instskip(SKIP_4) | instid1(VALU_DEP_3)
	v_add_f32_e32 v22, v22, v32
	ds_load_2addr_b64 v[32:35], v1 offset0:96 offset1:112
	v_dual_add_f32 v24, v24, v41 :: v_dual_mul_f32 v41, v50, v31
	v_dual_add_f32 v37, v37, v43 :: v_dual_fma_f32 v43, v50, v30, -v44
	v_dual_add_f32 v36, v36, v42 :: v_dual_mul_f32 v42, v67, v29
	v_dual_mul_f32 v29, v66, v29 :: v_dual_fmac_f32 v41, v51, v30
	s_delay_alu instid0(VALU_DEP_3) | instskip(NEXT) | instid1(VALU_DEP_3)
	v_add_f32_e32 v40, v40, v43
	v_dual_mul_f32 v43, v67, v31 :: v_dual_fma_f32 v42, v66, v28, -v42
	s_delay_alu instid0(VALU_DEP_3) | instskip(NEXT) | instid1(VALU_DEP_2)
	v_dual_fmac_f32 v29, v67, v28 :: v_dual_mul_f32 v44, v66, v31
	v_dual_add_f32 v41, v39, v41 :: v_dual_fma_f32 v28, v66, v30, -v43
	s_delay_alu instid0(VALU_DEP_3) | instskip(NEXT) | instid1(VALU_DEP_3)
	v_add_f32_e32 v26, v26, v42
	v_dual_add_f32 v42, v38, v29 :: v_dual_fmac_f32 v44, v67, v30
	s_wait_dscnt 0x0
	s_delay_alu instid0(VALU_DEP_3)
	v_dual_mul_f32 v38, v53, v33 :: v_dual_add_f32 v22, v22, v28
	v_mul_f32_e32 v39, v52, v33
	ds_load_2addr_b64 v[28:31], v1 offset0:128 offset1:144
	v_dual_mul_f32 v43, v53, v35 :: v_dual_fma_f32 v38, v52, v32, -v38
	v_fmac_f32_e32 v39, v53, v32
	v_add_f32_e32 v24, v24, v44
	s_delay_alu instid0(VALU_DEP_3) | instskip(NEXT) | instid1(VALU_DEP_4)
	v_dual_mul_f32 v44, v52, v35 :: v_dual_fma_f32 v43, v52, v34, -v43
	v_add_f32_e32 v45, v37, v38
	s_delay_alu instid0(VALU_DEP_4) | instskip(NEXT) | instid1(VALU_DEP_3)
	v_dual_mul_f32 v37, v69, v33 :: v_dual_add_f32 v46, v36, v39
	v_dual_fmac_f32 v44, v53, v34 :: v_dual_add_f32 v47, v40, v43
	s_delay_alu instid0(VALU_DEP_2)
	v_dual_mul_f32 v33, v68, v33 :: v_dual_fma_f32 v40, v68, v32, -v37
	v_mul_f32_e32 v43, v69, v35
	ds_load_b128 v[36:39], v27 offset:1056
	v_dual_add_f32 v44, v41, v44 :: v_dual_mul_f32 v41, v68, v35
	v_dual_fmac_f32 v33, v69, v32 :: v_dual_fma_f32 v32, v68, v34, -v43
	s_wait_dscnt 0x1
	v_dual_add_f32 v26, v26, v40 :: v_dual_mul_f32 v35, v59, v29
	s_delay_alu instid0(VALU_DEP_2) | instskip(NEXT) | instid1(VALU_DEP_3)
	v_dual_fmac_f32 v41, v69, v34 :: v_dual_add_f32 v48, v42, v33
	v_dual_mul_f32 v42, v59, v31 :: v_dual_add_f32 v22, v22, v32
	s_delay_alu instid0(VALU_DEP_3)
	v_dual_mul_f32 v49, v58, v29 :: v_dual_fma_f32 v40, v58, v28, -v35
	ds_load_2addr_b64 v[32:35], v1 offset0:160 offset1:176
	v_dual_add_f32 v24, v24, v41 :: v_dual_mul_f32 v50, v58, v31
	v_fmac_f32_e32 v49, v59, v28
	v_dual_add_f32 v45, v45, v40 :: v_dual_fma_f32 v51, v58, v30, -v42
	ds_load_b128 v[40:43], v27 offset:1072
	s_wait_dscnt 0x2
	v_dual_mul_f32 v52, v37, v29 :: v_dual_fmac_f32 v50, v59, v30
	v_dual_add_f32 v46, v46, v49 :: v_dual_add_f32 v47, v47, v51
	s_delay_alu instid0(VALU_DEP_2) | instskip(NEXT) | instid1(VALU_DEP_3)
	v_dual_mul_f32 v29, v36, v29 :: v_dual_fma_f32 v49, v36, v28, -v52
	v_dual_mul_f32 v51, v37, v31 :: v_dual_add_f32 v44, v44, v50
	s_delay_alu instid0(VALU_DEP_2) | instskip(NEXT) | instid1(VALU_DEP_2)
	v_dual_mul_f32 v50, v36, v31 :: v_dual_fmac_f32 v29, v37, v28
	v_dual_add_f32 v26, v26, v49 :: v_dual_fma_f32 v28, v36, v30, -v51
	s_wait_dscnt 0x1
	v_mul_f32_e32 v31, v61, v33
	s_delay_alu instid0(VALU_DEP_3) | instskip(NEXT) | instid1(VALU_DEP_3)
	v_dual_add_f32 v36, v48, v29 :: v_dual_fmac_f32 v50, v37, v30
	v_dual_mul_f32 v37, v60, v33 :: v_dual_add_f32 v22, v22, v28
	s_delay_alu instid0(VALU_DEP_3) | instskip(SKIP_3) | instid1(VALU_DEP_2)
	v_dual_mul_f32 v49, v61, v35 :: v_dual_fma_f32 v48, v60, v32, -v31
	ds_load_2addr_b64 v[28:31], v1 offset0:192 offset1:208
	v_dual_fmac_f32 v37, v61, v32 :: v_dual_add_f32 v24, v24, v50
	v_dual_fma_f32 v49, v60, v34, -v49 :: v_dual_add_f32 v48, v45, v48
	v_dual_mul_f32 v45, v60, v35 :: v_dual_add_f32 v37, v46, v37
	v_dual_mul_f32 v46, v39, v33 :: v_dual_mul_f32 v33, v38, v33
	s_delay_alu instid0(VALU_DEP_2) | instskip(NEXT) | instid1(VALU_DEP_2)
	v_dual_add_f32 v49, v47, v49 :: v_dual_fmac_f32 v45, v61, v34
	v_dual_mul_f32 v47, v39, v35 :: v_dual_fma_f32 v46, v38, v32, -v46
	s_delay_alu instid0(VALU_DEP_3) | instskip(NEXT) | instid1(VALU_DEP_2)
	v_dual_fmac_f32 v33, v39, v32 :: v_dual_mul_f32 v35, v38, v35
	v_dual_add_f32 v32, v44, v45 :: v_dual_fma_f32 v38, v38, v34, -v47
	s_delay_alu instid0(VALU_DEP_2)
	v_dual_add_f32 v26, v26, v46 :: v_dual_add_f32 v33, v36, v33
	ds_load_2addr_b64 v[44:47], v1 offset0:224 offset1:240
	s_wait_dscnt 0x1
	v_mul_f32_e32 v36, v63, v29
	v_dual_fmac_f32 v35, v39, v34 :: v_dual_mul_f32 v34, v62, v29
	v_add_f32_e32 v22, v22, v38
	s_delay_alu instid0(VALU_DEP_3) | instskip(NEXT) | instid1(VALU_DEP_3)
	v_dual_mul_f32 v38, v62, v31 :: v_dual_fma_f32 v36, v62, v28, -v36
	v_add_f32_e32 v24, v24, v35
	s_delay_alu instid0(VALU_DEP_4) | instskip(NEXT) | instid1(VALU_DEP_3)
	v_dual_mul_f32 v35, v63, v31 :: v_dual_fmac_f32 v34, v63, v28
	v_dual_mul_f32 v39, v41, v29 :: v_dual_add_f32 v36, v48, v36
	s_delay_alu instid0(VALU_DEP_2) | instskip(NEXT) | instid1(VALU_DEP_3)
	v_dual_fmac_f32 v38, v63, v30 :: v_dual_fma_f32 v35, v62, v30, -v35
	v_dual_add_f32 v37, v37, v34 :: v_dual_mul_f32 v29, v40, v29
	s_delay_alu instid0(VALU_DEP_3) | instskip(NEXT) | instid1(VALU_DEP_3)
	v_dual_fma_f32 v34, v40, v28, -v39 :: v_dual_mul_f32 v39, v41, v31
	v_dual_add_f32 v32, v32, v38 :: v_dual_add_f32 v35, v49, v35
	s_delay_alu instid0(VALU_DEP_2) | instskip(NEXT) | instid1(VALU_DEP_3)
	v_dual_fmac_f32 v29, v41, v28 :: v_dual_add_f32 v26, v26, v34
	v_dual_mul_f32 v28, v40, v31 :: v_dual_fma_f32 v31, v40, v30, -v39
	s_wait_dscnt 0x0
	v_dual_mul_f32 v34, v65, v45 :: v_dual_mul_f32 v38, v64, v45
	s_delay_alu instid0(VALU_DEP_3) | instskip(NEXT) | instid1(VALU_DEP_3)
	v_add_f32_e32 v29, v33, v29
	v_dual_fmac_f32 v28, v41, v30 :: v_dual_add_f32 v22, v22, v31
	s_delay_alu instid0(VALU_DEP_3) | instskip(NEXT) | instid1(VALU_DEP_4)
	v_fma_f32 v30, v64, v44, -v34
	v_dual_fmac_f32 v38, v65, v44 :: v_dual_mul_f32 v31, v65, v47
	v_dual_mul_f32 v33, v64, v47 :: v_dual_mul_f32 v39, v42, v47
	s_delay_alu instid0(VALU_DEP_3) | instskip(NEXT) | instid1(VALU_DEP_3)
	v_add_f32_e32 v34, v36, v30
	v_dual_add_f32 v36, v37, v38 :: v_dual_add_f32 v24, v24, v28
	s_delay_alu instid0(VALU_DEP_3) | instskip(SKIP_2) | instid1(VALU_DEP_3)
	v_dual_fmac_f32 v33, v65, v46 :: v_dual_fma_f32 v28, v64, v46, -v31
	v_dual_mul_f32 v37, v42, v45 :: v_dual_mul_f32 v31, v43, v45
	v_dual_mul_f32 v38, v43, v47 :: v_dual_fmac_f32 v39, v43, v46
	v_dual_add_f32 v32, v32, v33 :: v_dual_add_f32 v30, v35, v28
	s_delay_alu instid0(VALU_DEP_3) | instskip(NEXT) | instid1(VALU_DEP_3)
	v_dual_fma_f32 v28, v42, v44, -v31 :: v_dual_fmac_f32 v37, v43, v44
	v_dual_fma_f32 v31, v42, v46, -v38 :: v_dual_add_f32 v24, v24, v39
	s_delay_alu instid0(VALU_DEP_2) | instskip(NEXT) | instid1(VALU_DEP_2)
	v_dual_add_f32 v26, v26, v28 :: v_dual_add_f32 v28, v29, v37
	v_add_f32_e32 v22, v22, v31
	s_barrier_signal -1
	s_barrier_wait -1
	s_cbranch_scc0 .LBB389_15
.LBB389_9:                              ;   Parent Loop BB389_6 Depth=1
                                        ; =>  This Inner Loop Header: Depth=2
	v_dual_mov_b32 v38, 0 :: v_dual_add_nc_u32 v29, s27, v2
	v_mov_b32_e32 v39, 0
	s_delay_alu instid0(VALU_DEP_2) | instskip(SKIP_2) | instid1(SALU_CYCLE_1)
	v_cmp_gt_i32_e32 vcc_lo, s9, v29
	s_wait_xcnt 0x0
	s_and_b32 s29, s0, vcc_lo
	s_and_saveexec_b32 s28, s29
	s_cbranch_execz .LBB389_11
; %bb.10:                               ;   in Loop: Header=BB389_9 Depth=2
	flat_load_b64 v[38:39], v[18:19]
.LBB389_11:                             ;   in Loop: Header=BB389_9 Depth=2
	s_wait_xcnt 0x0
	s_or_b32 exec_lo, exec_lo, s28
	v_add_nc_u32_e32 v29, s27, v0
	s_wait_loadcnt_dscnt 0x0
	ds_store_b64 v23, v[38:39]
	v_cmp_le_i32_e32 vcc_lo, s9, v29
	s_or_b32 s28, vcc_lo, s26
	s_delay_alu instid0(SALU_CYCLE_1) | instskip(NEXT) | instid1(SALU_CYCLE_1)
	s_and_saveexec_b32 s29, s28
	s_xor_b32 s28, exec_lo, s29
; %bb.12:                               ;   in Loop: Header=BB389_9 Depth=2
	ds_store_b32 v25, v3
; %bb.13:                               ;   in Loop: Header=BB389_9 Depth=2
	s_or_saveexec_b32 s28, s28
	v_mov_b32_e32 v29, 0
	s_xor_b32 exec_lo, exec_lo, s28
	s_cbranch_execz .LBB389_8
; %bb.14:                               ;   in Loop: Header=BB389_9 Depth=2
	flat_load_b64 v[38:39], v[20:21] offset:-4
	s_wait_loadcnt_dscnt 0x0
	v_xor_b32_e32 v29, 0x80000000, v39
	ds_store_b32 v25, v38
	s_branch .LBB389_8
.LBB389_15:                             ;   in Loop: Header=BB389_6 Depth=1
	s_wait_loadcnt 0x0
	s_wait_xcnt 0x0
	v_add_nc_u64_e32 v[16:17], s[22:23], v[16:17]
	s_delay_alu instid0(VALU_DEP_1)
	v_lshl_add_u64 v[18:19], v[6:7], 3, v[16:17]
	s_and_saveexec_b32 s27, s8
	s_cbranch_execz .LBB389_20
; %bb.16:                               ;   in Loop: Header=BB389_6 Depth=1
	v_mov_b64_e32 v[20:21], s[4:5]
	v_mov_b64_e32 v[38:39], s[10:11]
	s_and_b32 vcc_lo, exec_lo, s34
	s_mov_b32 s28, -1
	s_delay_alu instid0(VALU_DEP_2) | instskip(NEXT) | instid1(VALU_DEP_1)
	v_pk_mul_f32 v[20:21], v[36:37], v[20:21] op_sel_hi:[0,1]
	v_pk_fma_f32 v[36:37], v[34:35], v[38:39], v[20:21] op_sel_hi:[0,1,1]
	v_pk_fma_f32 v[20:21], v[34:35], v[38:39], v[20:21] neg_lo:[0,0,1] neg_hi:[0,0,1]
	v_lshl_add_u64 v[34:35], v[4:5], 3, v[18:19]
	s_delay_alu instid0(VALU_DEP_3)
	v_mov_b32_e32 v21, v37
	s_cbranch_vccz .LBB389_18
; %bb.17:                               ;   in Loop: Header=BB389_6 Depth=1
	flat_load_b64 v[36:37], v[34:35]
	v_mov_b64_e32 v[38:39], s[6:7]
	v_mov_b64_e32 v[40:41], s[2:3]
	s_mov_b32 s28, 0
	s_wait_loadcnt_dscnt 0x0
	s_delay_alu instid0(VALU_DEP_2) | instskip(NEXT) | instid1(VALU_DEP_1)
	v_pk_mul_f32 v[38:39], v[36:37], v[38:39]
	v_pk_fma_f32 v[42:43], v[36:37], v[40:41], v[38:39] op_sel:[0,0,1] op_sel_hi:[1,1,0]
	v_pk_fma_f32 v[36:37], v[36:37], v[40:41], v[38:39] op_sel:[0,0,1] op_sel_hi:[1,1,0] neg_lo:[0,0,1] neg_hi:[0,0,1]
	s_delay_alu instid0(VALU_DEP_2) | instskip(NEXT) | instid1(VALU_DEP_1)
	v_mov_b32_e32 v37, v43
	v_pk_add_f32 v[36:37], v[20:21], v[36:37]
	flat_store_b64 v[34:35], v[36:37]
.LBB389_18:                             ;   in Loop: Header=BB389_6 Depth=1
	s_and_not1_b32 vcc_lo, exec_lo, s28
	s_cbranch_vccnz .LBB389_20
; %bb.19:                               ;   in Loop: Header=BB389_6 Depth=1
	flat_store_b64 v[34:35], v[20:21]
.LBB389_20:                             ;   in Loop: Header=BB389_6 Depth=1
	s_wait_xcnt 0x0
	s_or_b32 exec_lo, exec_lo, s27
	s_and_saveexec_b32 s27, s35
	s_cbranch_execz .LBB389_25
; %bb.21:                               ;   in Loop: Header=BB389_6 Depth=1
	v_mov_b64_e32 v[20:21], s[4:5]
	v_mov_b64_e32 v[34:35], s[10:11]
	v_lshl_add_u64 v[18:19], v[8:9], 3, v[18:19]
	s_and_not1_b32 vcc_lo, exec_lo, s34
	s_mov_b32 s28, -1
	s_delay_alu instid0(VALU_DEP_3) | instskip(NEXT) | instid1(VALU_DEP_1)
	v_pk_mul_f32 v[20:21], v[32:33], v[20:21] op_sel_hi:[0,1]
	v_pk_fma_f32 v[32:33], v[30:31], v[34:35], v[20:21] op_sel_hi:[0,1,1]
	v_pk_fma_f32 v[20:21], v[30:31], v[34:35], v[20:21] neg_lo:[0,0,1] neg_hi:[0,0,1]
	s_delay_alu instid0(VALU_DEP_2)
	v_mov_b32_e32 v21, v33
	s_cbranch_vccnz .LBB389_23
; %bb.22:                               ;   in Loop: Header=BB389_6 Depth=1
	flat_load_b64 v[30:31], v[18:19]
	v_mov_b64_e32 v[32:33], s[6:7]
	v_mov_b64_e32 v[34:35], s[2:3]
	s_mov_b32 s28, 0
	s_wait_loadcnt_dscnt 0x0
	s_delay_alu instid0(VALU_DEP_2) | instskip(NEXT) | instid1(VALU_DEP_1)
	v_pk_mul_f32 v[32:33], v[30:31], v[32:33]
	v_pk_fma_f32 v[36:37], v[30:31], v[34:35], v[32:33] op_sel:[0,0,1] op_sel_hi:[1,1,0]
	v_pk_fma_f32 v[30:31], v[30:31], v[34:35], v[32:33] op_sel:[0,0,1] op_sel_hi:[1,1,0] neg_lo:[0,0,1] neg_hi:[0,0,1]
	s_delay_alu instid0(VALU_DEP_2) | instskip(NEXT) | instid1(VALU_DEP_1)
	v_mov_b32_e32 v31, v37
	v_pk_add_f32 v[30:31], v[20:21], v[30:31]
	flat_store_b64 v[18:19], v[30:31]
.LBB389_23:                             ;   in Loop: Header=BB389_6 Depth=1
	s_and_not1_b32 vcc_lo, exec_lo, s28
	s_cbranch_vccnz .LBB389_25
; %bb.24:                               ;   in Loop: Header=BB389_6 Depth=1
	flat_store_b64 v[18:19], v[20:21]
.LBB389_25:                             ;   in Loop: Header=BB389_6 Depth=1
	s_wait_xcnt 0x0
	s_or_b32 exec_lo, exec_lo, s27
	v_lshl_add_u64 v[16:17], v[10:11], 3, v[16:17]
	s_and_saveexec_b32 s27, s1
	s_cbranch_execz .LBB389_30
; %bb.26:                               ;   in Loop: Header=BB389_6 Depth=1
	v_mov_b64_e32 v[18:19], s[4:5]
	v_mov_b64_e32 v[20:21], s[10:11]
	s_and_not1_b32 vcc_lo, exec_lo, s34
	s_mov_b32 s28, -1
	s_delay_alu instid0(VALU_DEP_2) | instskip(NEXT) | instid1(VALU_DEP_1)
	v_pk_mul_f32 v[18:19], v[28:29], v[18:19] op_sel_hi:[0,1]
	v_pk_fma_f32 v[28:29], v[26:27], v[20:21], v[18:19] op_sel_hi:[0,1,1]
	v_pk_fma_f32 v[18:19], v[26:27], v[20:21], v[18:19] neg_lo:[0,0,1] neg_hi:[0,0,1]
	v_lshl_add_u64 v[20:21], v[4:5], 3, v[16:17]
	s_delay_alu instid0(VALU_DEP_3)
	v_mov_b32_e32 v19, v29
	s_cbranch_vccnz .LBB389_28
; %bb.27:                               ;   in Loop: Header=BB389_6 Depth=1
	flat_load_b64 v[28:29], v[20:21]
	v_mov_b64_e32 v[30:31], s[6:7]
	v_mov_b64_e32 v[32:33], s[2:3]
	s_mov_b32 s28, 0
	s_wait_loadcnt_dscnt 0x0
	s_delay_alu instid0(VALU_DEP_2) | instskip(NEXT) | instid1(VALU_DEP_1)
	v_pk_mul_f32 v[30:31], v[28:29], v[30:31]
	v_pk_fma_f32 v[34:35], v[28:29], v[32:33], v[30:31] op_sel:[0,0,1] op_sel_hi:[1,1,0]
	v_pk_fma_f32 v[28:29], v[28:29], v[32:33], v[30:31] op_sel:[0,0,1] op_sel_hi:[1,1,0] neg_lo:[0,0,1] neg_hi:[0,0,1]
	s_delay_alu instid0(VALU_DEP_2) | instskip(NEXT) | instid1(VALU_DEP_1)
	v_mov_b32_e32 v29, v35
	v_pk_add_f32 v[28:29], v[18:19], v[28:29]
	flat_store_b64 v[20:21], v[28:29]
.LBB389_28:                             ;   in Loop: Header=BB389_6 Depth=1
	s_and_not1_b32 vcc_lo, exec_lo, s28
	s_cbranch_vccnz .LBB389_30
; %bb.29:                               ;   in Loop: Header=BB389_6 Depth=1
	flat_store_b64 v[20:21], v[18:19]
.LBB389_30:                             ;   in Loop: Header=BB389_6 Depth=1
	s_wait_xcnt 0x0
	s_or_b32 exec_lo, exec_lo, s27
	s_and_saveexec_b32 s27, s36
	s_cbranch_execz .LBB389_5
; %bb.31:                               ;   in Loop: Header=BB389_6 Depth=1
	v_mov_b64_e32 v[18:19], s[4:5]
	v_mov_b64_e32 v[20:21], s[10:11]
	v_lshl_add_u64 v[16:17], v[8:9], 3, v[16:17]
	s_and_not1_b32 vcc_lo, exec_lo, s34
	s_mov_b32 s28, -1
	s_delay_alu instid0(VALU_DEP_3) | instskip(NEXT) | instid1(VALU_DEP_1)
	v_pk_mul_f32 v[18:19], v[24:25], v[18:19] op_sel_hi:[0,1]
	v_pk_fma_f32 v[28:29], v[22:23], v[20:21], v[18:19] op_sel_hi:[0,1,1]
	v_pk_fma_f32 v[18:19], v[22:23], v[20:21], v[18:19] neg_lo:[0,0,1] neg_hi:[0,0,1]
	s_delay_alu instid0(VALU_DEP_2)
	v_mov_b32_e32 v19, v29
	s_cbranch_vccnz .LBB389_33
; %bb.32:                               ;   in Loop: Header=BB389_6 Depth=1
	flat_load_b64 v[20:21], v[16:17]
	v_mov_b64_e32 v[28:29], s[6:7]
	v_mov_b64_e32 v[30:31], s[2:3]
	s_mov_b32 s28, 0
	s_wait_loadcnt_dscnt 0x0
	s_delay_alu instid0(VALU_DEP_2) | instskip(NEXT) | instid1(VALU_DEP_1)
	v_pk_mul_f32 v[28:29], v[20:21], v[28:29]
	v_pk_fma_f32 v[32:33], v[20:21], v[30:31], v[28:29] op_sel:[0,0,1] op_sel_hi:[1,1,0]
	v_pk_fma_f32 v[20:21], v[20:21], v[30:31], v[28:29] op_sel:[0,0,1] op_sel_hi:[1,1,0] neg_lo:[0,0,1] neg_hi:[0,0,1]
	s_delay_alu instid0(VALU_DEP_2) | instskip(NEXT) | instid1(VALU_DEP_1)
	v_mov_b32_e32 v21, v33
	v_pk_add_f32 v[20:21], v[18:19], v[20:21]
	flat_store_b64 v[16:17], v[20:21]
.LBB389_33:                             ;   in Loop: Header=BB389_6 Depth=1
	s_and_not1_b32 vcc_lo, exec_lo, s28
	s_cbranch_vccnz .LBB389_5
; %bb.34:                               ;   in Loop: Header=BB389_6 Depth=1
	flat_store_b64 v[16:17], v[18:19]
	s_branch .LBB389_5
.LBB389_35:
	s_sendmsg sendmsg(MSG_DEALLOC_VGPRS)
	s_endpgm
	.section	.rodata,"a",@progbits
	.p2align	6, 0x0
	.amdhsa_kernel _ZL29rocblas_internal_gemmt_kernelIiLi16ELi32ELi8ELc78ELc67ELc76ELb0ELb1E19rocblas_complex_numIfES1_PKPKS1_PKPS1_EviT_T9_T10_S9_lSB_S9_lSA_T11_S9_li
		.amdhsa_group_segment_fixed_size 4096
		.amdhsa_private_segment_fixed_size 0
		.amdhsa_kernarg_size 100
		.amdhsa_user_sgpr_count 2
		.amdhsa_user_sgpr_dispatch_ptr 0
		.amdhsa_user_sgpr_queue_ptr 0
		.amdhsa_user_sgpr_kernarg_segment_ptr 1
		.amdhsa_user_sgpr_dispatch_id 0
		.amdhsa_user_sgpr_kernarg_preload_length 0
		.amdhsa_user_sgpr_kernarg_preload_offset 0
		.amdhsa_user_sgpr_private_segment_size 0
		.amdhsa_wavefront_size32 1
		.amdhsa_uses_dynamic_stack 0
		.amdhsa_enable_private_segment 0
		.amdhsa_system_sgpr_workgroup_id_x 1
		.amdhsa_system_sgpr_workgroup_id_y 1
		.amdhsa_system_sgpr_workgroup_id_z 1
		.amdhsa_system_sgpr_workgroup_info 0
		.amdhsa_system_vgpr_workitem_id 1
		.amdhsa_next_free_vgpr 71
		.amdhsa_next_free_sgpr 40
		.amdhsa_named_barrier_count 0
		.amdhsa_reserve_vcc 1
		.amdhsa_float_round_mode_32 0
		.amdhsa_float_round_mode_16_64 0
		.amdhsa_float_denorm_mode_32 3
		.amdhsa_float_denorm_mode_16_64 3
		.amdhsa_fp16_overflow 0
		.amdhsa_memory_ordered 1
		.amdhsa_forward_progress 1
		.amdhsa_inst_pref_size 26
		.amdhsa_round_robin_scheduling 0
		.amdhsa_exception_fp_ieee_invalid_op 0
		.amdhsa_exception_fp_denorm_src 0
		.amdhsa_exception_fp_ieee_div_zero 0
		.amdhsa_exception_fp_ieee_overflow 0
		.amdhsa_exception_fp_ieee_underflow 0
		.amdhsa_exception_fp_ieee_inexact 0
		.amdhsa_exception_int_div_zero 0
	.end_amdhsa_kernel
	.section	.text._ZL29rocblas_internal_gemmt_kernelIiLi16ELi32ELi8ELc78ELc67ELc76ELb0ELb1E19rocblas_complex_numIfES1_PKPKS1_PKPS1_EviT_T9_T10_S9_lSB_S9_lSA_T11_S9_li,"axG",@progbits,_ZL29rocblas_internal_gemmt_kernelIiLi16ELi32ELi8ELc78ELc67ELc76ELb0ELb1E19rocblas_complex_numIfES1_PKPKS1_PKPS1_EviT_T9_T10_S9_lSB_S9_lSA_T11_S9_li,comdat
.Lfunc_end389:
	.size	_ZL29rocblas_internal_gemmt_kernelIiLi16ELi32ELi8ELc78ELc67ELc76ELb0ELb1E19rocblas_complex_numIfES1_PKPKS1_PKPS1_EviT_T9_T10_S9_lSB_S9_lSA_T11_S9_li, .Lfunc_end389-_ZL29rocblas_internal_gemmt_kernelIiLi16ELi32ELi8ELc78ELc67ELc76ELb0ELb1E19rocblas_complex_numIfES1_PKPKS1_PKPS1_EviT_T9_T10_S9_lSB_S9_lSA_T11_S9_li
                                        ; -- End function
	.set _ZL29rocblas_internal_gemmt_kernelIiLi16ELi32ELi8ELc78ELc67ELc76ELb0ELb1E19rocblas_complex_numIfES1_PKPKS1_PKPS1_EviT_T9_T10_S9_lSB_S9_lSA_T11_S9_li.num_vgpr, 71
	.set _ZL29rocblas_internal_gemmt_kernelIiLi16ELi32ELi8ELc78ELc67ELc76ELb0ELb1E19rocblas_complex_numIfES1_PKPKS1_PKPS1_EviT_T9_T10_S9_lSB_S9_lSA_T11_S9_li.num_agpr, 0
	.set _ZL29rocblas_internal_gemmt_kernelIiLi16ELi32ELi8ELc78ELc67ELc76ELb0ELb1E19rocblas_complex_numIfES1_PKPKS1_PKPS1_EviT_T9_T10_S9_lSB_S9_lSA_T11_S9_li.numbered_sgpr, 40
	.set _ZL29rocblas_internal_gemmt_kernelIiLi16ELi32ELi8ELc78ELc67ELc76ELb0ELb1E19rocblas_complex_numIfES1_PKPKS1_PKPS1_EviT_T9_T10_S9_lSB_S9_lSA_T11_S9_li.num_named_barrier, 0
	.set _ZL29rocblas_internal_gemmt_kernelIiLi16ELi32ELi8ELc78ELc67ELc76ELb0ELb1E19rocblas_complex_numIfES1_PKPKS1_PKPS1_EviT_T9_T10_S9_lSB_S9_lSA_T11_S9_li.private_seg_size, 0
	.set _ZL29rocblas_internal_gemmt_kernelIiLi16ELi32ELi8ELc78ELc67ELc76ELb0ELb1E19rocblas_complex_numIfES1_PKPKS1_PKPS1_EviT_T9_T10_S9_lSB_S9_lSA_T11_S9_li.uses_vcc, 1
	.set _ZL29rocblas_internal_gemmt_kernelIiLi16ELi32ELi8ELc78ELc67ELc76ELb0ELb1E19rocblas_complex_numIfES1_PKPKS1_PKPS1_EviT_T9_T10_S9_lSB_S9_lSA_T11_S9_li.uses_flat_scratch, 0
	.set _ZL29rocblas_internal_gemmt_kernelIiLi16ELi32ELi8ELc78ELc67ELc76ELb0ELb1E19rocblas_complex_numIfES1_PKPKS1_PKPS1_EviT_T9_T10_S9_lSB_S9_lSA_T11_S9_li.has_dyn_sized_stack, 0
	.set _ZL29rocblas_internal_gemmt_kernelIiLi16ELi32ELi8ELc78ELc67ELc76ELb0ELb1E19rocblas_complex_numIfES1_PKPKS1_PKPS1_EviT_T9_T10_S9_lSB_S9_lSA_T11_S9_li.has_recursion, 0
	.set _ZL29rocblas_internal_gemmt_kernelIiLi16ELi32ELi8ELc78ELc67ELc76ELb0ELb1E19rocblas_complex_numIfES1_PKPKS1_PKPS1_EviT_T9_T10_S9_lSB_S9_lSA_T11_S9_li.has_indirect_call, 0
	.section	.AMDGPU.csdata,"",@progbits
; Kernel info:
; codeLenInByte = 3256
; TotalNumSgprs: 42
; NumVgprs: 71
; ScratchSize: 0
; MemoryBound: 0
; FloatMode: 240
; IeeeMode: 1
; LDSByteSize: 4096 bytes/workgroup (compile time only)
; SGPRBlocks: 0
; VGPRBlocks: 4
; NumSGPRsForWavesPerEU: 42
; NumVGPRsForWavesPerEU: 71
; NamedBarCnt: 0
; Occupancy: 12
; WaveLimiterHint : 1
; COMPUTE_PGM_RSRC2:SCRATCH_EN: 0
; COMPUTE_PGM_RSRC2:USER_SGPR: 2
; COMPUTE_PGM_RSRC2:TRAP_HANDLER: 0
; COMPUTE_PGM_RSRC2:TGID_X_EN: 1
; COMPUTE_PGM_RSRC2:TGID_Y_EN: 1
; COMPUTE_PGM_RSRC2:TGID_Z_EN: 1
; COMPUTE_PGM_RSRC2:TIDIG_COMP_CNT: 1
	.section	.text._ZL29rocblas_internal_gemmt_kernelIiLi16ELi32ELi8ELc84ELc78ELc76ELb0ELb0E19rocblas_complex_numIfES1_PKPKS1_PKPS1_EviT_T9_T10_S9_lSB_S9_lSA_T11_S9_li,"axG",@progbits,_ZL29rocblas_internal_gemmt_kernelIiLi16ELi32ELi8ELc84ELc78ELc76ELb0ELb0E19rocblas_complex_numIfES1_PKPKS1_PKPS1_EviT_T9_T10_S9_lSB_S9_lSA_T11_S9_li,comdat
	.globl	_ZL29rocblas_internal_gemmt_kernelIiLi16ELi32ELi8ELc84ELc78ELc76ELb0ELb0E19rocblas_complex_numIfES1_PKPKS1_PKPS1_EviT_T9_T10_S9_lSB_S9_lSA_T11_S9_li ; -- Begin function _ZL29rocblas_internal_gemmt_kernelIiLi16ELi32ELi8ELc84ELc78ELc76ELb0ELb0E19rocblas_complex_numIfES1_PKPKS1_PKPS1_EviT_T9_T10_S9_lSB_S9_lSA_T11_S9_li
	.p2align	8
	.type	_ZL29rocblas_internal_gemmt_kernelIiLi16ELi32ELi8ELc84ELc78ELc76ELb0ELb0E19rocblas_complex_numIfES1_PKPKS1_PKPS1_EviT_T9_T10_S9_lSB_S9_lSA_T11_S9_li,@function
_ZL29rocblas_internal_gemmt_kernelIiLi16ELi32ELi8ELc84ELc78ELc76ELb0ELb0E19rocblas_complex_numIfES1_PKPKS1_PKPS1_EviT_T9_T10_S9_lSB_S9_lSA_T11_S9_li: ; @_ZL29rocblas_internal_gemmt_kernelIiLi16ELi32ELi8ELc84ELc78ELc76ELb0ELb0E19rocblas_complex_numIfES1_PKPKS1_PKPS1_EviT_T9_T10_S9_lSB_S9_lSA_T11_S9_li
; %bb.0:
	s_clause 0x1
	s_load_b64 s[6:7], s[0:1], 0x40
	s_load_b128 s[8:11], s[0:1], 0x0
	s_wait_kmcnt 0x0
	s_cmp_neq_f32 s6, 1.0
	s_cselect_b32 s2, -1, 0
	s_and_b32 s3, s7, 0x7fffffff
	s_delay_alu instid0(SALU_CYCLE_1) | instskip(SKIP_3) | instid1(SALU_CYCLE_1)
	s_cmp_eq_u32 s3, 0
	s_cselect_b32 s23, -1, 0
	s_cmp_lg_u32 s3, 0
	s_cselect_b32 s3, -1, 0
	s_or_b32 s2, s2, s3
	s_delay_alu instid0(SALU_CYCLE_1)
	s_and_b32 vcc_lo, exec_lo, s2
	s_cbranch_vccnz .LBB390_2
; %bb.1:
	s_cmp_lg_u32 s9, 0
	s_cselect_b32 s2, -1, 0
	s_cmp_neq_f32 s10, 0
	s_cselect_b32 s3, -1, 0
	s_cmp_neq_f32 s11, 0
	s_cselect_b32 s4, -1, 0
	s_delay_alu instid0(SALU_CYCLE_1) | instskip(NEXT) | instid1(SALU_CYCLE_1)
	s_or_b32 s3, s3, s4
	s_and_b32 s2, s2, s3
.LBB390_2:
	s_delay_alu instid0(SALU_CYCLE_1)
	s_and_not1_b32 vcc_lo, exec_lo, s2
	s_cbranch_vccnz .LBB390_33
; %bb.3:
	s_load_b32 s19, s[0:1], 0x60
	s_bfe_u32 s2, ttmp6, 0x40014
	s_lshr_b32 s3, ttmp7, 16
	s_add_co_i32 s2, s2, 1
	s_bfe_u32 s5, ttmp6, 0x40008
	s_mul_i32 s2, s3, s2
	s_getreg_b32 s4, hwreg(HW_REG_IB_STS2, 6, 4)
	s_add_co_i32 s5, s5, s2
	s_cmp_eq_u32 s4, 0
	s_mov_b32 s25, 0
	s_cselect_b32 s24, s3, s5
	s_wait_kmcnt 0x0
	s_cmp_ge_u32 s24, s19
	s_cbranch_scc1 .LBB390_33
; %bb.4:
	s_clause 0x2
	s_load_b96 s[16:18], s[0:1], 0x10
	s_load_b32 s2, s[0:1], 0x30
	s_load_b96 s[20:22], s[0:1], 0x48
	v_and_b32_e32 v4, 0x3ff, v0
	v_bfe_u32 v5, v0, 10, 10
	s_clause 0x2
	s_load_b128 s[12:15], s[0:1], 0x20
	s_load_b64 s[26:27], s[0:1], 0x38
	s_load_b64 s[28:29], s[0:1], 0x58
	s_wait_xcnt 0x0
	s_bfe_u32 s1, ttmp6, 0x4000c
	s_bfe_u32 s3, ttmp6, 0x40010
	s_and_b32 s30, ttmp7, 0xffff
	s_add_co_i32 s1, s1, 1
	s_add_co_i32 s3, s3, 1
	v_lshl_add_u32 v1, v5, 4, v4
	s_and_b32 s0, ttmp6, 15
	s_bfe_u32 s33, ttmp6, 0x40004
	s_mul_i32 s1, ttmp9, s1
	s_mul_i32 s34, s30, s3
	s_add_co_i32 s0, s0, s1
	s_add_co_i32 s33, s33, s34
	v_dual_lshrrev_b32 v21, 5, v1 :: v_dual_bitop2_b32 v23, 7, v0 bitop3:0x40
	s_wait_kmcnt 0x0
	s_ashr_i32 s31, s18, 31
	s_ashr_i32 s3, s2, 31
	;; [unrolled: 1-line block ×3, first 2 shown]
	s_cmp_eq_u32 s4, 0
	v_dual_lshrrev_b32 v6, 3, v1 :: v_dual_bitop2_b32 v1, 31, v1 bitop3:0x40
	s_cselect_b32 s0, ttmp9, s0
	s_cselect_b32 s1, s30, s33
	s_lshl_b32 s33, s0, 5
	s_lshl_b32 s1, s1, 5
	s_delay_alu instid0(SALU_CYCLE_1) | instskip(SKIP_2) | instid1(VALU_DEP_2)
	v_dual_add_nc_u32 v2, s1, v6 :: v_dual_bitop2_b32 v0, s33, v1 bitop3:0x54
	v_dual_lshlrev_b32 v3, 3, v1 :: v_dual_lshlrev_b32 v12, 3, v23
	s_mov_b32 s30, s18
	v_dual_ashrrev_i32 v1, 31, v0 :: v_dual_add_nc_u32 v8, s1, v5
	v_lshlrev_b32_e32 v29, 3, v4
	s_delay_alu instid0(VALU_DEP_3) | instskip(SKIP_4) | instid1(VALU_DEP_3)
	v_lshl_or_b32 v25, v21, 8, v3
	v_ashrrev_i32_e32 v3, 31, v2
	s_cmp_neq_f32 s10, 0
	v_mul_u64_e32 v[10:11], s[30:31], v[0:1]
	v_dual_add_nc_u32 v16, 16, v8 :: v_dual_ashrrev_i32 v9, 31, v8
	v_mul_u64_e32 v[14:15], s[2:3], v[2:3]
	s_cselect_b32 s0, -1, 0
	s_cmp_neq_f32 s11, 0
	v_lshl_or_b32 v6, v6, 6, v12
	v_ashrrev_i32_e32 v17, 31, v16
	s_mov_b32 s4, s22
	s_cselect_b32 s18, -1, 0
	v_cmp_gt_i32_e64 s1, s8, v2
	s_or_b32 s34, s0, s18
	v_cmp_gt_i32_e64 s0, s8, v0
	v_add_nc_u32_e32 v0, s33, v4
	v_add_nc_u32_e32 v27, 0x800, v6
	v_mul_u64_e32 v[2:3], s[4:5], v[8:9]
	v_mov_b32_e32 v9, 0
	v_mul_u64_e32 v[6:7], s[4:5], v[16:17]
	v_add_nc_u32_e32 v4, 16, v0
	s_cmp_gt_i32 s9, 0
	v_lshl_add_u32 v33, v5, 6, 0x800
	s_cselect_b32 s35, -1, 0
	s_cmp_neq_f32 s6, 0
	v_ashrrev_i32_e32 v5, 31, v4
	v_cmp_le_i32_e32 vcc_lo, v8, v0
	v_cmp_gt_i32_e64 s2, s8, v0
	s_cselect_b32 s3, -1, 0
	s_xor_b32 s18, s23, -1
	v_ashrrev_i32_e32 v1, 31, v0
	s_or_b32 s18, s3, s18
	v_cmp_le_i32_e64 s3, v8, v4
	v_cmp_gt_i32_e64 s4, s8, v4
	s_and_b32 s8, vcc_lo, s2
	v_cmp_le_i32_e32 vcc_lo, v16, v0
	v_dual_mov_b32 v13, v9 :: v_dual_lshlrev_b32 v8, 3, v21
	s_and_b32 s22, s3, s4
	v_cmp_le_i32_e64 s5, v16, v4
	s_and_b32 s23, vcc_lo, s2
	s_lshl_b64 s[2:3], s[12:13], 3
	s_lshl_b64 s[12:13], s[28:29], 3
	v_lshl_add_u64 v[10:11], v[10:11], 3, s[2:3]
	s_lshl_b64 s[2:3], s[26:27], 3
	s_and_b32 s30, s5, s4
	v_lshl_add_u64 v[14:15], v[14:15], 3, s[2:3]
	s_mov_b32 s2, s6
	v_add_nc_u64_e32 v[10:11], v[10:11], v[8:9]
	s_mov_b32 s3, s6
	s_mov_b32 s6, s7
	v_add_nc_u64_e32 v[12:13], v[14:15], v[12:13]
	s_and_b32 s26, s34, s35
	s_mov_b32 s4, s11
	s_mov_b32 s5, s10
	s_branch .LBB390_6
.LBB390_5:                              ;   in Loop: Header=BB390_6 Depth=1
	s_wait_xcnt 0x0
	s_or_b32 exec_lo, exec_lo, s27
	s_add_co_i32 s24, s24, 0x10000
	s_delay_alu instid0(SALU_CYCLE_1)
	s_cmp_lt_u32 s24, s19
	s_cbranch_scc0 .LBB390_33
.LBB390_6:                              ; =>This Loop Header: Depth=1
                                        ;     Child Loop BB390_9 Depth 2
	v_dual_mov_b32 v8, s24 :: v_dual_mov_b32 v30, 0
	v_dual_mov_b32 v32, 0 :: v_dual_mov_b32 v26, 0
	;; [unrolled: 1-line block ×3, first 2 shown]
	global_load_b64 v[14:15], v8, s[20:21] scale_offset
	s_wait_xcnt 0x0
	v_dual_mov_b32 v24, 0 :: v_dual_mov_b32 v8, 0
	v_mov_b32_e32 v20, 0
	s_and_not1_b32 vcc_lo, exec_lo, s26
	s_cbranch_vccnz .LBB390_13
; %bb.7:                                ;   in Loop: Header=BB390_6 Depth=1
	s_lshl_b64 s[28:29], s[24:25], 3
	v_dual_mov_b32 v20, 0 :: v_dual_mov_b32 v8, 0
	s_add_nc_u64 s[34:35], s[16:17], s[28:29]
	s_add_nc_u64 s[28:29], s[14:15], s[28:29]
	s_clause 0x1
	global_load_b64 v[16:17], v9, s[34:35]
	global_load_b64 v[18:19], v9, s[28:29]
	v_dual_mov_b32 v24, 0 :: v_dual_mov_b32 v22, 0
	v_dual_mov_b32 v28, 0 :: v_dual_mov_b32 v26, 0
	;; [unrolled: 1-line block ×3, first 2 shown]
	s_mov_b32 s27, 0
	s_wait_loadcnt 0x1
	v_add_nc_u64_e32 v[16:17], v[16:17], v[10:11]
	s_wait_loadcnt 0x0
	v_add_nc_u64_e32 v[18:19], v[18:19], v[12:13]
	s_branch .LBB390_9
.LBB390_8:                              ;   in Loop: Header=BB390_9 Depth=2
	s_wait_xcnt 0x0
	s_or_b32 exec_lo, exec_lo, s28
	s_wait_loadcnt_dscnt 0x0
	ds_store_b64 v27, v[36:37]
	s_wait_dscnt 0x0
	s_barrier_signal -1
	s_barrier_wait -1
	ds_load_b128 v[34:37], v33
	ds_load_2addr_b64 v[38:41], v29 offset1:16
	ds_load_b128 v[42:45], v33 offset:1024
	ds_load_b128 v[46:49], v33 offset:16
	ds_load_2addr_b64 v[50:53], v29 offset0:32 offset1:48
	ds_load_b128 v[54:57], v33 offset:32
	ds_load_b128 v[58:61], v33 offset:48
	ds_load_b128 v[62:65], v33 offset:1040
	v_add_nc_u64_e32 v[16:17], 64, v[16:17]
	v_add_nc_u64_e32 v[18:19], 64, v[18:19]
	s_add_co_i32 s27, s27, 8
	s_delay_alu instid0(SALU_CYCLE_1)
	s_cmp_lt_i32 s27, s9
	s_wait_dscnt 0x6
	v_dual_mul_f32 v31, v35, v39 :: v_dual_mul_f32 v66, v34, v39
	v_dual_mul_f32 v67, v35, v41 :: v_dual_mul_f32 v68, v34, v41
	s_wait_dscnt 0x5
	v_dual_mul_f32 v69, v43, v39 :: v_dual_mul_f32 v39, v42, v39
	v_dual_mul_f32 v70, v43, v41 :: v_dual_mul_f32 v71, v42, v41
	v_dual_fma_f32 v31, v34, v38, -v31 :: v_dual_fmac_f32 v66, v35, v38
	v_dual_fma_f32 v34, v34, v40, -v67 :: v_dual_fmac_f32 v68, v35, v40
	s_delay_alu instid0(VALU_DEP_4) | instskip(NEXT) | instid1(VALU_DEP_4)
	v_dual_fma_f32 v35, v42, v38, -v69 :: v_dual_fmac_f32 v39, v43, v38
	v_fma_f32 v38, v42, v40, -v70
	s_delay_alu instid0(VALU_DEP_3) | instskip(SKIP_1) | instid1(VALU_DEP_4)
	v_dual_add_f32 v30, v30, v31 :: v_dual_add_f32 v28, v28, v68
	v_add_f32_e32 v31, v32, v66
	v_dual_add_f32 v26, v26, v34 :: v_dual_add_f32 v24, v24, v39
	v_dual_add_f32 v22, v22, v35 :: v_dual_fmac_f32 v71, v43, v40
	s_wait_dscnt 0x3
	v_dual_mul_f32 v32, v37, v51 :: v_dual_add_f32 v8, v8, v38
	ds_load_2addr_b64 v[38:41], v29 offset0:64 offset1:80
	v_dual_mul_f32 v34, v36, v51 :: v_dual_mul_f32 v35, v37, v53
	v_add_f32_e32 v20, v20, v71
	v_dual_fma_f32 v32, v36, v50, -v32 :: v_dual_mul_f32 v42, v36, v53
	s_delay_alu instid0(VALU_DEP_1) | instskip(NEXT) | instid1(VALU_DEP_1)
	v_dual_fmac_f32 v34, v37, v50 :: v_dual_add_f32 v30, v30, v32
	v_dual_fma_f32 v32, v36, v52, -v35 :: v_dual_add_f32 v31, v31, v34
	v_mul_f32_e32 v35, v45, v51
	s_delay_alu instid0(VALU_DEP_4) | instskip(NEXT) | instid1(VALU_DEP_2)
	v_dual_fmac_f32 v42, v37, v52 :: v_dual_mul_f32 v34, v44, v51
	v_dual_add_f32 v26, v26, v32 :: v_dual_fma_f32 v32, v44, v50, -v35
	s_delay_alu instid0(VALU_DEP_2) | instskip(NEXT) | instid1(VALU_DEP_3)
	v_dual_mul_f32 v35, v45, v53 :: v_dual_add_f32 v28, v28, v42
	v_dual_fmac_f32 v34, v45, v50 :: v_dual_mul_f32 v42, v44, v53
	s_delay_alu instid0(VALU_DEP_3) | instskip(SKIP_1) | instid1(VALU_DEP_3)
	v_add_f32_e32 v22, v22, v32
	s_wait_dscnt 0x0
	v_dual_fma_f32 v32, v44, v52, -v35 :: v_dual_mul_f32 v35, v47, v39
	s_delay_alu instid0(VALU_DEP_3) | instskip(SKIP_1) | instid1(VALU_DEP_3)
	v_dual_add_f32 v24, v24, v34 :: v_dual_mul_f32 v43, v46, v39
	v_fmac_f32_e32 v42, v45, v52
	v_dual_add_f32 v8, v8, v32 :: v_dual_fma_f32 v32, v46, v38, -v35
	ds_load_2addr_b64 v[34:37], v29 offset0:96 offset1:112
	v_dual_mul_f32 v44, v47, v41 :: v_dual_fmac_f32 v43, v47, v38
	v_dual_add_f32 v20, v20, v42 :: v_dual_add_f32 v30, v30, v32
	s_delay_alu instid0(VALU_DEP_2) | instskip(NEXT) | instid1(VALU_DEP_3)
	v_dual_mul_f32 v32, v46, v41 :: v_dual_fma_f32 v42, v46, v40, -v44
	v_add_f32_e32 v31, v31, v43
	v_dual_mul_f32 v43, v63, v39 :: v_dual_mul_f32 v39, v62, v39
	s_delay_alu instid0(VALU_DEP_3) | instskip(NEXT) | instid1(VALU_DEP_2)
	v_dual_fmac_f32 v32, v47, v40 :: v_dual_add_f32 v26, v26, v42
	v_dual_mul_f32 v42, v63, v41 :: v_dual_fma_f32 v43, v62, v38, -v43
	s_delay_alu instid0(VALU_DEP_3) | instskip(NEXT) | instid1(VALU_DEP_3)
	v_dual_fmac_f32 v39, v63, v38 :: v_dual_mul_f32 v44, v62, v41
	v_add_f32_e32 v28, v28, v32
	s_delay_alu instid0(VALU_DEP_3) | instskip(NEXT) | instid1(VALU_DEP_4)
	v_fma_f32 v32, v62, v40, -v42
	v_add_f32_e32 v22, v22, v43
	s_delay_alu instid0(VALU_DEP_4) | instskip(SKIP_1) | instid1(VALU_DEP_3)
	v_dual_add_f32 v24, v24, v39 :: v_dual_fmac_f32 v44, v63, v40
	s_wait_dscnt 0x0
	v_dual_mul_f32 v42, v49, v35 :: v_dual_add_f32 v8, v8, v32
	ds_load_2addr_b64 v[38:41], v29 offset0:128 offset1:144
	v_dual_mul_f32 v32, v48, v35 :: v_dual_mul_f32 v43, v49, v37
	v_dual_fma_f32 v42, v48, v34, -v42 :: v_dual_mul_f32 v46, v48, v37
	s_delay_alu instid0(VALU_DEP_2) | instskip(NEXT) | instid1(VALU_DEP_2)
	v_dual_fmac_f32 v32, v49, v34 :: v_dual_add_f32 v20, v20, v44
	v_dual_add_f32 v30, v30, v42 :: v_dual_fma_f32 v43, v48, v36, -v43
	s_delay_alu instid0(VALU_DEP_2) | instskip(NEXT) | instid1(VALU_DEP_4)
	v_dual_mul_f32 v42, v65, v35 :: v_dual_add_f32 v31, v31, v32
	v_dual_fmac_f32 v46, v49, v36 :: v_dual_mul_f32 v32, v64, v35
	s_delay_alu instid0(VALU_DEP_2) | instskip(NEXT) | instid1(VALU_DEP_2)
	v_dual_add_f32 v26, v26, v43 :: v_dual_fma_f32 v35, v64, v34, -v42
	v_dual_mul_f32 v47, v65, v37 :: v_dual_add_f32 v28, v28, v46
	ds_load_b128 v[42:45], v33 offset:1056
	v_dual_fmac_f32 v32, v65, v34 :: v_dual_mul_f32 v46, v64, v37
	v_dual_fma_f32 v34, v64, v36, -v47 :: v_dual_add_f32 v22, v22, v35
	s_wait_dscnt 0x1
	s_delay_alu instid0(VALU_DEP_2) | instskip(NEXT) | instid1(VALU_DEP_2)
	v_dual_mul_f32 v35, v55, v39 :: v_dual_add_f32 v24, v24, v32
	v_dual_fmac_f32 v46, v65, v36 :: v_dual_add_f32 v8, v8, v34
	s_delay_alu instid0(VALU_DEP_2) | instskip(SKIP_3) | instid1(VALU_DEP_2)
	v_dual_mul_f32 v32, v54, v39 :: v_dual_fma_f32 v47, v54, v38, -v35
	ds_load_2addr_b64 v[34:37], v29 offset0:160 offset1:176
	v_dual_mul_f32 v48, v55, v41 :: v_dual_add_f32 v20, v20, v46
	v_dual_fmac_f32 v32, v55, v38 :: v_dual_add_f32 v30, v30, v47
	v_dual_mul_f32 v50, v54, v41 :: v_dual_fma_f32 v51, v54, v40, -v48
	ds_load_b128 v[46:49], v33 offset:1072
	v_add_f32_e32 v31, v31, v32
	s_wait_dscnt 0x2
	v_dual_mul_f32 v52, v43, v39 :: v_dual_mul_f32 v32, v42, v39
	v_dual_fmac_f32 v50, v55, v40 :: v_dual_add_f32 v26, v26, v51
	s_delay_alu instid0(VALU_DEP_2) | instskip(NEXT) | instid1(VALU_DEP_2)
	v_dual_fma_f32 v39, v42, v38, -v52 :: v_dual_mul_f32 v51, v43, v41
	v_add_f32_e32 v28, v28, v50
	s_delay_alu instid0(VALU_DEP_4) | instskip(NEXT) | instid1(VALU_DEP_3)
	v_dual_fmac_f32 v32, v43, v38 :: v_dual_mul_f32 v50, v42, v41
	v_add_f32_e32 v22, v22, v39
	s_wait_dscnt 0x1
	v_dual_fma_f32 v38, v42, v40, -v51 :: v_dual_mul_f32 v39, v57, v35
	s_delay_alu instid0(VALU_DEP_3) | instskip(SKIP_1) | instid1(VALU_DEP_3)
	v_add_f32_e32 v24, v24, v32
	v_dual_fmac_f32 v50, v43, v40 :: v_dual_mul_f32 v32, v56, v35
	v_dual_add_f32 v8, v8, v38 :: v_dual_mul_f32 v43, v57, v37
	s_delay_alu instid0(VALU_DEP_4) | instskip(SKIP_4) | instid1(VALU_DEP_3)
	v_fma_f32 v42, v56, v34, -v39
	ds_load_2addr_b64 v[38:41], v29 offset0:192 offset1:208
	v_fmac_f32_e32 v32, v57, v34
	v_add_f32_e32 v20, v20, v50
	v_dual_fma_f32 v43, v56, v36, -v43 :: v_dual_add_f32 v30, v30, v42
	v_dual_mul_f32 v42, v56, v37 :: v_dual_add_f32 v31, v31, v32
	v_dual_mul_f32 v32, v45, v35 :: v_dual_mul_f32 v35, v44, v35
	s_delay_alu instid0(VALU_DEP_3) | instskip(NEXT) | instid1(VALU_DEP_2)
	v_dual_add_f32 v26, v26, v43 :: v_dual_mul_f32 v43, v45, v37
	v_dual_fmac_f32 v42, v57, v36 :: v_dual_fma_f32 v32, v44, v34, -v32
	s_delay_alu instid0(VALU_DEP_3) | instskip(NEXT) | instid1(VALU_DEP_3)
	v_fmac_f32_e32 v35, v45, v34
	v_fma_f32 v34, v44, v36, -v43
	s_delay_alu instid0(VALU_DEP_3) | instskip(SKIP_1) | instid1(VALU_DEP_4)
	v_dual_add_f32 v28, v28, v42 :: v_dual_add_f32 v22, v22, v32
	v_mul_f32_e32 v42, v44, v37
	v_add_f32_e32 v24, v24, v35
	s_wait_dscnt 0x0
	v_dual_mul_f32 v32, v59, v39 :: v_dual_add_f32 v8, v8, v34
	s_delay_alu instid0(VALU_DEP_3) | instskip(SKIP_4) | instid1(VALU_DEP_3)
	v_dual_mul_f32 v43, v58, v39 :: v_dual_fmac_f32 v42, v45, v36
	ds_load_2addr_b64 v[34:37], v29 offset0:224 offset1:240
	v_dual_fma_f32 v32, v58, v38, -v32 :: v_dual_mul_f32 v44, v58, v41
	v_fmac_f32_e32 v43, v59, v38
	v_dual_add_f32 v20, v20, v42 :: v_dual_mul_f32 v42, v59, v41
	v_dual_add_f32 v30, v30, v32 :: v_dual_mul_f32 v32, v47, v39
	s_delay_alu instid0(VALU_DEP_3) | instskip(SKIP_1) | instid1(VALU_DEP_4)
	v_add_f32_e32 v31, v31, v43
	v_dual_fmac_f32 v44, v59, v40 :: v_dual_mul_f32 v39, v46, v39
	v_fma_f32 v42, v58, v40, -v42
	s_delay_alu instid0(VALU_DEP_4) | instskip(SKIP_1) | instid1(VALU_DEP_3)
	v_fma_f32 v32, v46, v38, -v32
	s_wait_dscnt 0x0
	v_add_f32_e32 v28, v28, v44
	s_barrier_signal -1
	v_dual_add_f32 v26, v26, v42 :: v_dual_mul_f32 v42, v47, v41
	v_dual_fmac_f32 v39, v47, v38 :: v_dual_add_f32 v22, v22, v32
	v_dual_mul_f32 v32, v46, v41 :: v_dual_mul_f32 v41, v61, v35
	s_delay_alu instid0(VALU_DEP_3) | instskip(NEXT) | instid1(VALU_DEP_2)
	v_dual_fma_f32 v38, v46, v40, -v42 :: v_dual_mul_f32 v42, v60, v35
	v_dual_add_f32 v24, v24, v39 :: v_dual_fmac_f32 v32, v47, v40
	s_delay_alu instid0(VALU_DEP_2) | instskip(NEXT) | instid1(VALU_DEP_3)
	v_dual_mul_f32 v39, v61, v37 :: v_dual_add_f32 v8, v8, v38
	v_dual_fma_f32 v38, v60, v34, -v41 :: v_dual_fmac_f32 v42, v61, v34
	v_mul_f32_e32 v40, v60, v37
	s_delay_alu instid0(VALU_DEP_4) | instskip(SKIP_1) | instid1(VALU_DEP_3)
	v_add_f32_e32 v20, v20, v32
	s_barrier_wait -1
	v_add_f32_e32 v30, v30, v38
	v_dual_add_f32 v32, v31, v42 :: v_dual_fma_f32 v31, v60, v36, -v39
	v_fmac_f32_e32 v40, v61, v36
	v_dual_mul_f32 v38, v49, v35 :: v_dual_mul_f32 v35, v48, v35
	v_dual_mul_f32 v39, v49, v37 :: v_dual_mul_f32 v37, v48, v37
	s_delay_alu instid0(VALU_DEP_2) | instskip(NEXT) | instid1(VALU_DEP_3)
	v_dual_add_f32 v26, v26, v31 :: v_dual_fma_f32 v31, v48, v34, -v38
	v_fmac_f32_e32 v35, v49, v34
	s_delay_alu instid0(VALU_DEP_3) | instskip(NEXT) | instid1(VALU_DEP_3)
	v_dual_fma_f32 v34, v48, v36, -v39 :: v_dual_fmac_f32 v37, v49, v36
	v_dual_add_f32 v28, v28, v40 :: v_dual_add_f32 v22, v22, v31
	s_delay_alu instid0(VALU_DEP_3) | instskip(NEXT) | instid1(VALU_DEP_3)
	v_add_f32_e32 v24, v24, v35
	v_add_f32_e32 v8, v8, v34
	s_delay_alu instid0(VALU_DEP_4)
	v_add_f32_e32 v20, v20, v37
	s_cbranch_scc0 .LBB390_13
.LBB390_9:                              ;   Parent Loop BB390_6 Depth=1
                                        ; =>  This Inner Loop Header: Depth=2
	v_dual_mov_b32 v34, 0 :: v_dual_add_nc_u32 v31, s27, v21
	v_mov_b32_e32 v35, 0
	s_delay_alu instid0(VALU_DEP_2) | instskip(SKIP_2) | instid1(SALU_CYCLE_1)
	v_cmp_gt_i32_e32 vcc_lo, s9, v31
	s_wait_xcnt 0x0
	s_and_b32 s29, s0, vcc_lo
	s_and_saveexec_b32 s28, s29
	s_cbranch_execz .LBB390_11
; %bb.10:                               ;   in Loop: Header=BB390_9 Depth=2
	flat_load_b64 v[34:35], v[16:17]
.LBB390_11:                             ;   in Loop: Header=BB390_9 Depth=2
	s_wait_xcnt 0x0
	s_or_b32 exec_lo, exec_lo, s28
	v_dual_mov_b32 v36, 0 :: v_dual_add_nc_u32 v31, s27, v23
	v_mov_b32_e32 v37, 0
	s_wait_loadcnt_dscnt 0x0
	ds_store_b64 v25, v[34:35]
	v_cmp_gt_i32_e32 vcc_lo, s9, v31
	s_and_b32 s29, vcc_lo, s1
	s_delay_alu instid0(SALU_CYCLE_1)
	s_and_saveexec_b32 s28, s29
	s_cbranch_execz .LBB390_8
; %bb.12:                               ;   in Loop: Header=BB390_9 Depth=2
	flat_load_b64 v[36:37], v[18:19]
	s_branch .LBB390_8
.LBB390_13:                             ;   in Loop: Header=BB390_6 Depth=1
	s_wait_loadcnt 0x0
	v_add_nc_u64_e32 v[14:15], s[12:13], v[14:15]
	s_delay_alu instid0(VALU_DEP_1)
	v_lshl_add_u64 v[16:17], v[2:3], 3, v[14:15]
	s_and_saveexec_b32 s27, s8
	s_cbranch_execz .LBB390_18
; %bb.14:                               ;   in Loop: Header=BB390_6 Depth=1
	v_mov_b64_e32 v[18:19], s[4:5]
	v_mov_b64_e32 v[34:35], s[10:11]
	s_and_b32 vcc_lo, exec_lo, s18
	s_mov_b32 s28, -1
	s_delay_alu instid0(VALU_DEP_2) | instskip(NEXT) | instid1(VALU_DEP_1)
	v_pk_mul_f32 v[18:19], v[32:33], v[18:19] op_sel_hi:[0,1]
	v_pk_fma_f32 v[36:37], v[30:31], v[34:35], v[18:19] op_sel_hi:[0,1,1]
	v_pk_fma_f32 v[18:19], v[30:31], v[34:35], v[18:19] neg_lo:[0,0,1] neg_hi:[0,0,1]
	v_lshl_add_u64 v[30:31], v[0:1], 3, v[16:17]
	s_delay_alu instid0(VALU_DEP_3)
	v_mov_b32_e32 v19, v37
	s_cbranch_vccz .LBB390_16
; %bb.15:                               ;   in Loop: Header=BB390_6 Depth=1
	flat_load_b64 v[34:35], v[30:31]
	v_mov_b64_e32 v[36:37], s[6:7]
	v_mov_b64_e32 v[38:39], s[2:3]
	s_mov_b32 s28, 0
	s_wait_loadcnt_dscnt 0x0
	s_delay_alu instid0(VALU_DEP_2) | instskip(NEXT) | instid1(VALU_DEP_1)
	v_pk_mul_f32 v[36:37], v[34:35], v[36:37]
	v_pk_fma_f32 v[40:41], v[34:35], v[38:39], v[36:37] op_sel:[0,0,1] op_sel_hi:[1,1,0]
	v_pk_fma_f32 v[34:35], v[34:35], v[38:39], v[36:37] op_sel:[0,0,1] op_sel_hi:[1,1,0] neg_lo:[0,0,1] neg_hi:[0,0,1]
	s_delay_alu instid0(VALU_DEP_2) | instskip(NEXT) | instid1(VALU_DEP_1)
	v_mov_b32_e32 v35, v41
	v_pk_add_f32 v[34:35], v[18:19], v[34:35]
	flat_store_b64 v[30:31], v[34:35]
.LBB390_16:                             ;   in Loop: Header=BB390_6 Depth=1
	s_and_not1_b32 vcc_lo, exec_lo, s28
	s_cbranch_vccnz .LBB390_18
; %bb.17:                               ;   in Loop: Header=BB390_6 Depth=1
	flat_store_b64 v[30:31], v[18:19]
.LBB390_18:                             ;   in Loop: Header=BB390_6 Depth=1
	s_wait_xcnt 0x0
	s_or_b32 exec_lo, exec_lo, s27
	s_and_saveexec_b32 s27, s22
	s_cbranch_execz .LBB390_23
; %bb.19:                               ;   in Loop: Header=BB390_6 Depth=1
	v_mov_b64_e32 v[18:19], s[4:5]
	v_mov_b64_e32 v[30:31], s[10:11]
	v_lshl_add_u64 v[16:17], v[4:5], 3, v[16:17]
	s_and_not1_b32 vcc_lo, exec_lo, s18
	s_mov_b32 s28, -1
	s_delay_alu instid0(VALU_DEP_3) | instskip(NEXT) | instid1(VALU_DEP_1)
	v_pk_mul_f32 v[18:19], v[28:29], v[18:19] op_sel_hi:[0,1]
	v_pk_fma_f32 v[34:35], v[26:27], v[30:31], v[18:19] op_sel_hi:[0,1,1]
	v_pk_fma_f32 v[18:19], v[26:27], v[30:31], v[18:19] neg_lo:[0,0,1] neg_hi:[0,0,1]
	s_delay_alu instid0(VALU_DEP_2)
	v_mov_b32_e32 v19, v35
	s_cbranch_vccnz .LBB390_21
; %bb.20:                               ;   in Loop: Header=BB390_6 Depth=1
	flat_load_b64 v[30:31], v[16:17]
	v_mov_b64_e32 v[34:35], s[6:7]
	v_mov_b64_e32 v[36:37], s[2:3]
	s_mov_b32 s28, 0
	s_wait_loadcnt_dscnt 0x0
	s_delay_alu instid0(VALU_DEP_2) | instskip(NEXT) | instid1(VALU_DEP_1)
	v_pk_mul_f32 v[34:35], v[30:31], v[34:35]
	v_pk_fma_f32 v[38:39], v[30:31], v[36:37], v[34:35] op_sel:[0,0,1] op_sel_hi:[1,1,0]
	v_pk_fma_f32 v[30:31], v[30:31], v[36:37], v[34:35] op_sel:[0,0,1] op_sel_hi:[1,1,0] neg_lo:[0,0,1] neg_hi:[0,0,1]
	s_delay_alu instid0(VALU_DEP_2) | instskip(NEXT) | instid1(VALU_DEP_1)
	v_mov_b32_e32 v31, v39
	v_pk_add_f32 v[30:31], v[18:19], v[30:31]
	flat_store_b64 v[16:17], v[30:31]
.LBB390_21:                             ;   in Loop: Header=BB390_6 Depth=1
	s_and_not1_b32 vcc_lo, exec_lo, s28
	s_cbranch_vccnz .LBB390_23
; %bb.22:                               ;   in Loop: Header=BB390_6 Depth=1
	flat_store_b64 v[16:17], v[18:19]
.LBB390_23:                             ;   in Loop: Header=BB390_6 Depth=1
	s_wait_xcnt 0x0
	s_or_b32 exec_lo, exec_lo, s27
	v_lshl_add_u64 v[14:15], v[6:7], 3, v[14:15]
	s_and_saveexec_b32 s27, s23
	s_cbranch_execz .LBB390_28
; %bb.24:                               ;   in Loop: Header=BB390_6 Depth=1
	v_mov_b64_e32 v[16:17], s[4:5]
	v_mov_b64_e32 v[18:19], s[10:11]
	s_and_not1_b32 vcc_lo, exec_lo, s18
	s_mov_b32 s28, -1
	s_delay_alu instid0(VALU_DEP_2) | instskip(NEXT) | instid1(VALU_DEP_1)
	v_pk_mul_f32 v[16:17], v[24:25], v[16:17] op_sel_hi:[0,1]
	v_pk_fma_f32 v[30:31], v[22:23], v[18:19], v[16:17] op_sel_hi:[0,1,1]
	v_pk_fma_f32 v[16:17], v[22:23], v[18:19], v[16:17] neg_lo:[0,0,1] neg_hi:[0,0,1]
	v_lshl_add_u64 v[18:19], v[0:1], 3, v[14:15]
	s_delay_alu instid0(VALU_DEP_3)
	v_mov_b32_e32 v17, v31
	s_cbranch_vccnz .LBB390_26
; %bb.25:                               ;   in Loop: Header=BB390_6 Depth=1
	flat_load_b64 v[30:31], v[18:19]
	v_mov_b64_e32 v[34:35], s[6:7]
	v_mov_b64_e32 v[36:37], s[2:3]
	s_mov_b32 s28, 0
	s_wait_loadcnt_dscnt 0x0
	s_delay_alu instid0(VALU_DEP_2) | instskip(NEXT) | instid1(VALU_DEP_1)
	v_pk_mul_f32 v[34:35], v[30:31], v[34:35]
	v_pk_fma_f32 v[38:39], v[30:31], v[36:37], v[34:35] op_sel:[0,0,1] op_sel_hi:[1,1,0]
	v_pk_fma_f32 v[30:31], v[30:31], v[36:37], v[34:35] op_sel:[0,0,1] op_sel_hi:[1,1,0] neg_lo:[0,0,1] neg_hi:[0,0,1]
	s_delay_alu instid0(VALU_DEP_2) | instskip(NEXT) | instid1(VALU_DEP_1)
	v_mov_b32_e32 v31, v39
	v_pk_add_f32 v[30:31], v[16:17], v[30:31]
	flat_store_b64 v[18:19], v[30:31]
.LBB390_26:                             ;   in Loop: Header=BB390_6 Depth=1
	s_and_not1_b32 vcc_lo, exec_lo, s28
	s_cbranch_vccnz .LBB390_28
; %bb.27:                               ;   in Loop: Header=BB390_6 Depth=1
	flat_store_b64 v[18:19], v[16:17]
.LBB390_28:                             ;   in Loop: Header=BB390_6 Depth=1
	s_wait_xcnt 0x0
	s_or_b32 exec_lo, exec_lo, s27
	s_and_saveexec_b32 s27, s30
	s_cbranch_execz .LBB390_5
; %bb.29:                               ;   in Loop: Header=BB390_6 Depth=1
	v_mov_b64_e32 v[16:17], s[4:5]
	v_mov_b64_e32 v[18:19], s[10:11]
	v_lshl_add_u64 v[14:15], v[4:5], 3, v[14:15]
	s_and_not1_b32 vcc_lo, exec_lo, s18
	s_mov_b32 s28, -1
	s_delay_alu instid0(VALU_DEP_3) | instskip(NEXT) | instid1(VALU_DEP_1)
	v_pk_mul_f32 v[16:17], v[20:21], v[16:17] op_sel_hi:[0,1]
	v_pk_fma_f32 v[30:31], v[8:9], v[18:19], v[16:17] op_sel_hi:[0,1,1]
	v_pk_fma_f32 v[16:17], v[8:9], v[18:19], v[16:17] neg_lo:[0,0,1] neg_hi:[0,0,1]
	s_delay_alu instid0(VALU_DEP_2)
	v_mov_b32_e32 v17, v31
	s_cbranch_vccnz .LBB390_31
; %bb.30:                               ;   in Loop: Header=BB390_6 Depth=1
	flat_load_b64 v[18:19], v[14:15]
	v_mov_b64_e32 v[30:31], s[6:7]
	v_mov_b64_e32 v[34:35], s[2:3]
	s_mov_b32 s28, 0
	s_wait_loadcnt_dscnt 0x0
	s_delay_alu instid0(VALU_DEP_2) | instskip(NEXT) | instid1(VALU_DEP_1)
	v_pk_mul_f32 v[30:31], v[18:19], v[30:31]
	v_pk_fma_f32 v[36:37], v[18:19], v[34:35], v[30:31] op_sel:[0,0,1] op_sel_hi:[1,1,0]
	v_pk_fma_f32 v[18:19], v[18:19], v[34:35], v[30:31] op_sel:[0,0,1] op_sel_hi:[1,1,0] neg_lo:[0,0,1] neg_hi:[0,0,1]
	s_delay_alu instid0(VALU_DEP_2) | instskip(NEXT) | instid1(VALU_DEP_1)
	v_mov_b32_e32 v19, v37
	v_pk_add_f32 v[18:19], v[16:17], v[18:19]
	flat_store_b64 v[14:15], v[18:19]
.LBB390_31:                             ;   in Loop: Header=BB390_6 Depth=1
	s_and_not1_b32 vcc_lo, exec_lo, s28
	s_cbranch_vccnz .LBB390_5
; %bb.32:                               ;   in Loop: Header=BB390_6 Depth=1
	flat_store_b64 v[14:15], v[16:17]
	s_branch .LBB390_5
.LBB390_33:
	s_sendmsg sendmsg(MSG_DEALLOC_VGPRS)
	s_endpgm
	.section	.rodata,"a",@progbits
	.p2align	6, 0x0
	.amdhsa_kernel _ZL29rocblas_internal_gemmt_kernelIiLi16ELi32ELi8ELc84ELc78ELc76ELb0ELb0E19rocblas_complex_numIfES1_PKPKS1_PKPS1_EviT_T9_T10_S9_lSB_S9_lSA_T11_S9_li
		.amdhsa_group_segment_fixed_size 4096
		.amdhsa_private_segment_fixed_size 0
		.amdhsa_kernarg_size 100
		.amdhsa_user_sgpr_count 2
		.amdhsa_user_sgpr_dispatch_ptr 0
		.amdhsa_user_sgpr_queue_ptr 0
		.amdhsa_user_sgpr_kernarg_segment_ptr 1
		.amdhsa_user_sgpr_dispatch_id 0
		.amdhsa_user_sgpr_kernarg_preload_length 0
		.amdhsa_user_sgpr_kernarg_preload_offset 0
		.amdhsa_user_sgpr_private_segment_size 0
		.amdhsa_wavefront_size32 1
		.amdhsa_uses_dynamic_stack 0
		.amdhsa_enable_private_segment 0
		.amdhsa_system_sgpr_workgroup_id_x 1
		.amdhsa_system_sgpr_workgroup_id_y 1
		.amdhsa_system_sgpr_workgroup_id_z 1
		.amdhsa_system_sgpr_workgroup_info 0
		.amdhsa_system_vgpr_workitem_id 1
		.amdhsa_next_free_vgpr 72
		.amdhsa_next_free_sgpr 36
		.amdhsa_named_barrier_count 0
		.amdhsa_reserve_vcc 1
		.amdhsa_float_round_mode_32 0
		.amdhsa_float_round_mode_16_64 0
		.amdhsa_float_denorm_mode_32 3
		.amdhsa_float_denorm_mode_16_64 3
		.amdhsa_fp16_overflow 0
		.amdhsa_memory_ordered 1
		.amdhsa_forward_progress 1
		.amdhsa_inst_pref_size 26
		.amdhsa_round_robin_scheduling 0
		.amdhsa_exception_fp_ieee_invalid_op 0
		.amdhsa_exception_fp_denorm_src 0
		.amdhsa_exception_fp_ieee_div_zero 0
		.amdhsa_exception_fp_ieee_overflow 0
		.amdhsa_exception_fp_ieee_underflow 0
		.amdhsa_exception_fp_ieee_inexact 0
		.amdhsa_exception_int_div_zero 0
	.end_amdhsa_kernel
	.section	.text._ZL29rocblas_internal_gemmt_kernelIiLi16ELi32ELi8ELc84ELc78ELc76ELb0ELb0E19rocblas_complex_numIfES1_PKPKS1_PKPS1_EviT_T9_T10_S9_lSB_S9_lSA_T11_S9_li,"axG",@progbits,_ZL29rocblas_internal_gemmt_kernelIiLi16ELi32ELi8ELc84ELc78ELc76ELb0ELb0E19rocblas_complex_numIfES1_PKPKS1_PKPS1_EviT_T9_T10_S9_lSB_S9_lSA_T11_S9_li,comdat
.Lfunc_end390:
	.size	_ZL29rocblas_internal_gemmt_kernelIiLi16ELi32ELi8ELc84ELc78ELc76ELb0ELb0E19rocblas_complex_numIfES1_PKPKS1_PKPS1_EviT_T9_T10_S9_lSB_S9_lSA_T11_S9_li, .Lfunc_end390-_ZL29rocblas_internal_gemmt_kernelIiLi16ELi32ELi8ELc84ELc78ELc76ELb0ELb0E19rocblas_complex_numIfES1_PKPKS1_PKPS1_EviT_T9_T10_S9_lSB_S9_lSA_T11_S9_li
                                        ; -- End function
	.set _ZL29rocblas_internal_gemmt_kernelIiLi16ELi32ELi8ELc84ELc78ELc76ELb0ELb0E19rocblas_complex_numIfES1_PKPKS1_PKPS1_EviT_T9_T10_S9_lSB_S9_lSA_T11_S9_li.num_vgpr, 72
	.set _ZL29rocblas_internal_gemmt_kernelIiLi16ELi32ELi8ELc84ELc78ELc76ELb0ELb0E19rocblas_complex_numIfES1_PKPKS1_PKPS1_EviT_T9_T10_S9_lSB_S9_lSA_T11_S9_li.num_agpr, 0
	.set _ZL29rocblas_internal_gemmt_kernelIiLi16ELi32ELi8ELc84ELc78ELc76ELb0ELb0E19rocblas_complex_numIfES1_PKPKS1_PKPS1_EviT_T9_T10_S9_lSB_S9_lSA_T11_S9_li.numbered_sgpr, 36
	.set _ZL29rocblas_internal_gemmt_kernelIiLi16ELi32ELi8ELc84ELc78ELc76ELb0ELb0E19rocblas_complex_numIfES1_PKPKS1_PKPS1_EviT_T9_T10_S9_lSB_S9_lSA_T11_S9_li.num_named_barrier, 0
	.set _ZL29rocblas_internal_gemmt_kernelIiLi16ELi32ELi8ELc84ELc78ELc76ELb0ELb0E19rocblas_complex_numIfES1_PKPKS1_PKPS1_EviT_T9_T10_S9_lSB_S9_lSA_T11_S9_li.private_seg_size, 0
	.set _ZL29rocblas_internal_gemmt_kernelIiLi16ELi32ELi8ELc84ELc78ELc76ELb0ELb0E19rocblas_complex_numIfES1_PKPKS1_PKPS1_EviT_T9_T10_S9_lSB_S9_lSA_T11_S9_li.uses_vcc, 1
	.set _ZL29rocblas_internal_gemmt_kernelIiLi16ELi32ELi8ELc84ELc78ELc76ELb0ELb0E19rocblas_complex_numIfES1_PKPKS1_PKPS1_EviT_T9_T10_S9_lSB_S9_lSA_T11_S9_li.uses_flat_scratch, 0
	.set _ZL29rocblas_internal_gemmt_kernelIiLi16ELi32ELi8ELc84ELc78ELc76ELb0ELb0E19rocblas_complex_numIfES1_PKPKS1_PKPS1_EviT_T9_T10_S9_lSB_S9_lSA_T11_S9_li.has_dyn_sized_stack, 0
	.set _ZL29rocblas_internal_gemmt_kernelIiLi16ELi32ELi8ELc84ELc78ELc76ELb0ELb0E19rocblas_complex_numIfES1_PKPKS1_PKPS1_EviT_T9_T10_S9_lSB_S9_lSA_T11_S9_li.has_recursion, 0
	.set _ZL29rocblas_internal_gemmt_kernelIiLi16ELi32ELi8ELc84ELc78ELc76ELb0ELb0E19rocblas_complex_numIfES1_PKPKS1_PKPS1_EviT_T9_T10_S9_lSB_S9_lSA_T11_S9_li.has_indirect_call, 0
	.section	.AMDGPU.csdata,"",@progbits
; Kernel info:
; codeLenInByte = 3216
; TotalNumSgprs: 38
; NumVgprs: 72
; ScratchSize: 0
; MemoryBound: 0
; FloatMode: 240
; IeeeMode: 1
; LDSByteSize: 4096 bytes/workgroup (compile time only)
; SGPRBlocks: 0
; VGPRBlocks: 4
; NumSGPRsForWavesPerEU: 38
; NumVGPRsForWavesPerEU: 72
; NamedBarCnt: 0
; Occupancy: 12
; WaveLimiterHint : 1
; COMPUTE_PGM_RSRC2:SCRATCH_EN: 0
; COMPUTE_PGM_RSRC2:USER_SGPR: 2
; COMPUTE_PGM_RSRC2:TRAP_HANDLER: 0
; COMPUTE_PGM_RSRC2:TGID_X_EN: 1
; COMPUTE_PGM_RSRC2:TGID_Y_EN: 1
; COMPUTE_PGM_RSRC2:TGID_Z_EN: 1
; COMPUTE_PGM_RSRC2:TIDIG_COMP_CNT: 1
	.section	.text._ZL29rocblas_internal_gemmt_kernelIiLi16ELi32ELi8ELc84ELc84ELc76ELb0ELb0E19rocblas_complex_numIfES1_PKPKS1_PKPS1_EviT_T9_T10_S9_lSB_S9_lSA_T11_S9_li,"axG",@progbits,_ZL29rocblas_internal_gemmt_kernelIiLi16ELi32ELi8ELc84ELc84ELc76ELb0ELb0E19rocblas_complex_numIfES1_PKPKS1_PKPS1_EviT_T9_T10_S9_lSB_S9_lSA_T11_S9_li,comdat
	.globl	_ZL29rocblas_internal_gemmt_kernelIiLi16ELi32ELi8ELc84ELc84ELc76ELb0ELb0E19rocblas_complex_numIfES1_PKPKS1_PKPS1_EviT_T9_T10_S9_lSB_S9_lSA_T11_S9_li ; -- Begin function _ZL29rocblas_internal_gemmt_kernelIiLi16ELi32ELi8ELc84ELc84ELc76ELb0ELb0E19rocblas_complex_numIfES1_PKPKS1_PKPS1_EviT_T9_T10_S9_lSB_S9_lSA_T11_S9_li
	.p2align	8
	.type	_ZL29rocblas_internal_gemmt_kernelIiLi16ELi32ELi8ELc84ELc84ELc76ELb0ELb0E19rocblas_complex_numIfES1_PKPKS1_PKPS1_EviT_T9_T10_S9_lSB_S9_lSA_T11_S9_li,@function
_ZL29rocblas_internal_gemmt_kernelIiLi16ELi32ELi8ELc84ELc84ELc76ELb0ELb0E19rocblas_complex_numIfES1_PKPKS1_PKPS1_EviT_T9_T10_S9_lSB_S9_lSA_T11_S9_li: ; @_ZL29rocblas_internal_gemmt_kernelIiLi16ELi32ELi8ELc84ELc84ELc76ELb0ELb0E19rocblas_complex_numIfES1_PKPKS1_PKPS1_EviT_T9_T10_S9_lSB_S9_lSA_T11_S9_li
; %bb.0:
	s_clause 0x1
	s_load_b64 s[6:7], s[0:1], 0x40
	s_load_b128 s[8:11], s[0:1], 0x0
	s_wait_kmcnt 0x0
	s_cmp_neq_f32 s6, 1.0
	s_cselect_b32 s2, -1, 0
	s_and_b32 s3, s7, 0x7fffffff
	s_delay_alu instid0(SALU_CYCLE_1) | instskip(SKIP_3) | instid1(SALU_CYCLE_1)
	s_cmp_eq_u32 s3, 0
	s_cselect_b32 s4, -1, 0
	s_cmp_lg_u32 s3, 0
	s_cselect_b32 s3, -1, 0
	s_or_b32 s2, s2, s3
	s_delay_alu instid0(SALU_CYCLE_1)
	s_and_b32 vcc_lo, exec_lo, s2
	s_cbranch_vccnz .LBB391_2
; %bb.1:
	s_cmp_lg_u32 s9, 0
	s_cselect_b32 s2, -1, 0
	s_cmp_neq_f32 s10, 0
	s_cselect_b32 s3, -1, 0
	s_cmp_neq_f32 s11, 0
	s_cselect_b32 s5, -1, 0
	s_delay_alu instid0(SALU_CYCLE_1) | instskip(NEXT) | instid1(SALU_CYCLE_1)
	s_or_b32 s3, s3, s5
	s_and_b32 s2, s2, s3
.LBB391_2:
	s_delay_alu instid0(SALU_CYCLE_1)
	s_and_not1_b32 vcc_lo, exec_lo, s2
	s_cbranch_vccnz .LBB391_33
; %bb.3:
	s_load_b32 s23, s[0:1], 0x60
	s_bfe_u32 s2, ttmp6, 0x40014
	s_lshr_b32 s3, ttmp7, 16
	s_add_co_i32 s2, s2, 1
	s_bfe_u32 s12, ttmp6, 0x40008
	s_mul_i32 s5, s3, s2
	s_getreg_b32 s2, hwreg(HW_REG_IB_STS2, 6, 4)
	s_add_co_i32 s12, s12, s5
	s_cmp_eq_u32 s2, 0
	s_mov_b32 s25, 0
	s_cselect_b32 s24, s3, s12
	s_wait_kmcnt 0x0
	s_cmp_ge_u32 s24, s23
	s_cbranch_scc1 .LBB391_33
; %bb.4:
	s_clause 0x2
	s_load_b96 s[16:18], s[0:1], 0x10
	s_load_b32 s26, s[0:1], 0x30
	s_load_b96 s[20:22], s[0:1], 0x48
	v_and_b32_e32 v2, 0x3ff, v0
	v_bfe_u32 v9, v0, 10, 10
	s_clause 0x2
	s_load_b128 s[12:15], s[0:1], 0x20
	s_load_b64 s[28:29], s[0:1], 0x38
	s_load_b64 s[30:31], s[0:1], 0x58
	s_wait_xcnt 0x0
	s_bfe_u32 s1, ttmp6, 0x4000c
	s_bfe_u32 s3, ttmp6, 0x40010
	s_and_b32 s5, ttmp7, 0xffff
	s_add_co_i32 s1, s1, 1
	s_add_co_i32 s3, s3, 1
	v_lshl_add_u32 v1, v9, 4, v2
	s_and_b32 s0, ttmp6, 15
	s_bfe_u32 s33, ttmp6, 0x40004
	s_mul_i32 s1, ttmp9, s1
	s_mul_i32 s34, s5, s3
	s_add_co_i32 s0, s0, s1
	s_add_co_i32 s33, s33, s34
	v_dual_lshrrev_b32 v23, 5, v1 :: v_dual_bitop2_b32 v3, 31, v1 bitop3:0x40
	v_and_b32_e32 v0, 7, v0
	s_wait_kmcnt 0x0
	s_ashr_i32 s19, s18, 31
	s_ashr_i32 s27, s26, 31
	;; [unrolled: 1-line block ×3, first 2 shown]
	s_cmp_eq_u32 s2, 0
	v_lshrrev_b32_e32 v1, 3, v1
	s_cselect_b32 s0, ttmp9, s0
	s_cselect_b32 s1, s5, s33
	s_lshl_b32 s5, s0, 5
	s_lshl_b32 s1, s1, 5
	s_delay_alu instid0(SALU_CYCLE_1) | instskip(SKIP_1) | instid1(VALU_DEP_2)
	v_dual_add_nc_u32 v14, s1, v1 :: v_dual_bitop2_b32 v4, s5, v3 bitop3:0x54
	v_dual_lshlrev_b32 v6, 3, v3 :: v_dual_lshlrev_b32 v7, 3, v0
	v_dual_mov_b32 v3, 0 :: v_dual_ashrrev_i32 v5, 31, v4
	s_cmp_neq_f32 s10, 0
	s_delay_alu instid0(VALU_DEP_2) | instskip(NEXT) | instid1(VALU_DEP_3)
	v_lshl_or_b32 v25, v23, 8, v6
	v_lshl_or_b32 v6, v1, 6, v7
	s_delay_alu instid0(VALU_DEP_3) | instskip(SKIP_3) | instid1(VALU_DEP_2)
	v_dual_mov_b32 v1, v3 :: v_dual_add_nc_u32 v12, s1, v9
	v_mul_u64_e32 v[16:17], s[18:19], v[4:5]
	s_cselect_b32 s0, -1, 0
	s_cmp_neq_f32 s11, 0
	v_mul_u64_e32 v[18:19], s[26:27], v[0:1]
	v_dual_ashrrev_i32 v15, 31, v14 :: v_dual_add_nc_u32 v20, 16, v12
	s_mov_b32 s2, s22
	s_cselect_b32 s22, -1, 0
	v_dual_lshlrev_b32 v1, 3, v2 :: v_dual_ashrrev_i32 v13, 31, v12
	s_or_b32 s36, s0, s22
	v_cmp_gt_i32_e64 s0, s8, v4
	v_dual_add_nc_u32 v4, s5, v2 :: v_dual_ashrrev_i32 v21, 31, v20
	v_add_nc_u32_e32 v27, 0x800, v6
	v_mul_u64_e32 v[6:7], s[2:3], v[12:13]
	s_cmp_gt_i32 s9, 0
	s_delay_alu instid0(VALU_DEP_3) | instskip(SKIP_3) | instid1(VALU_DEP_2)
	v_dual_add_nc_u32 v8, 16, v4 :: v_dual_ashrrev_i32 v5, 31, v4
	v_mul_u64_e32 v[10:11], s[2:3], v[20:21]
	s_cselect_b32 s37, -1, 0
	s_cmp_neq_f32 s6, 0
	v_cmp_le_i32_e64 s3, v12, v8
	v_cmp_le_i32_e32 vcc_lo, v12, v4
	v_cmp_gt_i32_e64 s2, s8, v4
	s_cselect_b32 s5, -1, 0
	s_xor_b32 s4, s4, -1
	v_lshl_add_u32 v29, v9, 6, 0x800
	s_or_b32 s22, s5, s4
	v_cmp_gt_i32_e64 s4, s8, v8
	v_cmp_le_i32_e64 s5, v20, v8
	v_dual_ashrrev_i32 v9, 31, v8 :: v_dual_lshlrev_b32 v2, 3, v23
	v_cmp_gt_i32_e64 s1, s8, v14
	s_and_b32 s33, s3, s4
	s_and_b32 s35, s5, s4
	s_lshl_b64 s[4:5], s[12:13], 3
	s_and_b32 s8, vcc_lo, s2
	v_lshl_add_u64 v[12:13], v[16:17], 3, s[4:5]
	s_lshl_b64 s[4:5], s[28:29], 3
	v_cmp_le_i32_e32 vcc_lo, v20, v4
	v_lshl_add_u64 v[16:17], v[18:19], 3, s[4:5]
	s_mov_b32 s3, s6
	v_add_nc_u64_e32 v[12:13], v[12:13], v[2:3]
	s_mov_b32 s4, s11
	s_and_b32 s34, vcc_lo, s2
	v_lshl_add_u64 v[14:15], v[14:15], 3, v[16:17]
	s_mov_b32 s2, s6
	s_mov_b32 s6, s7
	s_and_b32 s28, s36, s37
	s_mov_b32 s5, s10
	s_lshl_b64 s[12:13], s[26:27], 6
	s_lshl_b64 s[18:19], s[30:31], 3
	s_branch .LBB391_6
.LBB391_5:                              ;   in Loop: Header=BB391_6 Depth=1
	s_wait_xcnt 0x0
	s_or_b32 exec_lo, exec_lo, s26
	s_add_co_i32 s24, s24, 0x10000
	s_delay_alu instid0(SALU_CYCLE_1)
	s_cmp_lt_u32 s24, s23
	s_cbranch_scc0 .LBB391_33
.LBB391_6:                              ; =>This Loop Header: Depth=1
                                        ;     Child Loop BB391_9 Depth 2
	v_dual_mov_b32 v2, s24 :: v_dual_mov_b32 v32, 0
	v_dual_mov_b32 v34, 0 :: v_dual_mov_b32 v28, 0
	;; [unrolled: 1-line block ×3, first 2 shown]
	global_load_b64 v[16:17], v2, s[20:21] scale_offset
	s_wait_xcnt 0x0
	v_dual_mov_b32 v26, 0 :: v_dual_mov_b32 v2, 0
	v_mov_b32_e32 v22, 0
	s_and_not1_b32 vcc_lo, exec_lo, s28
	s_cbranch_vccnz .LBB391_13
; %bb.7:                                ;   in Loop: Header=BB391_6 Depth=1
	s_lshl_b64 s[26:27], s[24:25], 3
	v_dual_mov_b32 v22, 0 :: v_dual_mov_b32 v2, 0
	s_add_nc_u64 s[30:31], s[16:17], s[26:27]
	s_add_nc_u64 s[26:27], s[14:15], s[26:27]
	s_clause 0x1
	global_load_b64 v[18:19], v3, s[30:31]
	global_load_b64 v[20:21], v3, s[26:27]
	v_dual_mov_b32 v26, 0 :: v_dual_mov_b32 v24, 0
	v_dual_mov_b32 v30, 0 :: v_dual_mov_b32 v28, 0
	;; [unrolled: 1-line block ×3, first 2 shown]
	s_wait_xcnt 0x0
	s_mov_b32 s26, 0
	s_wait_loadcnt 0x1
	v_add_nc_u64_e32 v[18:19], v[18:19], v[12:13]
	s_wait_loadcnt 0x0
	v_add_nc_u64_e32 v[20:21], v[20:21], v[14:15]
	s_branch .LBB391_9
.LBB391_8:                              ;   in Loop: Header=BB391_9 Depth=2
	s_wait_xcnt 0x0
	s_or_b32 exec_lo, exec_lo, s27
	s_wait_loadcnt_dscnt 0x0
	ds_store_b64 v27, v[38:39]
	s_wait_dscnt 0x0
	s_barrier_signal -1
	s_barrier_wait -1
	ds_load_b128 v[36:39], v29
	ds_load_2addr_b64 v[40:43], v1 offset1:16
	ds_load_b128 v[44:47], v29 offset:1024
	ds_load_b128 v[48:51], v29 offset:16
	ds_load_2addr_b64 v[52:55], v1 offset0:32 offset1:48
	ds_load_b128 v[56:59], v29 offset:32
	ds_load_b128 v[60:63], v29 offset:48
	;; [unrolled: 1-line block ×3, first 2 shown]
	v_add_nc_u64_e32 v[18:19], 64, v[18:19]
	v_add_nc_u64_e32 v[20:21], s[12:13], v[20:21]
	s_add_co_i32 s26, s26, 8
	s_delay_alu instid0(SALU_CYCLE_1)
	s_cmp_lt_i32 s26, s9
	s_wait_dscnt 0x6
	v_dual_mul_f32 v31, v37, v41 :: v_dual_mul_f32 v33, v36, v41
	v_dual_mul_f32 v35, v37, v43 :: v_dual_mul_f32 v68, v36, v43
	s_wait_dscnt 0x5
	v_dual_mul_f32 v69, v45, v41 :: v_dual_mul_f32 v41, v44, v41
	v_dual_mul_f32 v70, v45, v43 :: v_dual_mul_f32 v43, v44, v43
	v_dual_fma_f32 v31, v36, v40, -v31 :: v_dual_fmac_f32 v33, v37, v40
	v_dual_fma_f32 v35, v36, v42, -v35 :: v_dual_fmac_f32 v68, v37, v42
	s_delay_alu instid0(VALU_DEP_3) | instskip(NEXT) | instid1(VALU_DEP_3)
	v_dual_fma_f32 v36, v44, v40, -v69 :: v_dual_fma_f32 v37, v44, v42, -v70
	v_dual_fmac_f32 v41, v45, v40 :: v_dual_add_f32 v40, v32, v31
	s_delay_alu instid0(VALU_DEP_3) | instskip(NEXT) | instid1(VALU_DEP_4)
	v_dual_add_f32 v34, v34, v33 :: v_dual_add_f32 v28, v28, v35
	v_add_f32_e32 v35, v30, v68
	s_delay_alu instid0(VALU_DEP_3)
	v_dual_add_f32 v24, v24, v36 :: v_dual_add_f32 v26, v26, v41
	s_wait_dscnt 0x3
	v_mul_f32_e32 v36, v39, v53
	ds_load_2addr_b64 v[30:33], v1 offset0:64 offset1:80
	v_dual_fmac_f32 v43, v45, v42 :: v_dual_add_f32 v2, v2, v37
	v_dual_mul_f32 v37, v38, v53 :: v_dual_fma_f32 v36, v38, v52, -v36
	v_mul_f32_e32 v41, v39, v55
	s_delay_alu instid0(VALU_DEP_2) | instskip(NEXT) | instid1(VALU_DEP_3)
	v_dual_add_f32 v22, v22, v43 :: v_dual_fmac_f32 v37, v39, v52
	v_dual_mul_f32 v42, v38, v55 :: v_dual_add_f32 v40, v40, v36
	s_delay_alu instid0(VALU_DEP_3) | instskip(NEXT) | instid1(VALU_DEP_2)
	v_dual_fma_f32 v36, v38, v54, -v41 :: v_dual_mul_f32 v38, v47, v53
	v_dual_add_f32 v41, v34, v37 :: v_dual_fmac_f32 v42, v39, v54
	s_delay_alu instid0(VALU_DEP_2) | instskip(NEXT) | instid1(VALU_DEP_3)
	v_dual_mul_f32 v34, v46, v53 :: v_dual_add_f32 v28, v28, v36
	v_dual_mul_f32 v37, v47, v55 :: v_dual_fma_f32 v36, v46, v52, -v38
	s_delay_alu instid0(VALU_DEP_3) | instskip(NEXT) | instid1(VALU_DEP_3)
	v_add_f32_e32 v38, v35, v42
	v_dual_fmac_f32 v34, v47, v52 :: v_dual_mul_f32 v39, v46, v55
	s_delay_alu instid0(VALU_DEP_3) | instskip(SKIP_1) | instid1(VALU_DEP_2)
	v_dual_fma_f32 v35, v46, v54, -v37 :: v_dual_add_f32 v24, v24, v36
	s_wait_dscnt 0x0
	v_dual_mul_f32 v36, v49, v31 :: v_dual_add_f32 v26, v26, v34
	s_delay_alu instid0(VALU_DEP_3) | instskip(NEXT) | instid1(VALU_DEP_2)
	v_dual_fmac_f32 v39, v47, v54 :: v_dual_mul_f32 v42, v48, v31
	v_dual_add_f32 v2, v2, v35 :: v_dual_fma_f32 v43, v48, v30, -v36
	v_mul_f32_e32 v44, v49, v33
	ds_load_2addr_b64 v[34:37], v1 offset0:96 offset1:112
	v_dual_fmac_f32 v42, v49, v30 :: v_dual_add_f32 v22, v22, v39
	v_add_f32_e32 v39, v40, v43
	v_dual_fma_f32 v43, v48, v32, -v44 :: v_dual_mul_f32 v40, v48, v33
	s_delay_alu instid0(VALU_DEP_3) | instskip(SKIP_1) | instid1(VALU_DEP_3)
	v_add_f32_e32 v41, v41, v42
	v_dual_mul_f32 v42, v65, v31 :: v_dual_mul_f32 v31, v64, v31
	v_dual_add_f32 v28, v28, v43 :: v_dual_mul_f32 v43, v65, v33
	s_delay_alu instid0(VALU_DEP_2) | instskip(NEXT) | instid1(VALU_DEP_3)
	v_dual_fmac_f32 v40, v49, v32 :: v_dual_fma_f32 v42, v64, v30, -v42
	v_dual_fmac_f32 v31, v65, v30 :: v_dual_mul_f32 v44, v64, v33
	s_delay_alu instid0(VALU_DEP_3) | instskip(NEXT) | instid1(VALU_DEP_3)
	v_fma_f32 v30, v64, v32, -v43
	v_dual_add_f32 v45, v38, v40 :: v_dual_add_f32 v24, v24, v42
	s_delay_alu instid0(VALU_DEP_3) | instskip(SKIP_1) | instid1(VALU_DEP_3)
	v_dual_add_f32 v26, v26, v31 :: v_dual_fmac_f32 v44, v65, v32
	s_wait_dscnt 0x0
	v_dual_mul_f32 v38, v51, v35 :: v_dual_add_f32 v2, v2, v30
	ds_load_2addr_b64 v[30:33], v1 offset0:128 offset1:144
	v_dual_mul_f32 v40, v50, v35 :: v_dual_mul_f32 v42, v51, v37
	v_dual_fma_f32 v38, v50, v34, -v38 :: v_dual_mul_f32 v43, v50, v37
	s_delay_alu instid0(VALU_DEP_2) | instskip(NEXT) | instid1(VALU_DEP_2)
	v_dual_fmac_f32 v40, v51, v34 :: v_dual_add_f32 v22, v22, v44
	v_dual_add_f32 v44, v39, v38 :: v_dual_fma_f32 v42, v50, v36, -v42
	s_delay_alu instid0(VALU_DEP_2) | instskip(NEXT) | instid1(VALU_DEP_4)
	v_dual_mul_f32 v38, v67, v35 :: v_dual_add_f32 v46, v41, v40
	v_dual_fmac_f32 v43, v51, v36 :: v_dual_mul_f32 v35, v66, v35
	s_delay_alu instid0(VALU_DEP_3) | instskip(NEXT) | instid1(VALU_DEP_3)
	v_add_f32_e32 v28, v28, v42
	v_dual_fma_f32 v42, v66, v34, -v38 :: v_dual_mul_f32 v47, v67, v37
	s_delay_alu instid0(VALU_DEP_3)
	v_add_f32_e32 v48, v45, v43
	ds_load_b128 v[38:41], v29 offset:1056
	v_dual_fmac_f32 v35, v67, v34 :: v_dual_mul_f32 v43, v66, v37
	v_dual_fma_f32 v34, v66, v36, -v47 :: v_dual_add_f32 v24, v24, v42
	s_wait_dscnt 0x1
	v_dual_mul_f32 v37, v57, v31 :: v_dual_mul_f32 v47, v56, v31
	s_delay_alu instid0(VALU_DEP_3) | instskip(NEXT) | instid1(VALU_DEP_3)
	v_dual_fmac_f32 v43, v67, v36 :: v_dual_add_f32 v26, v26, v35
	v_add_f32_e32 v2, v2, v34
	s_delay_alu instid0(VALU_DEP_3) | instskip(SKIP_4) | instid1(VALU_DEP_3)
	v_fma_f32 v42, v56, v30, -v37
	ds_load_2addr_b64 v[34:37], v1 offset0:160 offset1:176
	v_dual_mul_f32 v45, v57, v33 :: v_dual_add_f32 v22, v22, v43
	v_dual_fmac_f32 v47, v57, v30 :: v_dual_mul_f32 v50, v56, v33
	v_add_f32_e32 v49, v44, v42
	v_fma_f32 v51, v56, v32, -v45
	ds_load_b128 v[42:45], v29 offset:1072
	v_add_f32_e32 v46, v46, v47
	s_wait_dscnt 0x2
	v_dual_mul_f32 v52, v39, v31 :: v_dual_fmac_f32 v50, v57, v32
	v_mul_f32_e32 v31, v38, v31
	v_dual_add_f32 v28, v28, v51 :: v_dual_mul_f32 v51, v39, v33
	s_delay_alu instid0(VALU_DEP_3) | instskip(NEXT) | instid1(VALU_DEP_4)
	v_fma_f32 v47, v38, v30, -v52
	v_add_f32_e32 v48, v48, v50
	s_delay_alu instid0(VALU_DEP_4) | instskip(NEXT) | instid1(VALU_DEP_3)
	v_dual_fmac_f32 v31, v39, v30 :: v_dual_mul_f32 v50, v38, v33
	v_dual_fma_f32 v30, v38, v32, -v51 :: v_dual_add_f32 v24, v24, v47
	s_wait_dscnt 0x1
	v_dual_mul_f32 v33, v59, v35 :: v_dual_mul_f32 v38, v58, v35
	s_delay_alu instid0(VALU_DEP_3) | instskip(NEXT) | instid1(VALU_DEP_3)
	v_dual_add_f32 v26, v26, v31 :: v_dual_fmac_f32 v50, v39, v32
	v_dual_add_f32 v2, v2, v30 :: v_dual_mul_f32 v47, v59, v37
	s_delay_alu instid0(VALU_DEP_3)
	v_dual_fma_f32 v39, v58, v34, -v33 :: v_dual_fmac_f32 v38, v59, v34
	ds_load_2addr_b64 v[30:33], v1 offset0:192 offset1:208
	v_add_f32_e32 v22, v22, v50
	v_dual_fma_f32 v47, v58, v36, -v47 :: v_dual_add_f32 v49, v49, v39
	v_mul_f32_e32 v39, v58, v37
	v_dual_add_f32 v46, v46, v38 :: v_dual_mul_f32 v38, v41, v35
	v_mul_f32_e32 v35, v40, v35
	s_delay_alu instid0(VALU_DEP_4) | instskip(NEXT) | instid1(VALU_DEP_3)
	v_dual_add_f32 v28, v28, v47 :: v_dual_mul_f32 v47, v41, v37
	v_dual_fmac_f32 v39, v59, v36 :: v_dual_fma_f32 v38, v40, v34, -v38
	s_delay_alu instid0(VALU_DEP_1) | instskip(NEXT) | instid1(VALU_DEP_3)
	v_dual_fmac_f32 v35, v41, v34 :: v_dual_add_f32 v34, v48, v39
	v_dual_mul_f32 v48, v40, v37 :: v_dual_fma_f32 v37, v40, v36, -v47
	s_delay_alu instid0(VALU_DEP_2) | instskip(SKIP_2) | instid1(VALU_DEP_3)
	v_dual_add_f32 v24, v24, v38 :: v_dual_add_f32 v26, v26, v35
	s_wait_dscnt 0x0
	v_mul_f32_e32 v35, v61, v31
	v_dual_fmac_f32 v48, v41, v36 :: v_dual_add_f32 v2, v2, v37
	ds_load_2addr_b64 v[36:39], v1 offset0:224 offset1:240
	v_dual_mul_f32 v40, v60, v31 :: v_dual_fma_f32 v35, v60, v30, -v35
	v_dual_add_f32 v22, v22, v48 :: v_dual_mul_f32 v41, v61, v33
	s_delay_alu instid0(VALU_DEP_2) | instskip(NEXT) | instid1(VALU_DEP_3)
	v_dual_mul_f32 v47, v60, v33 :: v_dual_fmac_f32 v40, v61, v30
	v_add_f32_e32 v35, v49, v35
	s_delay_alu instid0(VALU_DEP_3) | instskip(NEXT) | instid1(VALU_DEP_3)
	v_dual_mul_f32 v48, v43, v31 :: v_dual_fma_f32 v41, v60, v32, -v41
	v_dual_fmac_f32 v47, v61, v32 :: v_dual_mul_f32 v31, v42, v31
	s_delay_alu instid0(VALU_DEP_4) | instskip(NEXT) | instid1(VALU_DEP_3)
	v_add_f32_e32 v40, v46, v40
	v_dual_fma_f32 v46, v42, v30, -v48 :: v_dual_add_f32 v28, v28, v41
	s_delay_alu instid0(VALU_DEP_3) | instskip(NEXT) | instid1(VALU_DEP_4)
	v_dual_mul_f32 v41, v43, v33 :: v_dual_add_f32 v47, v34, v47
	v_dual_fmac_f32 v31, v43, v30 :: v_dual_mul_f32 v30, v42, v33
	s_delay_alu instid0(VALU_DEP_2) | instskip(SKIP_2) | instid1(VALU_DEP_3)
	v_dual_add_f32 v24, v24, v46 :: v_dual_fma_f32 v33, v42, v32, -v41
	s_wait_dscnt 0x0
	v_dual_mul_f32 v34, v63, v37 :: v_dual_mul_f32 v41, v62, v37
	v_dual_add_f32 v26, v26, v31 :: v_dual_fmac_f32 v30, v43, v32
	s_delay_alu instid0(VALU_DEP_3) | instskip(NEXT) | instid1(VALU_DEP_3)
	v_add_f32_e32 v2, v2, v33
	v_dual_fma_f32 v31, v62, v36, -v34 :: v_dual_mul_f32 v33, v63, v39
	s_delay_alu instid0(VALU_DEP_4) | instskip(NEXT) | instid1(VALU_DEP_2)
	v_dual_fmac_f32 v41, v63, v36 :: v_dual_mul_f32 v42, v62, v39
	v_dual_add_f32 v22, v22, v30 :: v_dual_add_f32 v32, v35, v31
	v_mul_f32_e32 v31, v45, v37
	s_delay_alu instid0(VALU_DEP_3) | instskip(NEXT) | instid1(VALU_DEP_4)
	v_dual_add_f32 v34, v40, v41 :: v_dual_fma_f32 v30, v62, v38, -v33
	v_dual_fmac_f32 v42, v63, v38 :: v_dual_mul_f32 v33, v44, v37
	v_dual_mul_f32 v35, v45, v39 :: v_dual_mul_f32 v37, v44, v39
	s_delay_alu instid0(VALU_DEP_3) | instskip(NEXT) | instid1(VALU_DEP_3)
	v_add_f32_e32 v28, v28, v30
	v_dual_fma_f32 v31, v44, v36, -v31 :: v_dual_fmac_f32 v33, v45, v36
	s_delay_alu instid0(VALU_DEP_3) | instskip(NEXT) | instid1(VALU_DEP_2)
	v_dual_fma_f32 v35, v44, v38, -v35 :: v_dual_fmac_f32 v37, v45, v38
	v_dual_add_f32 v30, v47, v42 :: v_dual_add_f32 v24, v24, v31
	s_delay_alu instid0(VALU_DEP_3) | instskip(NEXT) | instid1(VALU_DEP_3)
	v_add_f32_e32 v26, v26, v33
	v_add_f32_e32 v2, v2, v35
	s_delay_alu instid0(VALU_DEP_4)
	v_add_f32_e32 v22, v22, v37
	s_barrier_signal -1
	s_barrier_wait -1
	s_cbranch_scc0 .LBB391_13
.LBB391_9:                              ;   Parent Loop BB391_6 Depth=1
                                        ; =>  This Inner Loop Header: Depth=2
	v_dual_mov_b32 v36, 0 :: v_dual_add_nc_u32 v31, s26, v23
	v_mov_b32_e32 v37, 0
	s_delay_alu instid0(VALU_DEP_2) | instskip(SKIP_1) | instid1(SALU_CYCLE_1)
	v_cmp_gt_i32_e32 vcc_lo, s9, v31
	s_and_b32 s29, s0, vcc_lo
	s_and_saveexec_b32 s27, s29
	s_cbranch_execz .LBB391_11
; %bb.10:                               ;   in Loop: Header=BB391_9 Depth=2
	flat_load_b64 v[36:37], v[18:19]
.LBB391_11:                             ;   in Loop: Header=BB391_9 Depth=2
	s_wait_xcnt 0x0
	s_or_b32 exec_lo, exec_lo, s27
	v_dual_mov_b32 v38, 0 :: v_dual_add_nc_u32 v31, s26, v0
	v_mov_b32_e32 v39, 0
	s_wait_loadcnt_dscnt 0x0
	ds_store_b64 v25, v[36:37]
	v_cmp_gt_i32_e32 vcc_lo, s9, v31
	s_and_b32 s29, vcc_lo, s1
	s_delay_alu instid0(SALU_CYCLE_1)
	s_and_saveexec_b32 s27, s29
	s_cbranch_execz .LBB391_8
; %bb.12:                               ;   in Loop: Header=BB391_9 Depth=2
	flat_load_b64 v[38:39], v[20:21]
	s_branch .LBB391_8
.LBB391_13:                             ;   in Loop: Header=BB391_6 Depth=1
	s_wait_loadcnt 0x0
	v_add_nc_u64_e32 v[16:17], s[18:19], v[16:17]
	s_delay_alu instid0(VALU_DEP_1)
	v_lshl_add_u64 v[18:19], v[6:7], 3, v[16:17]
	s_and_saveexec_b32 s26, s8
	s_cbranch_execz .LBB391_18
; %bb.14:                               ;   in Loop: Header=BB391_6 Depth=1
	v_mov_b64_e32 v[20:21], s[4:5]
	v_mov_b64_e32 v[36:37], s[10:11]
	s_and_b32 vcc_lo, exec_lo, s22
	s_mov_b32 s27, -1
	s_delay_alu instid0(VALU_DEP_2) | instskip(NEXT) | instid1(VALU_DEP_1)
	v_pk_mul_f32 v[20:21], v[34:35], v[20:21] op_sel_hi:[0,1]
	v_pk_fma_f32 v[34:35], v[32:33], v[36:37], v[20:21] op_sel_hi:[0,1,1]
	v_pk_fma_f32 v[20:21], v[32:33], v[36:37], v[20:21] neg_lo:[0,0,1] neg_hi:[0,0,1]
	v_lshl_add_u64 v[32:33], v[4:5], 3, v[18:19]
	s_delay_alu instid0(VALU_DEP_3)
	v_mov_b32_e32 v21, v35
	s_cbranch_vccz .LBB391_16
; %bb.15:                               ;   in Loop: Header=BB391_6 Depth=1
	flat_load_b64 v[34:35], v[32:33]
	v_mov_b64_e32 v[36:37], s[6:7]
	v_mov_b64_e32 v[38:39], s[2:3]
	s_mov_b32 s27, 0
	s_wait_loadcnt_dscnt 0x0
	s_delay_alu instid0(VALU_DEP_2) | instskip(NEXT) | instid1(VALU_DEP_1)
	v_pk_mul_f32 v[36:37], v[34:35], v[36:37]
	v_pk_fma_f32 v[40:41], v[34:35], v[38:39], v[36:37] op_sel:[0,0,1] op_sel_hi:[1,1,0]
	v_pk_fma_f32 v[34:35], v[34:35], v[38:39], v[36:37] op_sel:[0,0,1] op_sel_hi:[1,1,0] neg_lo:[0,0,1] neg_hi:[0,0,1]
	s_delay_alu instid0(VALU_DEP_2) | instskip(NEXT) | instid1(VALU_DEP_1)
	v_mov_b32_e32 v35, v41
	v_pk_add_f32 v[34:35], v[20:21], v[34:35]
	flat_store_b64 v[32:33], v[34:35]
.LBB391_16:                             ;   in Loop: Header=BB391_6 Depth=1
	s_and_not1_b32 vcc_lo, exec_lo, s27
	s_cbranch_vccnz .LBB391_18
; %bb.17:                               ;   in Loop: Header=BB391_6 Depth=1
	flat_store_b64 v[32:33], v[20:21]
.LBB391_18:                             ;   in Loop: Header=BB391_6 Depth=1
	s_wait_xcnt 0x0
	s_or_b32 exec_lo, exec_lo, s26
	s_and_saveexec_b32 s26, s33
	s_cbranch_execz .LBB391_23
; %bb.19:                               ;   in Loop: Header=BB391_6 Depth=1
	v_mov_b64_e32 v[20:21], s[4:5]
	v_mov_b64_e32 v[32:33], s[10:11]
	v_lshl_add_u64 v[18:19], v[8:9], 3, v[18:19]
	s_and_not1_b32 vcc_lo, exec_lo, s22
	s_mov_b32 s27, -1
	s_delay_alu instid0(VALU_DEP_3) | instskip(NEXT) | instid1(VALU_DEP_1)
	v_pk_mul_f32 v[20:21], v[30:31], v[20:21] op_sel_hi:[0,1]
	v_pk_fma_f32 v[30:31], v[28:29], v[32:33], v[20:21] op_sel_hi:[0,1,1]
	v_pk_fma_f32 v[20:21], v[28:29], v[32:33], v[20:21] neg_lo:[0,0,1] neg_hi:[0,0,1]
	s_delay_alu instid0(VALU_DEP_2)
	v_mov_b32_e32 v21, v31
	s_cbranch_vccnz .LBB391_21
; %bb.20:                               ;   in Loop: Header=BB391_6 Depth=1
	flat_load_b64 v[30:31], v[18:19]
	v_mov_b64_e32 v[32:33], s[6:7]
	v_mov_b64_e32 v[34:35], s[2:3]
	s_mov_b32 s27, 0
	s_wait_loadcnt_dscnt 0x0
	s_delay_alu instid0(VALU_DEP_2) | instskip(NEXT) | instid1(VALU_DEP_1)
	v_pk_mul_f32 v[32:33], v[30:31], v[32:33]
	v_pk_fma_f32 v[36:37], v[30:31], v[34:35], v[32:33] op_sel:[0,0,1] op_sel_hi:[1,1,0]
	v_pk_fma_f32 v[30:31], v[30:31], v[34:35], v[32:33] op_sel:[0,0,1] op_sel_hi:[1,1,0] neg_lo:[0,0,1] neg_hi:[0,0,1]
	s_delay_alu instid0(VALU_DEP_2) | instskip(NEXT) | instid1(VALU_DEP_1)
	v_mov_b32_e32 v31, v37
	v_pk_add_f32 v[30:31], v[20:21], v[30:31]
	flat_store_b64 v[18:19], v[30:31]
.LBB391_21:                             ;   in Loop: Header=BB391_6 Depth=1
	s_and_not1_b32 vcc_lo, exec_lo, s27
	s_cbranch_vccnz .LBB391_23
; %bb.22:                               ;   in Loop: Header=BB391_6 Depth=1
	flat_store_b64 v[18:19], v[20:21]
.LBB391_23:                             ;   in Loop: Header=BB391_6 Depth=1
	s_wait_xcnt 0x0
	s_or_b32 exec_lo, exec_lo, s26
	v_lshl_add_u64 v[16:17], v[10:11], 3, v[16:17]
	s_and_saveexec_b32 s26, s34
	s_cbranch_execz .LBB391_28
; %bb.24:                               ;   in Loop: Header=BB391_6 Depth=1
	v_mov_b64_e32 v[18:19], s[4:5]
	v_mov_b64_e32 v[20:21], s[10:11]
	s_and_not1_b32 vcc_lo, exec_lo, s22
	s_mov_b32 s27, -1
	s_delay_alu instid0(VALU_DEP_2) | instskip(NEXT) | instid1(VALU_DEP_1)
	v_pk_mul_f32 v[18:19], v[26:27], v[18:19] op_sel_hi:[0,1]
	v_pk_fma_f32 v[30:31], v[24:25], v[20:21], v[18:19] op_sel_hi:[0,1,1]
	v_pk_fma_f32 v[18:19], v[24:25], v[20:21], v[18:19] neg_lo:[0,0,1] neg_hi:[0,0,1]
	v_lshl_add_u64 v[20:21], v[4:5], 3, v[16:17]
	s_delay_alu instid0(VALU_DEP_3)
	v_mov_b32_e32 v19, v31
	s_cbranch_vccnz .LBB391_26
; %bb.25:                               ;   in Loop: Header=BB391_6 Depth=1
	flat_load_b64 v[30:31], v[20:21]
	v_mov_b64_e32 v[32:33], s[6:7]
	v_mov_b64_e32 v[34:35], s[2:3]
	s_mov_b32 s27, 0
	s_wait_loadcnt_dscnt 0x0
	s_delay_alu instid0(VALU_DEP_2) | instskip(NEXT) | instid1(VALU_DEP_1)
	v_pk_mul_f32 v[32:33], v[30:31], v[32:33]
	v_pk_fma_f32 v[36:37], v[30:31], v[34:35], v[32:33] op_sel:[0,0,1] op_sel_hi:[1,1,0]
	v_pk_fma_f32 v[30:31], v[30:31], v[34:35], v[32:33] op_sel:[0,0,1] op_sel_hi:[1,1,0] neg_lo:[0,0,1] neg_hi:[0,0,1]
	s_delay_alu instid0(VALU_DEP_2) | instskip(NEXT) | instid1(VALU_DEP_1)
	v_mov_b32_e32 v31, v37
	v_pk_add_f32 v[30:31], v[18:19], v[30:31]
	flat_store_b64 v[20:21], v[30:31]
.LBB391_26:                             ;   in Loop: Header=BB391_6 Depth=1
	s_and_not1_b32 vcc_lo, exec_lo, s27
	s_cbranch_vccnz .LBB391_28
; %bb.27:                               ;   in Loop: Header=BB391_6 Depth=1
	flat_store_b64 v[20:21], v[18:19]
.LBB391_28:                             ;   in Loop: Header=BB391_6 Depth=1
	s_wait_xcnt 0x0
	s_or_b32 exec_lo, exec_lo, s26
	s_and_saveexec_b32 s26, s35
	s_cbranch_execz .LBB391_5
; %bb.29:                               ;   in Loop: Header=BB391_6 Depth=1
	v_mov_b64_e32 v[18:19], s[4:5]
	v_mov_b64_e32 v[20:21], s[10:11]
	v_lshl_add_u64 v[16:17], v[8:9], 3, v[16:17]
	s_and_not1_b32 vcc_lo, exec_lo, s22
	s_mov_b32 s27, -1
	s_delay_alu instid0(VALU_DEP_3) | instskip(NEXT) | instid1(VALU_DEP_1)
	v_pk_mul_f32 v[18:19], v[22:23], v[18:19] op_sel_hi:[0,1]
	v_pk_fma_f32 v[30:31], v[2:3], v[20:21], v[18:19] op_sel_hi:[0,1,1]
	v_pk_fma_f32 v[18:19], v[2:3], v[20:21], v[18:19] neg_lo:[0,0,1] neg_hi:[0,0,1]
	s_delay_alu instid0(VALU_DEP_2)
	v_mov_b32_e32 v19, v31
	s_cbranch_vccnz .LBB391_31
; %bb.30:                               ;   in Loop: Header=BB391_6 Depth=1
	flat_load_b64 v[20:21], v[16:17]
	v_mov_b64_e32 v[30:31], s[6:7]
	v_mov_b64_e32 v[32:33], s[2:3]
	s_mov_b32 s27, 0
	s_wait_loadcnt_dscnt 0x0
	s_delay_alu instid0(VALU_DEP_2) | instskip(NEXT) | instid1(VALU_DEP_1)
	v_pk_mul_f32 v[30:31], v[20:21], v[30:31]
	v_pk_fma_f32 v[34:35], v[20:21], v[32:33], v[30:31] op_sel:[0,0,1] op_sel_hi:[1,1,0]
	v_pk_fma_f32 v[20:21], v[20:21], v[32:33], v[30:31] op_sel:[0,0,1] op_sel_hi:[1,1,0] neg_lo:[0,0,1] neg_hi:[0,0,1]
	s_delay_alu instid0(VALU_DEP_2) | instskip(NEXT) | instid1(VALU_DEP_1)
	v_mov_b32_e32 v21, v35
	v_pk_add_f32 v[20:21], v[18:19], v[20:21]
	flat_store_b64 v[16:17], v[20:21]
.LBB391_31:                             ;   in Loop: Header=BB391_6 Depth=1
	s_and_not1_b32 vcc_lo, exec_lo, s27
	s_cbranch_vccnz .LBB391_5
; %bb.32:                               ;   in Loop: Header=BB391_6 Depth=1
	flat_store_b64 v[16:17], v[18:19]
	s_branch .LBB391_5
.LBB391_33:
	s_sendmsg sendmsg(MSG_DEALLOC_VGPRS)
	s_endpgm
	.section	.rodata,"a",@progbits
	.p2align	6, 0x0
	.amdhsa_kernel _ZL29rocblas_internal_gemmt_kernelIiLi16ELi32ELi8ELc84ELc84ELc76ELb0ELb0E19rocblas_complex_numIfES1_PKPKS1_PKPS1_EviT_T9_T10_S9_lSB_S9_lSA_T11_S9_li
		.amdhsa_group_segment_fixed_size 4096
		.amdhsa_private_segment_fixed_size 0
		.amdhsa_kernarg_size 100
		.amdhsa_user_sgpr_count 2
		.amdhsa_user_sgpr_dispatch_ptr 0
		.amdhsa_user_sgpr_queue_ptr 0
		.amdhsa_user_sgpr_kernarg_segment_ptr 1
		.amdhsa_user_sgpr_dispatch_id 0
		.amdhsa_user_sgpr_kernarg_preload_length 0
		.amdhsa_user_sgpr_kernarg_preload_offset 0
		.amdhsa_user_sgpr_private_segment_size 0
		.amdhsa_wavefront_size32 1
		.amdhsa_uses_dynamic_stack 0
		.amdhsa_enable_private_segment 0
		.amdhsa_system_sgpr_workgroup_id_x 1
		.amdhsa_system_sgpr_workgroup_id_y 1
		.amdhsa_system_sgpr_workgroup_id_z 1
		.amdhsa_system_sgpr_workgroup_info 0
		.amdhsa_system_vgpr_workitem_id 1
		.amdhsa_next_free_vgpr 71
		.amdhsa_next_free_sgpr 38
		.amdhsa_named_barrier_count 0
		.amdhsa_reserve_vcc 1
		.amdhsa_float_round_mode_32 0
		.amdhsa_float_round_mode_16_64 0
		.amdhsa_float_denorm_mode_32 3
		.amdhsa_float_denorm_mode_16_64 3
		.amdhsa_fp16_overflow 0
		.amdhsa_memory_ordered 1
		.amdhsa_forward_progress 1
		.amdhsa_inst_pref_size 26
		.amdhsa_round_robin_scheduling 0
		.amdhsa_exception_fp_ieee_invalid_op 0
		.amdhsa_exception_fp_denorm_src 0
		.amdhsa_exception_fp_ieee_div_zero 0
		.amdhsa_exception_fp_ieee_overflow 0
		.amdhsa_exception_fp_ieee_underflow 0
		.amdhsa_exception_fp_ieee_inexact 0
		.amdhsa_exception_int_div_zero 0
	.end_amdhsa_kernel
	.section	.text._ZL29rocblas_internal_gemmt_kernelIiLi16ELi32ELi8ELc84ELc84ELc76ELb0ELb0E19rocblas_complex_numIfES1_PKPKS1_PKPS1_EviT_T9_T10_S9_lSB_S9_lSA_T11_S9_li,"axG",@progbits,_ZL29rocblas_internal_gemmt_kernelIiLi16ELi32ELi8ELc84ELc84ELc76ELb0ELb0E19rocblas_complex_numIfES1_PKPKS1_PKPS1_EviT_T9_T10_S9_lSB_S9_lSA_T11_S9_li,comdat
.Lfunc_end391:
	.size	_ZL29rocblas_internal_gemmt_kernelIiLi16ELi32ELi8ELc84ELc84ELc76ELb0ELb0E19rocblas_complex_numIfES1_PKPKS1_PKPS1_EviT_T9_T10_S9_lSB_S9_lSA_T11_S9_li, .Lfunc_end391-_ZL29rocblas_internal_gemmt_kernelIiLi16ELi32ELi8ELc84ELc84ELc76ELb0ELb0E19rocblas_complex_numIfES1_PKPKS1_PKPS1_EviT_T9_T10_S9_lSB_S9_lSA_T11_S9_li
                                        ; -- End function
	.set _ZL29rocblas_internal_gemmt_kernelIiLi16ELi32ELi8ELc84ELc84ELc76ELb0ELb0E19rocblas_complex_numIfES1_PKPKS1_PKPS1_EviT_T9_T10_S9_lSB_S9_lSA_T11_S9_li.num_vgpr, 71
	.set _ZL29rocblas_internal_gemmt_kernelIiLi16ELi32ELi8ELc84ELc84ELc76ELb0ELb0E19rocblas_complex_numIfES1_PKPKS1_PKPS1_EviT_T9_T10_S9_lSB_S9_lSA_T11_S9_li.num_agpr, 0
	.set _ZL29rocblas_internal_gemmt_kernelIiLi16ELi32ELi8ELc84ELc84ELc76ELb0ELb0E19rocblas_complex_numIfES1_PKPKS1_PKPS1_EviT_T9_T10_S9_lSB_S9_lSA_T11_S9_li.numbered_sgpr, 38
	.set _ZL29rocblas_internal_gemmt_kernelIiLi16ELi32ELi8ELc84ELc84ELc76ELb0ELb0E19rocblas_complex_numIfES1_PKPKS1_PKPS1_EviT_T9_T10_S9_lSB_S9_lSA_T11_S9_li.num_named_barrier, 0
	.set _ZL29rocblas_internal_gemmt_kernelIiLi16ELi32ELi8ELc84ELc84ELc76ELb0ELb0E19rocblas_complex_numIfES1_PKPKS1_PKPS1_EviT_T9_T10_S9_lSB_S9_lSA_T11_S9_li.private_seg_size, 0
	.set _ZL29rocblas_internal_gemmt_kernelIiLi16ELi32ELi8ELc84ELc84ELc76ELb0ELb0E19rocblas_complex_numIfES1_PKPKS1_PKPS1_EviT_T9_T10_S9_lSB_S9_lSA_T11_S9_li.uses_vcc, 1
	.set _ZL29rocblas_internal_gemmt_kernelIiLi16ELi32ELi8ELc84ELc84ELc76ELb0ELb0E19rocblas_complex_numIfES1_PKPKS1_PKPS1_EviT_T9_T10_S9_lSB_S9_lSA_T11_S9_li.uses_flat_scratch, 0
	.set _ZL29rocblas_internal_gemmt_kernelIiLi16ELi32ELi8ELc84ELc84ELc76ELb0ELb0E19rocblas_complex_numIfES1_PKPKS1_PKPS1_EviT_T9_T10_S9_lSB_S9_lSA_T11_S9_li.has_dyn_sized_stack, 0
	.set _ZL29rocblas_internal_gemmt_kernelIiLi16ELi32ELi8ELc84ELc84ELc76ELb0ELb0E19rocblas_complex_numIfES1_PKPKS1_PKPS1_EviT_T9_T10_S9_lSB_S9_lSA_T11_S9_li.has_recursion, 0
	.set _ZL29rocblas_internal_gemmt_kernelIiLi16ELi32ELi8ELc84ELc84ELc76ELb0ELb0E19rocblas_complex_numIfES1_PKPKS1_PKPS1_EviT_T9_T10_S9_lSB_S9_lSA_T11_S9_li.has_indirect_call, 0
	.section	.AMDGPU.csdata,"",@progbits
; Kernel info:
; codeLenInByte = 3240
; TotalNumSgprs: 40
; NumVgprs: 71
; ScratchSize: 0
; MemoryBound: 0
; FloatMode: 240
; IeeeMode: 1
; LDSByteSize: 4096 bytes/workgroup (compile time only)
; SGPRBlocks: 0
; VGPRBlocks: 4
; NumSGPRsForWavesPerEU: 40
; NumVGPRsForWavesPerEU: 71
; NamedBarCnt: 0
; Occupancy: 12
; WaveLimiterHint : 1
; COMPUTE_PGM_RSRC2:SCRATCH_EN: 0
; COMPUTE_PGM_RSRC2:USER_SGPR: 2
; COMPUTE_PGM_RSRC2:TRAP_HANDLER: 0
; COMPUTE_PGM_RSRC2:TGID_X_EN: 1
; COMPUTE_PGM_RSRC2:TGID_Y_EN: 1
; COMPUTE_PGM_RSRC2:TGID_Z_EN: 1
; COMPUTE_PGM_RSRC2:TIDIG_COMP_CNT: 1
	.section	.text._ZL29rocblas_internal_gemmt_kernelIiLi16ELi32ELi8ELc84ELc67ELc76ELb0ELb1E19rocblas_complex_numIfES1_PKPKS1_PKPS1_EviT_T9_T10_S9_lSB_S9_lSA_T11_S9_li,"axG",@progbits,_ZL29rocblas_internal_gemmt_kernelIiLi16ELi32ELi8ELc84ELc67ELc76ELb0ELb1E19rocblas_complex_numIfES1_PKPKS1_PKPS1_EviT_T9_T10_S9_lSB_S9_lSA_T11_S9_li,comdat
	.globl	_ZL29rocblas_internal_gemmt_kernelIiLi16ELi32ELi8ELc84ELc67ELc76ELb0ELb1E19rocblas_complex_numIfES1_PKPKS1_PKPS1_EviT_T9_T10_S9_lSB_S9_lSA_T11_S9_li ; -- Begin function _ZL29rocblas_internal_gemmt_kernelIiLi16ELi32ELi8ELc84ELc67ELc76ELb0ELb1E19rocblas_complex_numIfES1_PKPKS1_PKPS1_EviT_T9_T10_S9_lSB_S9_lSA_T11_S9_li
	.p2align	8
	.type	_ZL29rocblas_internal_gemmt_kernelIiLi16ELi32ELi8ELc84ELc67ELc76ELb0ELb1E19rocblas_complex_numIfES1_PKPKS1_PKPS1_EviT_T9_T10_S9_lSB_S9_lSA_T11_S9_li,@function
_ZL29rocblas_internal_gemmt_kernelIiLi16ELi32ELi8ELc84ELc67ELc76ELb0ELb1E19rocblas_complex_numIfES1_PKPKS1_PKPS1_EviT_T9_T10_S9_lSB_S9_lSA_T11_S9_li: ; @_ZL29rocblas_internal_gemmt_kernelIiLi16ELi32ELi8ELc84ELc67ELc76ELb0ELb1E19rocblas_complex_numIfES1_PKPKS1_PKPS1_EviT_T9_T10_S9_lSB_S9_lSA_T11_S9_li
; %bb.0:
	s_clause 0x1
	s_load_b64 s[6:7], s[0:1], 0x40
	s_load_b128 s[8:11], s[0:1], 0x0
	s_wait_kmcnt 0x0
	s_cmp_neq_f32 s6, 1.0
	s_cselect_b32 s2, -1, 0
	s_and_b32 s3, s7, 0x7fffffff
	s_delay_alu instid0(SALU_CYCLE_1) | instskip(SKIP_3) | instid1(SALU_CYCLE_1)
	s_cmp_eq_u32 s3, 0
	s_cselect_b32 s19, -1, 0
	s_cmp_lg_u32 s3, 0
	s_cselect_b32 s3, -1, 0
	s_or_b32 s2, s2, s3
	s_delay_alu instid0(SALU_CYCLE_1)
	s_and_b32 vcc_lo, exec_lo, s2
	s_cbranch_vccnz .LBB392_2
; %bb.1:
	s_cmp_lg_u32 s9, 0
	s_cselect_b32 s2, -1, 0
	s_cmp_neq_f32 s10, 0
	s_cselect_b32 s3, -1, 0
	s_cmp_neq_f32 s11, 0
	s_cselect_b32 s4, -1, 0
	s_delay_alu instid0(SALU_CYCLE_1) | instskip(NEXT) | instid1(SALU_CYCLE_1)
	s_or_b32 s3, s3, s4
	s_and_b32 s2, s2, s3
.LBB392_2:
	s_delay_alu instid0(SALU_CYCLE_1)
	s_and_not1_b32 vcc_lo, exec_lo, s2
	s_cbranch_vccnz .LBB392_35
; %bb.3:
	s_load_b32 s23, s[0:1], 0x60
	s_bfe_u32 s2, ttmp6, 0x40014
	s_lshr_b32 s3, ttmp7, 16
	s_add_co_i32 s2, s2, 1
	s_bfe_u32 s5, ttmp6, 0x40008
	s_mul_i32 s4, s3, s2
	s_getreg_b32 s2, hwreg(HW_REG_IB_STS2, 6, 4)
	s_add_co_i32 s5, s5, s4
	s_cmp_eq_u32 s2, 0
	s_mov_b32 s25, 0
	s_cselect_b32 s24, s3, s5
	s_wait_kmcnt 0x0
	s_cmp_ge_u32 s24, s23
	s_cbranch_scc1 .LBB392_35
; %bb.4:
	s_clause 0x2
	s_load_b96 s[16:18], s[0:1], 0x10
	s_load_b32 s26, s[0:1], 0x30
	s_load_b96 s[20:22], s[0:1], 0x48
	v_and_b32_e32 v2, 0x3ff, v0
	v_bfe_u32 v9, v0, 10, 10
	s_clause 0x2
	s_load_b128 s[12:15], s[0:1], 0x20
	s_load_b64 s[30:31], s[0:1], 0x38
	s_load_b64 s[28:29], s[0:1], 0x58
	s_wait_xcnt 0x0
	s_bfe_u32 s1, ttmp6, 0x4000c
	s_bfe_u32 s3, ttmp6, 0x40010
	s_and_b32 s4, ttmp7, 0xffff
	s_add_co_i32 s1, s1, 1
	s_add_co_i32 s3, s3, 1
	v_lshl_add_u32 v1, v9, 4, v2
	s_and_b32 s0, ttmp6, 15
	s_bfe_u32 s33, ttmp6, 0x40004
	s_mul_i32 s1, ttmp9, s1
	s_mul_i32 s34, s4, s3
	s_add_co_i32 s0, s0, s1
	s_add_co_i32 s33, s33, s34
	v_dual_lshrrev_b32 v23, 5, v1 :: v_dual_bitop2_b32 v0, 7, v0 bitop3:0x40
	s_wait_kmcnt 0x0
	s_ashr_i32 s3, s18, 31
	s_ashr_i32 s27, s26, 31
	;; [unrolled: 1-line block ×3, first 2 shown]
	s_cmp_eq_u32 s2, 0
	v_dual_lshrrev_b32 v5, 3, v1 :: v_dual_bitop2_b32 v1, 31, v1 bitop3:0x40
	s_cselect_b32 s0, ttmp9, s0
	s_cselect_b32 s1, s4, s33
	s_lshl_b32 s33, s0, 5
	s_delay_alu instid0(VALU_DEP_1) | instid1(SALU_CYCLE_1)
	v_dual_mov_b32 v3, 0 :: v_dual_bitop2_b32 v4, s33, v1 bitop3:0x54
	s_lshl_b32 s1, s1, 5
	s_delay_alu instid0(SALU_CYCLE_1) | instskip(NEXT) | instid1(VALU_DEP_2)
	v_dual_lshlrev_b32 v6, 3, v0 :: v_dual_add_nc_u32 v12, s1, v5
	v_dual_lshlrev_b32 v7, 3, v1 :: v_dual_mov_b32 v1, v3
	s_cmp_neq_f32 s10, 0
	s_delay_alu instid0(VALU_DEP_2) | instskip(SKIP_1) | instid1(VALU_DEP_3)
	v_lshl_or_b32 v6, v5, 6, v6
	v_dual_ashrrev_i32 v5, 31, v4 :: v_dual_add_nc_u32 v16, s1, v9
	v_mul_u64_e32 v[14:15], s[26:27], v[0:1]
	s_mov_b32 s2, s18
	s_cselect_b32 s0, -1, 0
	s_delay_alu instid0(VALU_DEP_2)
	v_mul_u64_e32 v[18:19], s[2:3], v[4:5]
	s_cmp_neq_f32 s11, 0
	v_dual_add_nc_u32 v20, 16, v16 :: v_dual_ashrrev_i32 v17, 31, v16
	s_mov_b32 s4, s22
	s_cselect_b32 s18, -1, 0
	v_lshl_or_b32 v25, v23, 8, v7
	s_or_b32 s18, s0, s18
	v_cmp_gt_i32_e64 s0, s8, v4
	v_dual_add_nc_u32 v4, s33, v2 :: v_dual_ashrrev_i32 v21, 31, v20
	v_add_nc_u32_e32 v1, 0x800, v6
	v_mul_u64_e32 v[6:7], s[4:5], v[16:17]
	s_cmp_gt_i32 s9, 0
	s_delay_alu instid0(VALU_DEP_3) | instskip(SKIP_3) | instid1(VALU_DEP_2)
	v_dual_add_nc_u32 v8, 16, v4 :: v_dual_ashrrev_i32 v5, 31, v4
	v_mul_u64_e32 v[10:11], s[4:5], v[20:21]
	s_cselect_b32 s35, -1, 0
	s_cmp_neq_f32 s6, 0
	v_cmp_gt_i32_e64 s4, s8, v8
	v_cmp_le_i32_e64 s5, v20, v8
	v_dual_ashrrev_i32 v13, 31, v12 :: v_dual_lshlrev_b32 v27, 3, v2
	s_cselect_b32 s3, -1, 0
	s_xor_b32 s19, s19, -1
	s_and_b32 s34, s5, s4
	s_or_b32 s22, s3, s19
	v_cmp_le_i32_e64 s3, v16, v8
	v_cmp_le_i32_e64 s1, v16, v4
	v_cmp_gt_i32_e64 s2, s8, v4
	v_lshl_add_u32 v29, v9, 6, 0x800
	v_dual_ashrrev_i32 v9, 31, v8 :: v_dual_lshlrev_b32 v2, 3, v23
	s_and_b32 s33, s3, s4
	s_lshl_b64 s[4:5], s[30:31], 3
	v_cmp_gt_i32_e32 vcc_lo, s8, v12
	v_lshl_add_u64 v[14:15], v[14:15], 3, s[4:5]
	s_lshl_b64 s[4:5], s[12:13], 3
	s_and_b32 s8, s1, s2
	v_lshl_add_u64 v[16:17], v[18:19], 3, s[4:5]
	v_cmp_le_i32_e64 s1, v20, v4
	v_lshl_add_u64 v[12:13], v[12:13], 3, v[14:15]
	s_mov_b32 s3, s6
	s_mov_b32 s4, s11
	v_add_nc_u64_e32 v[14:15], v[16:17], v[2:3]
	s_and_b32 s1, s1, s2
	v_or_b32_e32 v12, 4, v12
	s_mov_b32 s2, s6
	s_mov_b32 s6, s7
	;; [unrolled: 1-line block ×3, first 2 shown]
	s_and_b32 s30, s18, s35
	s_lshl_b64 s[12:13], s[26:27], 6
	s_xor_b32 s26, vcc_lo, -1
	s_lshl_b64 s[18:19], s[28:29], 3
	s_branch .LBB392_6
.LBB392_5:                              ;   in Loop: Header=BB392_6 Depth=1
	s_wait_xcnt 0x0
	s_or_b32 exec_lo, exec_lo, s27
	s_add_co_i32 s24, s24, 0x10000
	s_delay_alu instid0(SALU_CYCLE_1)
	s_cmp_lt_u32 s24, s23
	s_cbranch_scc0 .LBB392_35
.LBB392_6:                              ; =>This Loop Header: Depth=1
                                        ;     Child Loop BB392_9 Depth 2
	v_dual_mov_b32 v2, s24 :: v_dual_mov_b32 v32, 0
	v_dual_mov_b32 v34, 0 :: v_dual_mov_b32 v28, 0
	;; [unrolled: 1-line block ×3, first 2 shown]
	global_load_b64 v[16:17], v2, s[20:21] scale_offset
	s_wait_xcnt 0x0
	v_dual_mov_b32 v26, 0 :: v_dual_mov_b32 v2, 0
	v_mov_b32_e32 v22, 0
	s_and_not1_b32 vcc_lo, exec_lo, s30
	s_cbranch_vccnz .LBB392_15
; %bb.7:                                ;   in Loop: Header=BB392_6 Depth=1
	s_lshl_b64 s[28:29], s[24:25], 3
	v_dual_mov_b32 v22, 0 :: v_dual_mov_b32 v2, 0
	s_add_nc_u64 s[36:37], s[16:17], s[28:29]
	s_add_nc_u64 s[28:29], s[14:15], s[28:29]
	s_clause 0x1
	global_load_b64 v[18:19], v3, s[36:37]
	global_load_b64 v[20:21], v3, s[28:29]
	v_dual_mov_b32 v26, 0 :: v_dual_mov_b32 v24, 0
	v_dual_mov_b32 v30, 0 :: v_dual_mov_b32 v28, 0
	;; [unrolled: 1-line block ×3, first 2 shown]
	s_mov_b32 s27, 0
	s_wait_loadcnt 0x1
	v_add_nc_u64_e32 v[18:19], v[18:19], v[14:15]
	s_wait_loadcnt 0x0
	v_add_nc_u64_e32 v[20:21], v[20:21], v[12:13]
	s_branch .LBB392_9
.LBB392_8:                              ;   in Loop: Header=BB392_9 Depth=2
	s_wait_xcnt 0x0
	s_or_b32 exec_lo, exec_lo, s28
	ds_store_b32 v1, v31 offset:4
	s_wait_dscnt 0x0
	s_barrier_signal -1
	s_barrier_wait -1
	ds_load_b128 v[36:39], v29
	ds_load_2addr_b64 v[40:43], v27 offset1:16
	ds_load_b128 v[44:47], v29 offset:1024
	ds_load_b128 v[48:51], v29 offset:16
	ds_load_2addr_b64 v[52:55], v27 offset0:32 offset1:48
	ds_load_b128 v[56:59], v29 offset:32
	ds_load_b128 v[60:63], v29 offset:48
	;; [unrolled: 1-line block ×3, first 2 shown]
	v_add_nc_u64_e32 v[18:19], 64, v[18:19]
	v_add_nc_u64_e32 v[20:21], s[12:13], v[20:21]
	s_add_co_i32 s27, s27, 8
	s_delay_alu instid0(SALU_CYCLE_1)
	s_cmp_lt_i32 s27, s9
	s_wait_dscnt 0x6
	v_dual_mul_f32 v31, v37, v41 :: v_dual_mul_f32 v33, v36, v41
	v_dual_mul_f32 v35, v37, v43 :: v_dual_mul_f32 v68, v36, v43
	s_wait_dscnt 0x5
	v_dual_mul_f32 v69, v45, v41 :: v_dual_mul_f32 v41, v44, v41
	v_dual_mul_f32 v70, v45, v43 :: v_dual_mul_f32 v43, v44, v43
	v_dual_fma_f32 v31, v36, v40, -v31 :: v_dual_fmac_f32 v33, v37, v40
	v_dual_fma_f32 v35, v36, v42, -v35 :: v_dual_fmac_f32 v68, v37, v42
	s_delay_alu instid0(VALU_DEP_3) | instskip(NEXT) | instid1(VALU_DEP_3)
	v_dual_fma_f32 v36, v44, v40, -v69 :: v_dual_fma_f32 v37, v44, v42, -v70
	v_dual_fmac_f32 v41, v45, v40 :: v_dual_add_f32 v40, v32, v31
	s_delay_alu instid0(VALU_DEP_3) | instskip(NEXT) | instid1(VALU_DEP_4)
	v_dual_add_f32 v34, v34, v33 :: v_dual_add_f32 v28, v28, v35
	v_add_f32_e32 v35, v30, v68
	s_delay_alu instid0(VALU_DEP_3)
	v_dual_add_f32 v24, v24, v36 :: v_dual_add_f32 v26, v26, v41
	s_wait_dscnt 0x3
	v_mul_f32_e32 v36, v39, v53
	ds_load_2addr_b64 v[30:33], v27 offset0:64 offset1:80
	v_dual_fmac_f32 v43, v45, v42 :: v_dual_add_f32 v2, v2, v37
	v_dual_mul_f32 v37, v38, v53 :: v_dual_fma_f32 v36, v38, v52, -v36
	v_mul_f32_e32 v41, v39, v55
	s_delay_alu instid0(VALU_DEP_2) | instskip(NEXT) | instid1(VALU_DEP_3)
	v_dual_add_f32 v22, v22, v43 :: v_dual_fmac_f32 v37, v39, v52
	v_dual_mul_f32 v42, v38, v55 :: v_dual_add_f32 v40, v40, v36
	s_delay_alu instid0(VALU_DEP_3) | instskip(NEXT) | instid1(VALU_DEP_2)
	v_dual_fma_f32 v36, v38, v54, -v41 :: v_dual_mul_f32 v38, v47, v53
	v_dual_add_f32 v41, v34, v37 :: v_dual_fmac_f32 v42, v39, v54
	s_delay_alu instid0(VALU_DEP_2) | instskip(NEXT) | instid1(VALU_DEP_3)
	v_dual_mul_f32 v34, v46, v53 :: v_dual_add_f32 v28, v28, v36
	v_dual_mul_f32 v37, v47, v55 :: v_dual_fma_f32 v36, v46, v52, -v38
	s_delay_alu instid0(VALU_DEP_3) | instskip(NEXT) | instid1(VALU_DEP_3)
	v_add_f32_e32 v38, v35, v42
	v_dual_fmac_f32 v34, v47, v52 :: v_dual_mul_f32 v39, v46, v55
	s_delay_alu instid0(VALU_DEP_3) | instskip(SKIP_1) | instid1(VALU_DEP_2)
	v_dual_fma_f32 v35, v46, v54, -v37 :: v_dual_add_f32 v24, v24, v36
	s_wait_dscnt 0x0
	v_dual_mul_f32 v36, v49, v31 :: v_dual_add_f32 v26, v26, v34
	s_delay_alu instid0(VALU_DEP_3) | instskip(NEXT) | instid1(VALU_DEP_2)
	v_dual_fmac_f32 v39, v47, v54 :: v_dual_mul_f32 v42, v48, v31
	v_dual_add_f32 v2, v2, v35 :: v_dual_fma_f32 v43, v48, v30, -v36
	v_mul_f32_e32 v44, v49, v33
	ds_load_2addr_b64 v[34:37], v27 offset0:96 offset1:112
	v_dual_fmac_f32 v42, v49, v30 :: v_dual_add_f32 v22, v22, v39
	v_add_f32_e32 v39, v40, v43
	v_dual_fma_f32 v43, v48, v32, -v44 :: v_dual_mul_f32 v40, v48, v33
	s_delay_alu instid0(VALU_DEP_3) | instskip(SKIP_1) | instid1(VALU_DEP_3)
	v_add_f32_e32 v41, v41, v42
	v_dual_mul_f32 v42, v65, v31 :: v_dual_mul_f32 v31, v64, v31
	v_dual_add_f32 v28, v28, v43 :: v_dual_mul_f32 v43, v65, v33
	s_delay_alu instid0(VALU_DEP_2) | instskip(NEXT) | instid1(VALU_DEP_3)
	v_dual_fmac_f32 v40, v49, v32 :: v_dual_fma_f32 v42, v64, v30, -v42
	v_dual_fmac_f32 v31, v65, v30 :: v_dual_mul_f32 v44, v64, v33
	s_delay_alu instid0(VALU_DEP_3) | instskip(NEXT) | instid1(VALU_DEP_3)
	v_fma_f32 v30, v64, v32, -v43
	v_dual_add_f32 v45, v38, v40 :: v_dual_add_f32 v24, v24, v42
	s_delay_alu instid0(VALU_DEP_3) | instskip(SKIP_1) | instid1(VALU_DEP_3)
	v_dual_add_f32 v26, v26, v31 :: v_dual_fmac_f32 v44, v65, v32
	s_wait_dscnt 0x0
	v_dual_mul_f32 v38, v51, v35 :: v_dual_add_f32 v2, v2, v30
	ds_load_2addr_b64 v[30:33], v27 offset0:128 offset1:144
	v_dual_mul_f32 v40, v50, v35 :: v_dual_mul_f32 v42, v51, v37
	v_dual_fma_f32 v38, v50, v34, -v38 :: v_dual_mul_f32 v43, v50, v37
	s_delay_alu instid0(VALU_DEP_2) | instskip(NEXT) | instid1(VALU_DEP_2)
	v_dual_fmac_f32 v40, v51, v34 :: v_dual_add_f32 v22, v22, v44
	v_dual_add_f32 v44, v39, v38 :: v_dual_fma_f32 v42, v50, v36, -v42
	s_delay_alu instid0(VALU_DEP_2) | instskip(NEXT) | instid1(VALU_DEP_4)
	v_dual_mul_f32 v38, v67, v35 :: v_dual_add_f32 v46, v41, v40
	v_dual_fmac_f32 v43, v51, v36 :: v_dual_mul_f32 v35, v66, v35
	s_delay_alu instid0(VALU_DEP_3) | instskip(NEXT) | instid1(VALU_DEP_3)
	v_add_f32_e32 v28, v28, v42
	v_dual_fma_f32 v42, v66, v34, -v38 :: v_dual_mul_f32 v47, v67, v37
	s_delay_alu instid0(VALU_DEP_3)
	v_add_f32_e32 v48, v45, v43
	ds_load_b128 v[38:41], v29 offset:1056
	v_dual_fmac_f32 v35, v67, v34 :: v_dual_mul_f32 v43, v66, v37
	v_dual_fma_f32 v34, v66, v36, -v47 :: v_dual_add_f32 v24, v24, v42
	s_wait_dscnt 0x1
	v_dual_mul_f32 v37, v57, v31 :: v_dual_mul_f32 v47, v56, v31
	s_delay_alu instid0(VALU_DEP_3) | instskip(NEXT) | instid1(VALU_DEP_3)
	v_dual_fmac_f32 v43, v67, v36 :: v_dual_add_f32 v26, v26, v35
	v_add_f32_e32 v2, v2, v34
	s_delay_alu instid0(VALU_DEP_3) | instskip(SKIP_4) | instid1(VALU_DEP_3)
	v_fma_f32 v42, v56, v30, -v37
	ds_load_2addr_b64 v[34:37], v27 offset0:160 offset1:176
	v_dual_mul_f32 v45, v57, v33 :: v_dual_add_f32 v22, v22, v43
	v_dual_fmac_f32 v47, v57, v30 :: v_dual_mul_f32 v50, v56, v33
	v_add_f32_e32 v49, v44, v42
	v_fma_f32 v51, v56, v32, -v45
	ds_load_b128 v[42:45], v29 offset:1072
	v_add_f32_e32 v46, v46, v47
	s_wait_dscnt 0x2
	v_dual_mul_f32 v52, v39, v31 :: v_dual_fmac_f32 v50, v57, v32
	v_mul_f32_e32 v31, v38, v31
	v_dual_add_f32 v28, v28, v51 :: v_dual_mul_f32 v51, v39, v33
	s_delay_alu instid0(VALU_DEP_3) | instskip(NEXT) | instid1(VALU_DEP_4)
	v_fma_f32 v47, v38, v30, -v52
	v_add_f32_e32 v48, v48, v50
	s_delay_alu instid0(VALU_DEP_4) | instskip(NEXT) | instid1(VALU_DEP_3)
	v_dual_fmac_f32 v31, v39, v30 :: v_dual_mul_f32 v50, v38, v33
	v_dual_fma_f32 v30, v38, v32, -v51 :: v_dual_add_f32 v24, v24, v47
	s_wait_dscnt 0x1
	v_dual_mul_f32 v33, v59, v35 :: v_dual_mul_f32 v38, v58, v35
	s_delay_alu instid0(VALU_DEP_3) | instskip(NEXT) | instid1(VALU_DEP_3)
	v_dual_add_f32 v26, v26, v31 :: v_dual_fmac_f32 v50, v39, v32
	v_dual_add_f32 v2, v2, v30 :: v_dual_mul_f32 v47, v59, v37
	s_delay_alu instid0(VALU_DEP_3)
	v_dual_fma_f32 v39, v58, v34, -v33 :: v_dual_fmac_f32 v38, v59, v34
	ds_load_2addr_b64 v[30:33], v27 offset0:192 offset1:208
	v_add_f32_e32 v22, v22, v50
	v_dual_fma_f32 v47, v58, v36, -v47 :: v_dual_add_f32 v49, v49, v39
	v_mul_f32_e32 v39, v58, v37
	v_dual_add_f32 v46, v46, v38 :: v_dual_mul_f32 v38, v41, v35
	v_mul_f32_e32 v35, v40, v35
	s_delay_alu instid0(VALU_DEP_4) | instskip(NEXT) | instid1(VALU_DEP_3)
	v_dual_add_f32 v28, v28, v47 :: v_dual_mul_f32 v47, v41, v37
	v_dual_fmac_f32 v39, v59, v36 :: v_dual_fma_f32 v38, v40, v34, -v38
	s_delay_alu instid0(VALU_DEP_1) | instskip(NEXT) | instid1(VALU_DEP_3)
	v_dual_fmac_f32 v35, v41, v34 :: v_dual_add_f32 v34, v48, v39
	v_dual_mul_f32 v48, v40, v37 :: v_dual_fma_f32 v37, v40, v36, -v47
	s_delay_alu instid0(VALU_DEP_2) | instskip(SKIP_2) | instid1(VALU_DEP_3)
	v_dual_add_f32 v24, v24, v38 :: v_dual_add_f32 v26, v26, v35
	s_wait_dscnt 0x0
	v_mul_f32_e32 v35, v61, v31
	v_dual_fmac_f32 v48, v41, v36 :: v_dual_add_f32 v2, v2, v37
	ds_load_2addr_b64 v[36:39], v27 offset0:224 offset1:240
	v_dual_mul_f32 v40, v60, v31 :: v_dual_fma_f32 v35, v60, v30, -v35
	v_dual_add_f32 v22, v22, v48 :: v_dual_mul_f32 v41, v61, v33
	s_delay_alu instid0(VALU_DEP_2) | instskip(NEXT) | instid1(VALU_DEP_3)
	v_dual_mul_f32 v47, v60, v33 :: v_dual_fmac_f32 v40, v61, v30
	v_add_f32_e32 v35, v49, v35
	s_delay_alu instid0(VALU_DEP_3) | instskip(NEXT) | instid1(VALU_DEP_3)
	v_dual_mul_f32 v48, v43, v31 :: v_dual_fma_f32 v41, v60, v32, -v41
	v_dual_fmac_f32 v47, v61, v32 :: v_dual_mul_f32 v31, v42, v31
	s_delay_alu instid0(VALU_DEP_4) | instskip(NEXT) | instid1(VALU_DEP_3)
	v_add_f32_e32 v40, v46, v40
	v_dual_fma_f32 v46, v42, v30, -v48 :: v_dual_add_f32 v28, v28, v41
	s_delay_alu instid0(VALU_DEP_3) | instskip(NEXT) | instid1(VALU_DEP_4)
	v_dual_mul_f32 v41, v43, v33 :: v_dual_add_f32 v47, v34, v47
	v_dual_fmac_f32 v31, v43, v30 :: v_dual_mul_f32 v30, v42, v33
	s_delay_alu instid0(VALU_DEP_2) | instskip(SKIP_2) | instid1(VALU_DEP_3)
	v_dual_add_f32 v24, v24, v46 :: v_dual_fma_f32 v33, v42, v32, -v41
	s_wait_dscnt 0x0
	v_dual_mul_f32 v34, v63, v37 :: v_dual_mul_f32 v41, v62, v37
	v_dual_add_f32 v26, v26, v31 :: v_dual_fmac_f32 v30, v43, v32
	s_delay_alu instid0(VALU_DEP_3) | instskip(NEXT) | instid1(VALU_DEP_3)
	v_add_f32_e32 v2, v2, v33
	v_dual_fma_f32 v31, v62, v36, -v34 :: v_dual_mul_f32 v33, v63, v39
	s_delay_alu instid0(VALU_DEP_4) | instskip(NEXT) | instid1(VALU_DEP_2)
	v_dual_fmac_f32 v41, v63, v36 :: v_dual_mul_f32 v42, v62, v39
	v_dual_add_f32 v22, v22, v30 :: v_dual_add_f32 v32, v35, v31
	v_mul_f32_e32 v31, v45, v37
	s_delay_alu instid0(VALU_DEP_3) | instskip(NEXT) | instid1(VALU_DEP_4)
	v_dual_add_f32 v34, v40, v41 :: v_dual_fma_f32 v30, v62, v38, -v33
	v_dual_fmac_f32 v42, v63, v38 :: v_dual_mul_f32 v33, v44, v37
	v_dual_mul_f32 v35, v45, v39 :: v_dual_mul_f32 v37, v44, v39
	s_delay_alu instid0(VALU_DEP_3) | instskip(NEXT) | instid1(VALU_DEP_3)
	v_add_f32_e32 v28, v28, v30
	v_dual_fma_f32 v31, v44, v36, -v31 :: v_dual_fmac_f32 v33, v45, v36
	s_delay_alu instid0(VALU_DEP_3) | instskip(NEXT) | instid1(VALU_DEP_2)
	v_dual_fma_f32 v35, v44, v38, -v35 :: v_dual_fmac_f32 v37, v45, v38
	v_dual_add_f32 v30, v47, v42 :: v_dual_add_f32 v24, v24, v31
	s_delay_alu instid0(VALU_DEP_3) | instskip(NEXT) | instid1(VALU_DEP_3)
	v_add_f32_e32 v26, v26, v33
	v_add_f32_e32 v2, v2, v35
	s_delay_alu instid0(VALU_DEP_4)
	v_add_f32_e32 v22, v22, v37
	s_barrier_signal -1
	s_barrier_wait -1
	s_cbranch_scc0 .LBB392_15
.LBB392_9:                              ;   Parent Loop BB392_6 Depth=1
                                        ; =>  This Inner Loop Header: Depth=2
	v_dual_mov_b32 v36, 0 :: v_dual_add_nc_u32 v31, s27, v23
	v_mov_b32_e32 v37, 0
	s_delay_alu instid0(VALU_DEP_2) | instskip(SKIP_2) | instid1(SALU_CYCLE_1)
	v_cmp_gt_i32_e32 vcc_lo, s9, v31
	s_wait_xcnt 0x0
	s_and_b32 s29, s0, vcc_lo
	s_and_saveexec_b32 s28, s29
	s_cbranch_execz .LBB392_11
; %bb.10:                               ;   in Loop: Header=BB392_9 Depth=2
	flat_load_b64 v[36:37], v[18:19]
.LBB392_11:                             ;   in Loop: Header=BB392_9 Depth=2
	s_wait_xcnt 0x0
	s_or_b32 exec_lo, exec_lo, s28
	v_add_nc_u32_e32 v31, s27, v0
	s_wait_loadcnt_dscnt 0x0
	ds_store_b64 v25, v[36:37]
	v_cmp_le_i32_e32 vcc_lo, s9, v31
	s_or_b32 s28, vcc_lo, s26
	s_delay_alu instid0(SALU_CYCLE_1) | instskip(NEXT) | instid1(SALU_CYCLE_1)
	s_and_saveexec_b32 s29, s28
	s_xor_b32 s28, exec_lo, s29
; %bb.12:                               ;   in Loop: Header=BB392_9 Depth=2
	ds_store_b32 v1, v3
; %bb.13:                               ;   in Loop: Header=BB392_9 Depth=2
	s_or_saveexec_b32 s28, s28
	v_mov_b32_e32 v31, 0
	s_xor_b32 exec_lo, exec_lo, s28
	s_cbranch_execz .LBB392_8
; %bb.14:                               ;   in Loop: Header=BB392_9 Depth=2
	flat_load_b64 v[36:37], v[20:21] offset:-4
	s_wait_loadcnt_dscnt 0x0
	v_xor_b32_e32 v31, 0x80000000, v37
	ds_store_b32 v1, v36
	s_branch .LBB392_8
.LBB392_15:                             ;   in Loop: Header=BB392_6 Depth=1
	s_wait_loadcnt 0x0
	v_add_nc_u64_e32 v[16:17], s[18:19], v[16:17]
	s_delay_alu instid0(VALU_DEP_1)
	v_lshl_add_u64 v[18:19], v[6:7], 3, v[16:17]
	s_and_saveexec_b32 s27, s8
	s_cbranch_execz .LBB392_20
; %bb.16:                               ;   in Loop: Header=BB392_6 Depth=1
	v_mov_b64_e32 v[20:21], s[4:5]
	v_mov_b64_e32 v[36:37], s[10:11]
	s_and_b32 vcc_lo, exec_lo, s22
	s_mov_b32 s28, -1
	s_delay_alu instid0(VALU_DEP_2) | instskip(NEXT) | instid1(VALU_DEP_1)
	v_pk_mul_f32 v[20:21], v[34:35], v[20:21] op_sel_hi:[0,1]
	v_pk_fma_f32 v[34:35], v[32:33], v[36:37], v[20:21] op_sel_hi:[0,1,1]
	v_pk_fma_f32 v[20:21], v[32:33], v[36:37], v[20:21] neg_lo:[0,0,1] neg_hi:[0,0,1]
	v_lshl_add_u64 v[32:33], v[4:5], 3, v[18:19]
	s_delay_alu instid0(VALU_DEP_3)
	v_mov_b32_e32 v21, v35
	s_cbranch_vccz .LBB392_18
; %bb.17:                               ;   in Loop: Header=BB392_6 Depth=1
	flat_load_b64 v[34:35], v[32:33]
	v_mov_b64_e32 v[36:37], s[6:7]
	v_mov_b64_e32 v[38:39], s[2:3]
	s_mov_b32 s28, 0
	s_wait_loadcnt_dscnt 0x0
	s_delay_alu instid0(VALU_DEP_2) | instskip(NEXT) | instid1(VALU_DEP_1)
	v_pk_mul_f32 v[36:37], v[34:35], v[36:37]
	v_pk_fma_f32 v[40:41], v[34:35], v[38:39], v[36:37] op_sel:[0,0,1] op_sel_hi:[1,1,0]
	v_pk_fma_f32 v[34:35], v[34:35], v[38:39], v[36:37] op_sel:[0,0,1] op_sel_hi:[1,1,0] neg_lo:[0,0,1] neg_hi:[0,0,1]
	s_delay_alu instid0(VALU_DEP_2) | instskip(NEXT) | instid1(VALU_DEP_1)
	v_mov_b32_e32 v35, v41
	v_pk_add_f32 v[34:35], v[20:21], v[34:35]
	flat_store_b64 v[32:33], v[34:35]
.LBB392_18:                             ;   in Loop: Header=BB392_6 Depth=1
	s_and_not1_b32 vcc_lo, exec_lo, s28
	s_cbranch_vccnz .LBB392_20
; %bb.19:                               ;   in Loop: Header=BB392_6 Depth=1
	flat_store_b64 v[32:33], v[20:21]
.LBB392_20:                             ;   in Loop: Header=BB392_6 Depth=1
	s_wait_xcnt 0x0
	s_or_b32 exec_lo, exec_lo, s27
	s_and_saveexec_b32 s27, s33
	s_cbranch_execz .LBB392_25
; %bb.21:                               ;   in Loop: Header=BB392_6 Depth=1
	v_mov_b64_e32 v[20:21], s[4:5]
	v_mov_b64_e32 v[32:33], s[10:11]
	v_lshl_add_u64 v[18:19], v[8:9], 3, v[18:19]
	s_and_not1_b32 vcc_lo, exec_lo, s22
	s_mov_b32 s28, -1
	s_delay_alu instid0(VALU_DEP_3) | instskip(NEXT) | instid1(VALU_DEP_1)
	v_pk_mul_f32 v[20:21], v[30:31], v[20:21] op_sel_hi:[0,1]
	v_pk_fma_f32 v[30:31], v[28:29], v[32:33], v[20:21] op_sel_hi:[0,1,1]
	v_pk_fma_f32 v[20:21], v[28:29], v[32:33], v[20:21] neg_lo:[0,0,1] neg_hi:[0,0,1]
	s_delay_alu instid0(VALU_DEP_2)
	v_mov_b32_e32 v21, v31
	s_cbranch_vccnz .LBB392_23
; %bb.22:                               ;   in Loop: Header=BB392_6 Depth=1
	flat_load_b64 v[30:31], v[18:19]
	v_mov_b64_e32 v[32:33], s[6:7]
	v_mov_b64_e32 v[34:35], s[2:3]
	s_mov_b32 s28, 0
	s_wait_loadcnt_dscnt 0x0
	s_delay_alu instid0(VALU_DEP_2) | instskip(NEXT) | instid1(VALU_DEP_1)
	v_pk_mul_f32 v[32:33], v[30:31], v[32:33]
	v_pk_fma_f32 v[36:37], v[30:31], v[34:35], v[32:33] op_sel:[0,0,1] op_sel_hi:[1,1,0]
	v_pk_fma_f32 v[30:31], v[30:31], v[34:35], v[32:33] op_sel:[0,0,1] op_sel_hi:[1,1,0] neg_lo:[0,0,1] neg_hi:[0,0,1]
	s_delay_alu instid0(VALU_DEP_2) | instskip(NEXT) | instid1(VALU_DEP_1)
	v_mov_b32_e32 v31, v37
	v_pk_add_f32 v[30:31], v[20:21], v[30:31]
	flat_store_b64 v[18:19], v[30:31]
.LBB392_23:                             ;   in Loop: Header=BB392_6 Depth=1
	s_and_not1_b32 vcc_lo, exec_lo, s28
	s_cbranch_vccnz .LBB392_25
; %bb.24:                               ;   in Loop: Header=BB392_6 Depth=1
	flat_store_b64 v[18:19], v[20:21]
.LBB392_25:                             ;   in Loop: Header=BB392_6 Depth=1
	s_wait_xcnt 0x0
	s_or_b32 exec_lo, exec_lo, s27
	v_lshl_add_u64 v[16:17], v[10:11], 3, v[16:17]
	s_and_saveexec_b32 s27, s1
	s_cbranch_execz .LBB392_30
; %bb.26:                               ;   in Loop: Header=BB392_6 Depth=1
	v_mov_b64_e32 v[18:19], s[4:5]
	v_mov_b64_e32 v[20:21], s[10:11]
	s_and_not1_b32 vcc_lo, exec_lo, s22
	s_mov_b32 s28, -1
	s_delay_alu instid0(VALU_DEP_2) | instskip(NEXT) | instid1(VALU_DEP_1)
	v_pk_mul_f32 v[18:19], v[26:27], v[18:19] op_sel_hi:[0,1]
	v_pk_fma_f32 v[30:31], v[24:25], v[20:21], v[18:19] op_sel_hi:[0,1,1]
	v_pk_fma_f32 v[18:19], v[24:25], v[20:21], v[18:19] neg_lo:[0,0,1] neg_hi:[0,0,1]
	v_lshl_add_u64 v[20:21], v[4:5], 3, v[16:17]
	s_delay_alu instid0(VALU_DEP_3)
	v_mov_b32_e32 v19, v31
	s_cbranch_vccnz .LBB392_28
; %bb.27:                               ;   in Loop: Header=BB392_6 Depth=1
	flat_load_b64 v[30:31], v[20:21]
	v_mov_b64_e32 v[32:33], s[6:7]
	v_mov_b64_e32 v[34:35], s[2:3]
	s_mov_b32 s28, 0
	s_wait_loadcnt_dscnt 0x0
	s_delay_alu instid0(VALU_DEP_2) | instskip(NEXT) | instid1(VALU_DEP_1)
	v_pk_mul_f32 v[32:33], v[30:31], v[32:33]
	v_pk_fma_f32 v[36:37], v[30:31], v[34:35], v[32:33] op_sel:[0,0,1] op_sel_hi:[1,1,0]
	v_pk_fma_f32 v[30:31], v[30:31], v[34:35], v[32:33] op_sel:[0,0,1] op_sel_hi:[1,1,0] neg_lo:[0,0,1] neg_hi:[0,0,1]
	s_delay_alu instid0(VALU_DEP_2) | instskip(NEXT) | instid1(VALU_DEP_1)
	v_mov_b32_e32 v31, v37
	v_pk_add_f32 v[30:31], v[18:19], v[30:31]
	flat_store_b64 v[20:21], v[30:31]
.LBB392_28:                             ;   in Loop: Header=BB392_6 Depth=1
	s_and_not1_b32 vcc_lo, exec_lo, s28
	s_cbranch_vccnz .LBB392_30
; %bb.29:                               ;   in Loop: Header=BB392_6 Depth=1
	flat_store_b64 v[20:21], v[18:19]
.LBB392_30:                             ;   in Loop: Header=BB392_6 Depth=1
	s_wait_xcnt 0x0
	s_or_b32 exec_lo, exec_lo, s27
	s_and_saveexec_b32 s27, s34
	s_cbranch_execz .LBB392_5
; %bb.31:                               ;   in Loop: Header=BB392_6 Depth=1
	v_mov_b64_e32 v[18:19], s[4:5]
	v_mov_b64_e32 v[20:21], s[10:11]
	v_lshl_add_u64 v[16:17], v[8:9], 3, v[16:17]
	s_and_not1_b32 vcc_lo, exec_lo, s22
	s_mov_b32 s28, -1
	s_delay_alu instid0(VALU_DEP_3) | instskip(NEXT) | instid1(VALU_DEP_1)
	v_pk_mul_f32 v[18:19], v[22:23], v[18:19] op_sel_hi:[0,1]
	v_pk_fma_f32 v[30:31], v[2:3], v[20:21], v[18:19] op_sel_hi:[0,1,1]
	v_pk_fma_f32 v[18:19], v[2:3], v[20:21], v[18:19] neg_lo:[0,0,1] neg_hi:[0,0,1]
	s_delay_alu instid0(VALU_DEP_2)
	v_mov_b32_e32 v19, v31
	s_cbranch_vccnz .LBB392_33
; %bb.32:                               ;   in Loop: Header=BB392_6 Depth=1
	flat_load_b64 v[20:21], v[16:17]
	v_mov_b64_e32 v[30:31], s[6:7]
	v_mov_b64_e32 v[32:33], s[2:3]
	s_mov_b32 s28, 0
	s_wait_loadcnt_dscnt 0x0
	s_delay_alu instid0(VALU_DEP_2) | instskip(NEXT) | instid1(VALU_DEP_1)
	v_pk_mul_f32 v[30:31], v[20:21], v[30:31]
	v_pk_fma_f32 v[34:35], v[20:21], v[32:33], v[30:31] op_sel:[0,0,1] op_sel_hi:[1,1,0]
	v_pk_fma_f32 v[20:21], v[20:21], v[32:33], v[30:31] op_sel:[0,0,1] op_sel_hi:[1,1,0] neg_lo:[0,0,1] neg_hi:[0,0,1]
	s_delay_alu instid0(VALU_DEP_2) | instskip(NEXT) | instid1(VALU_DEP_1)
	v_mov_b32_e32 v21, v35
	v_pk_add_f32 v[20:21], v[18:19], v[20:21]
	flat_store_b64 v[16:17], v[20:21]
.LBB392_33:                             ;   in Loop: Header=BB392_6 Depth=1
	s_and_not1_b32 vcc_lo, exec_lo, s28
	s_cbranch_vccnz .LBB392_5
; %bb.34:                               ;   in Loop: Header=BB392_6 Depth=1
	flat_store_b64 v[16:17], v[18:19]
	s_branch .LBB392_5
.LBB392_35:
	s_sendmsg sendmsg(MSG_DEALLOC_VGPRS)
	s_endpgm
	.section	.rodata,"a",@progbits
	.p2align	6, 0x0
	.amdhsa_kernel _ZL29rocblas_internal_gemmt_kernelIiLi16ELi32ELi8ELc84ELc67ELc76ELb0ELb1E19rocblas_complex_numIfES1_PKPKS1_PKPS1_EviT_T9_T10_S9_lSB_S9_lSA_T11_S9_li
		.amdhsa_group_segment_fixed_size 4096
		.amdhsa_private_segment_fixed_size 0
		.amdhsa_kernarg_size 100
		.amdhsa_user_sgpr_count 2
		.amdhsa_user_sgpr_dispatch_ptr 0
		.amdhsa_user_sgpr_queue_ptr 0
		.amdhsa_user_sgpr_kernarg_segment_ptr 1
		.amdhsa_user_sgpr_dispatch_id 0
		.amdhsa_user_sgpr_kernarg_preload_length 0
		.amdhsa_user_sgpr_kernarg_preload_offset 0
		.amdhsa_user_sgpr_private_segment_size 0
		.amdhsa_wavefront_size32 1
		.amdhsa_uses_dynamic_stack 0
		.amdhsa_enable_private_segment 0
		.amdhsa_system_sgpr_workgroup_id_x 1
		.amdhsa_system_sgpr_workgroup_id_y 1
		.amdhsa_system_sgpr_workgroup_id_z 1
		.amdhsa_system_sgpr_workgroup_info 0
		.amdhsa_system_vgpr_workitem_id 1
		.amdhsa_next_free_vgpr 71
		.amdhsa_next_free_sgpr 38
		.amdhsa_named_barrier_count 0
		.amdhsa_reserve_vcc 1
		.amdhsa_float_round_mode_32 0
		.amdhsa_float_round_mode_16_64 0
		.amdhsa_float_denorm_mode_32 3
		.amdhsa_float_denorm_mode_16_64 3
		.amdhsa_fp16_overflow 0
		.amdhsa_memory_ordered 1
		.amdhsa_forward_progress 1
		.amdhsa_inst_pref_size 26
		.amdhsa_round_robin_scheduling 0
		.amdhsa_exception_fp_ieee_invalid_op 0
		.amdhsa_exception_fp_denorm_src 0
		.amdhsa_exception_fp_ieee_div_zero 0
		.amdhsa_exception_fp_ieee_overflow 0
		.amdhsa_exception_fp_ieee_underflow 0
		.amdhsa_exception_fp_ieee_inexact 0
		.amdhsa_exception_int_div_zero 0
	.end_amdhsa_kernel
	.section	.text._ZL29rocblas_internal_gemmt_kernelIiLi16ELi32ELi8ELc84ELc67ELc76ELb0ELb1E19rocblas_complex_numIfES1_PKPKS1_PKPS1_EviT_T9_T10_S9_lSB_S9_lSA_T11_S9_li,"axG",@progbits,_ZL29rocblas_internal_gemmt_kernelIiLi16ELi32ELi8ELc84ELc67ELc76ELb0ELb1E19rocblas_complex_numIfES1_PKPKS1_PKPS1_EviT_T9_T10_S9_lSB_S9_lSA_T11_S9_li,comdat
.Lfunc_end392:
	.size	_ZL29rocblas_internal_gemmt_kernelIiLi16ELi32ELi8ELc84ELc67ELc76ELb0ELb1E19rocblas_complex_numIfES1_PKPKS1_PKPS1_EviT_T9_T10_S9_lSB_S9_lSA_T11_S9_li, .Lfunc_end392-_ZL29rocblas_internal_gemmt_kernelIiLi16ELi32ELi8ELc84ELc67ELc76ELb0ELb1E19rocblas_complex_numIfES1_PKPKS1_PKPS1_EviT_T9_T10_S9_lSB_S9_lSA_T11_S9_li
                                        ; -- End function
	.set _ZL29rocblas_internal_gemmt_kernelIiLi16ELi32ELi8ELc84ELc67ELc76ELb0ELb1E19rocblas_complex_numIfES1_PKPKS1_PKPS1_EviT_T9_T10_S9_lSB_S9_lSA_T11_S9_li.num_vgpr, 71
	.set _ZL29rocblas_internal_gemmt_kernelIiLi16ELi32ELi8ELc84ELc67ELc76ELb0ELb1E19rocblas_complex_numIfES1_PKPKS1_PKPS1_EviT_T9_T10_S9_lSB_S9_lSA_T11_S9_li.num_agpr, 0
	.set _ZL29rocblas_internal_gemmt_kernelIiLi16ELi32ELi8ELc84ELc67ELc76ELb0ELb1E19rocblas_complex_numIfES1_PKPKS1_PKPS1_EviT_T9_T10_S9_lSB_S9_lSA_T11_S9_li.numbered_sgpr, 38
	.set _ZL29rocblas_internal_gemmt_kernelIiLi16ELi32ELi8ELc84ELc67ELc76ELb0ELb1E19rocblas_complex_numIfES1_PKPKS1_PKPS1_EviT_T9_T10_S9_lSB_S9_lSA_T11_S9_li.num_named_barrier, 0
	.set _ZL29rocblas_internal_gemmt_kernelIiLi16ELi32ELi8ELc84ELc67ELc76ELb0ELb1E19rocblas_complex_numIfES1_PKPKS1_PKPS1_EviT_T9_T10_S9_lSB_S9_lSA_T11_S9_li.private_seg_size, 0
	.set _ZL29rocblas_internal_gemmt_kernelIiLi16ELi32ELi8ELc84ELc67ELc76ELb0ELb1E19rocblas_complex_numIfES1_PKPKS1_PKPS1_EviT_T9_T10_S9_lSB_S9_lSA_T11_S9_li.uses_vcc, 1
	.set _ZL29rocblas_internal_gemmt_kernelIiLi16ELi32ELi8ELc84ELc67ELc76ELb0ELb1E19rocblas_complex_numIfES1_PKPKS1_PKPS1_EviT_T9_T10_S9_lSB_S9_lSA_T11_S9_li.uses_flat_scratch, 0
	.set _ZL29rocblas_internal_gemmt_kernelIiLi16ELi32ELi8ELc84ELc67ELc76ELb0ELb1E19rocblas_complex_numIfES1_PKPKS1_PKPS1_EviT_T9_T10_S9_lSB_S9_lSA_T11_S9_li.has_dyn_sized_stack, 0
	.set _ZL29rocblas_internal_gemmt_kernelIiLi16ELi32ELi8ELc84ELc67ELc76ELb0ELb1E19rocblas_complex_numIfES1_PKPKS1_PKPS1_EviT_T9_T10_S9_lSB_S9_lSA_T11_S9_li.has_recursion, 0
	.set _ZL29rocblas_internal_gemmt_kernelIiLi16ELi32ELi8ELc84ELc67ELc76ELb0ELb1E19rocblas_complex_numIfES1_PKPKS1_PKPS1_EviT_T9_T10_S9_lSB_S9_lSA_T11_S9_li.has_indirect_call, 0
	.section	.AMDGPU.csdata,"",@progbits
; Kernel info:
; codeLenInByte = 3300
; TotalNumSgprs: 40
; NumVgprs: 71
; ScratchSize: 0
; MemoryBound: 0
; FloatMode: 240
; IeeeMode: 1
; LDSByteSize: 4096 bytes/workgroup (compile time only)
; SGPRBlocks: 0
; VGPRBlocks: 4
; NumSGPRsForWavesPerEU: 40
; NumVGPRsForWavesPerEU: 71
; NamedBarCnt: 0
; Occupancy: 12
; WaveLimiterHint : 1
; COMPUTE_PGM_RSRC2:SCRATCH_EN: 0
; COMPUTE_PGM_RSRC2:USER_SGPR: 2
; COMPUTE_PGM_RSRC2:TRAP_HANDLER: 0
; COMPUTE_PGM_RSRC2:TGID_X_EN: 1
; COMPUTE_PGM_RSRC2:TGID_Y_EN: 1
; COMPUTE_PGM_RSRC2:TGID_Z_EN: 1
; COMPUTE_PGM_RSRC2:TIDIG_COMP_CNT: 1
	.section	.text._ZL29rocblas_internal_gemmt_kernelIiLi16ELi32ELi8ELc67ELc78ELc76ELb1ELb0E19rocblas_complex_numIfES1_PKPKS1_PKPS1_EviT_T9_T10_S9_lSB_S9_lSA_T11_S9_li,"axG",@progbits,_ZL29rocblas_internal_gemmt_kernelIiLi16ELi32ELi8ELc67ELc78ELc76ELb1ELb0E19rocblas_complex_numIfES1_PKPKS1_PKPS1_EviT_T9_T10_S9_lSB_S9_lSA_T11_S9_li,comdat
	.globl	_ZL29rocblas_internal_gemmt_kernelIiLi16ELi32ELi8ELc67ELc78ELc76ELb1ELb0E19rocblas_complex_numIfES1_PKPKS1_PKPS1_EviT_T9_T10_S9_lSB_S9_lSA_T11_S9_li ; -- Begin function _ZL29rocblas_internal_gemmt_kernelIiLi16ELi32ELi8ELc67ELc78ELc76ELb1ELb0E19rocblas_complex_numIfES1_PKPKS1_PKPS1_EviT_T9_T10_S9_lSB_S9_lSA_T11_S9_li
	.p2align	8
	.type	_ZL29rocblas_internal_gemmt_kernelIiLi16ELi32ELi8ELc67ELc78ELc76ELb1ELb0E19rocblas_complex_numIfES1_PKPKS1_PKPS1_EviT_T9_T10_S9_lSB_S9_lSA_T11_S9_li,@function
_ZL29rocblas_internal_gemmt_kernelIiLi16ELi32ELi8ELc67ELc78ELc76ELb1ELb0E19rocblas_complex_numIfES1_PKPKS1_PKPS1_EviT_T9_T10_S9_lSB_S9_lSA_T11_S9_li: ; @_ZL29rocblas_internal_gemmt_kernelIiLi16ELi32ELi8ELc67ELc78ELc76ELb1ELb0E19rocblas_complex_numIfES1_PKPKS1_PKPS1_EviT_T9_T10_S9_lSB_S9_lSA_T11_S9_li
; %bb.0:
	s_clause 0x1
	s_load_b64 s[6:7], s[0:1], 0x40
	s_load_b128 s[8:11], s[0:1], 0x0
	s_wait_kmcnt 0x0
	s_cmp_neq_f32 s6, 1.0
	s_cselect_b32 s2, -1, 0
	s_and_b32 s3, s7, 0x7fffffff
	s_delay_alu instid0(SALU_CYCLE_1) | instskip(SKIP_3) | instid1(SALU_CYCLE_1)
	s_cmp_eq_u32 s3, 0
	s_cselect_b32 s23, -1, 0
	s_cmp_lg_u32 s3, 0
	s_cselect_b32 s3, -1, 0
	s_or_b32 s2, s2, s3
	s_delay_alu instid0(SALU_CYCLE_1)
	s_and_b32 vcc_lo, exec_lo, s2
	s_cbranch_vccnz .LBB393_2
; %bb.1:
	s_cmp_lg_u32 s9, 0
	s_cselect_b32 s2, -1, 0
	s_cmp_neq_f32 s10, 0
	s_cselect_b32 s3, -1, 0
	s_cmp_neq_f32 s11, 0
	s_cselect_b32 s4, -1, 0
	s_delay_alu instid0(SALU_CYCLE_1) | instskip(NEXT) | instid1(SALU_CYCLE_1)
	s_or_b32 s3, s3, s4
	s_and_b32 s2, s2, s3
.LBB393_2:
	s_delay_alu instid0(SALU_CYCLE_1)
	s_and_not1_b32 vcc_lo, exec_lo, s2
	s_cbranch_vccnz .LBB393_35
; %bb.3:
	s_load_b32 s19, s[0:1], 0x60
	s_bfe_u32 s2, ttmp6, 0x40014
	s_lshr_b32 s3, ttmp7, 16
	s_add_co_i32 s2, s2, 1
	s_bfe_u32 s5, ttmp6, 0x40008
	s_mul_i32 s2, s3, s2
	s_getreg_b32 s4, hwreg(HW_REG_IB_STS2, 6, 4)
	s_add_co_i32 s5, s5, s2
	s_cmp_eq_u32 s4, 0
	s_mov_b32 s25, 0
	s_cselect_b32 s24, s3, s5
	s_wait_kmcnt 0x0
	s_cmp_ge_u32 s24, s19
	s_cbranch_scc1 .LBB393_35
; %bb.4:
	s_clause 0x2
	s_load_b96 s[16:18], s[0:1], 0x10
	s_load_b32 s2, s[0:1], 0x30
	s_load_b96 s[20:22], s[0:1], 0x48
	v_and_b32_e32 v4, 0x3ff, v0
	v_bfe_u32 v5, v0, 10, 10
	s_clause 0x2
	s_load_b128 s[12:15], s[0:1], 0x20
	s_load_b64 s[26:27], s[0:1], 0x38
	s_load_b64 s[28:29], s[0:1], 0x58
	s_wait_xcnt 0x0
	s_bfe_u32 s1, ttmp6, 0x4000c
	s_bfe_u32 s3, ttmp6, 0x40010
	s_and_b32 s30, ttmp7, 0xffff
	s_add_co_i32 s1, s1, 1
	s_add_co_i32 s3, s3, 1
	v_lshl_add_u32 v1, v5, 4, v4
	s_and_b32 s0, ttmp6, 15
	s_mul_i32 s31, ttmp9, s1
	s_mul_i32 s33, s30, s3
	s_bfe_u32 s34, ttmp6, 0x40004
	s_add_co_i32 s0, s0, s31
	s_add_co_i32 s34, s34, s33
	v_dual_lshrrev_b32 v21, 5, v1 :: v_dual_bitop2_b32 v3, 31, v1 bitop3:0x40
	s_wait_kmcnt 0x0
	s_ashr_i32 s1, s18, 31
	s_ashr_i32 s3, s2, 31
	;; [unrolled: 1-line block ×3, first 2 shown]
	s_cmp_eq_u32 s4, 0
	v_dual_lshrrev_b32 v6, 3, v1 :: v_dual_bitop2_b32 v23, 7, v0 bitop3:0x40
	s_cselect_b32 s0, ttmp9, s0
	s_cselect_b32 s4, s30, s34
	s_lshl_b32 s30, s0, 5
	s_lshl_b32 s31, s4, 5
	s_delay_alu instid0(SALU_CYCLE_1) | instskip(SKIP_2) | instid1(VALU_DEP_2)
	v_dual_add_nc_u32 v2, s31, v6 :: v_dual_bitop2_b32 v0, s30, v3 bitop3:0x54
	v_dual_lshlrev_b32 v3, 3, v3 :: v_dual_add_nc_u32 v10, s31, v5
	s_mov_b32 s0, s18
	v_dual_ashrrev_i32 v1, 31, v0 :: v_dual_lshlrev_b32 v12, 3, v23
	s_delay_alu instid0(VALU_DEP_2) | instskip(SKIP_1) | instid1(VALU_DEP_3)
	v_lshl_or_b32 v25, v21, 8, v3
	v_dual_ashrrev_i32 v3, 31, v2 :: v_dual_lshlrev_b32 v29, 3, v4
	v_mul_u64_e32 v[8:9], s[0:1], v[0:1]
	v_add_nc_u32_e32 v16, 16, v10
	s_cmp_neq_f32 s10, 0
	s_delay_alu instid0(VALU_DEP_3)
	v_mul_u64_e32 v[14:15], s[2:3], v[2:3]
	v_cmp_gt_i32_e32 vcc_lo, s8, v0
	v_dual_add_nc_u32 v0, s30, v4 :: v_dual_ashrrev_i32 v11, 31, v10
	v_ashrrev_i32_e32 v17, 31, v16
	s_cselect_b32 s33, -1, 0
	s_cmp_neq_f32 s11, 0
	s_mov_b32 s4, s22
	v_lshl_or_b32 v1, v6, 6, v12
	v_cmp_gt_i32_e64 s0, s8, v2
	v_mul_u64_e32 v[2:3], s[4:5], v[10:11]
	v_mul_u64_e32 v[6:7], s[4:5], v[16:17]
	s_cselect_b32 s18, -1, 0
	v_add_nc_u32_e32 v4, 16, v0
	s_or_b32 s33, s33, s18
	s_cmp_gt_i32 s9, 0
	v_cmp_le_i32_e64 s1, v10, v0
	s_cselect_b32 s34, -1, 0
	s_cmp_neq_f32 s6, 0
	v_cmp_gt_i32_e64 s2, s8, v0
	v_add_nc_u32_e32 v27, 0x800, v1
	v_ashrrev_i32_e32 v1, 31, v0
	s_cselect_b32 s3, -1, 0
	s_xor_b32 s18, s23, -1
	v_cmp_le_i32_e64 s4, v16, v0
	s_or_b32 s18, s3, s18
	v_cmp_gt_i32_e64 s3, s8, v4
	s_lshl_b64 s[12:13], s[12:13], 3
	v_cmp_le_i32_e64 s5, v16, v4
	s_and_b32 s22, s1, s2
	v_cmp_le_i32_e64 s1, v10, v4
	v_lshl_add_u64 v[10:11], v[8:9], 3, s[12:13]
	v_dual_mov_b32 v9, 0 :: v_dual_lshlrev_b32 v8, 3, v21
	s_and_b32 s8, s4, s2
	s_and_b32 s23, s5, s3
	s_lshl_b64 s[4:5], s[26:27], 3
	v_lshl_add_u32 v33, v5, 6, 0x800
	v_dual_ashrrev_i32 v5, 31, v4 :: v_dual_mov_b32 v13, v9
	v_add_nc_u64_e32 v[10:11], v[10:11], v[8:9]
	v_lshl_add_u64 v[14:15], v[14:15], 3, s[4:5]
	s_and_b32 s1, s1, s3
	s_mov_b32 s2, s6
	s_mov_b32 s3, s6
	;; [unrolled: 1-line block ×3, first 2 shown]
	v_add_nc_u64_e32 v[12:13], v[14:15], v[12:13]
	v_or_b32_e32 v10, 4, v10
	s_mov_b32 s4, s11
	s_and_b32 s26, s33, s34
	s_mov_b32 s5, s10
	s_xor_b32 s27, vcc_lo, -1
	s_lshl_b64 s[12:13], s[28:29], 3
	s_branch .LBB393_6
.LBB393_5:                              ;   in Loop: Header=BB393_6 Depth=1
	s_wait_xcnt 0x0
	s_or_b32 exec_lo, exec_lo, s28
	s_add_co_i32 s24, s24, 0x10000
	s_delay_alu instid0(SALU_CYCLE_1)
	s_cmp_lt_u32 s24, s19
	s_cbranch_scc0 .LBB393_35
.LBB393_6:                              ; =>This Loop Header: Depth=1
                                        ;     Child Loop BB393_9 Depth 2
	v_dual_mov_b32 v8, s24 :: v_dual_mov_b32 v30, 0
	v_dual_mov_b32 v32, 0 :: v_dual_mov_b32 v26, 0
	;; [unrolled: 1-line block ×3, first 2 shown]
	global_load_b64 v[14:15], v8, s[20:21] scale_offset
	s_wait_xcnt 0x0
	v_dual_mov_b32 v24, 0 :: v_dual_mov_b32 v8, 0
	v_mov_b32_e32 v20, 0
	s_and_not1_b32 vcc_lo, exec_lo, s26
	s_cbranch_vccnz .LBB393_15
; %bb.7:                                ;   in Loop: Header=BB393_6 Depth=1
	s_lshl_b64 s[28:29], s[24:25], 3
	v_dual_mov_b32 v20, 0 :: v_dual_mov_b32 v8, 0
	s_add_nc_u64 s[30:31], s[16:17], s[28:29]
	s_add_nc_u64 s[28:29], s[14:15], s[28:29]
	s_clause 0x1
	global_load_b64 v[16:17], v9, s[30:31]
	global_load_b64 v[18:19], v9, s[28:29]
	v_dual_mov_b32 v24, 0 :: v_dual_mov_b32 v22, 0
	v_dual_mov_b32 v28, 0 :: v_dual_mov_b32 v26, 0
	;; [unrolled: 1-line block ×3, first 2 shown]
	s_wait_xcnt 0x0
	s_mov_b32 s28, 0
	s_wait_loadcnt 0x1
	v_add_nc_u64_e32 v[16:17], v[16:17], v[10:11]
	s_wait_loadcnt 0x0
	v_add_nc_u64_e32 v[18:19], v[18:19], v[12:13]
	s_branch .LBB393_9
.LBB393_8:                              ;   in Loop: Header=BB393_9 Depth=2
	s_wait_xcnt 0x0
	s_or_b32 exec_lo, exec_lo, s29
	s_wait_loadcnt_dscnt 0x0
	ds_store_b64 v27, v[34:35]
	s_wait_dscnt 0x0
	s_barrier_signal -1
	s_barrier_wait -1
	ds_load_b128 v[34:37], v33
	ds_load_2addr_b64 v[38:41], v29 offset1:16
	ds_load_b128 v[42:45], v33 offset:1024
	ds_load_b128 v[46:49], v33 offset:16
	ds_load_2addr_b64 v[50:53], v29 offset0:32 offset1:48
	ds_load_b128 v[54:57], v33 offset:32
	ds_load_b128 v[58:61], v33 offset:48
	;; [unrolled: 1-line block ×3, first 2 shown]
	v_add_nc_u64_e32 v[16:17], 64, v[16:17]
	v_add_nc_u64_e32 v[18:19], 64, v[18:19]
	s_add_co_i32 s28, s28, 8
	s_delay_alu instid0(SALU_CYCLE_1)
	s_cmp_lt_i32 s28, s9
	s_wait_dscnt 0x6
	v_dual_mul_f32 v31, v35, v39 :: v_dual_mul_f32 v66, v34, v39
	v_dual_mul_f32 v67, v35, v41 :: v_dual_mul_f32 v68, v34, v41
	s_wait_dscnt 0x5
	v_dual_mul_f32 v69, v43, v39 :: v_dual_mul_f32 v39, v42, v39
	v_dual_mul_f32 v70, v43, v41 :: v_dual_mul_f32 v71, v42, v41
	v_dual_fma_f32 v31, v34, v38, -v31 :: v_dual_fmac_f32 v66, v35, v38
	v_dual_fma_f32 v34, v34, v40, -v67 :: v_dual_fmac_f32 v68, v35, v40
	s_delay_alu instid0(VALU_DEP_4) | instskip(NEXT) | instid1(VALU_DEP_4)
	v_dual_fma_f32 v35, v42, v38, -v69 :: v_dual_fmac_f32 v39, v43, v38
	v_fma_f32 v38, v42, v40, -v70
	s_delay_alu instid0(VALU_DEP_3) | instskip(SKIP_1) | instid1(VALU_DEP_4)
	v_dual_add_f32 v30, v30, v31 :: v_dual_add_f32 v28, v28, v68
	v_add_f32_e32 v31, v32, v66
	v_dual_add_f32 v26, v26, v34 :: v_dual_add_f32 v24, v24, v39
	v_dual_add_f32 v22, v22, v35 :: v_dual_fmac_f32 v71, v43, v40
	s_wait_dscnt 0x3
	v_dual_mul_f32 v32, v37, v51 :: v_dual_add_f32 v8, v8, v38
	ds_load_2addr_b64 v[38:41], v29 offset0:64 offset1:80
	v_dual_mul_f32 v34, v36, v51 :: v_dual_mul_f32 v35, v37, v53
	v_add_f32_e32 v20, v20, v71
	v_dual_fma_f32 v32, v36, v50, -v32 :: v_dual_mul_f32 v42, v36, v53
	s_delay_alu instid0(VALU_DEP_1) | instskip(NEXT) | instid1(VALU_DEP_1)
	v_dual_fmac_f32 v34, v37, v50 :: v_dual_add_f32 v30, v30, v32
	v_dual_fma_f32 v32, v36, v52, -v35 :: v_dual_add_f32 v31, v31, v34
	v_mul_f32_e32 v35, v45, v51
	s_delay_alu instid0(VALU_DEP_4) | instskip(NEXT) | instid1(VALU_DEP_2)
	v_dual_fmac_f32 v42, v37, v52 :: v_dual_mul_f32 v34, v44, v51
	v_dual_add_f32 v26, v26, v32 :: v_dual_fma_f32 v32, v44, v50, -v35
	s_delay_alu instid0(VALU_DEP_2) | instskip(NEXT) | instid1(VALU_DEP_3)
	v_dual_mul_f32 v35, v45, v53 :: v_dual_add_f32 v28, v28, v42
	v_dual_fmac_f32 v34, v45, v50 :: v_dual_mul_f32 v42, v44, v53
	s_delay_alu instid0(VALU_DEP_3) | instskip(SKIP_1) | instid1(VALU_DEP_3)
	v_add_f32_e32 v22, v22, v32
	s_wait_dscnt 0x0
	v_dual_fma_f32 v32, v44, v52, -v35 :: v_dual_mul_f32 v35, v47, v39
	s_delay_alu instid0(VALU_DEP_3) | instskip(SKIP_1) | instid1(VALU_DEP_3)
	v_dual_add_f32 v24, v24, v34 :: v_dual_mul_f32 v43, v46, v39
	v_fmac_f32_e32 v42, v45, v52
	v_dual_add_f32 v8, v8, v32 :: v_dual_fma_f32 v32, v46, v38, -v35
	ds_load_2addr_b64 v[34:37], v29 offset0:96 offset1:112
	v_dual_mul_f32 v44, v47, v41 :: v_dual_fmac_f32 v43, v47, v38
	v_dual_add_f32 v20, v20, v42 :: v_dual_add_f32 v30, v30, v32
	s_delay_alu instid0(VALU_DEP_2) | instskip(NEXT) | instid1(VALU_DEP_3)
	v_dual_mul_f32 v32, v46, v41 :: v_dual_fma_f32 v42, v46, v40, -v44
	v_add_f32_e32 v31, v31, v43
	v_dual_mul_f32 v43, v63, v39 :: v_dual_mul_f32 v39, v62, v39
	s_delay_alu instid0(VALU_DEP_3) | instskip(NEXT) | instid1(VALU_DEP_2)
	v_dual_fmac_f32 v32, v47, v40 :: v_dual_add_f32 v26, v26, v42
	v_dual_mul_f32 v42, v63, v41 :: v_dual_fma_f32 v43, v62, v38, -v43
	s_delay_alu instid0(VALU_DEP_3) | instskip(NEXT) | instid1(VALU_DEP_3)
	v_dual_fmac_f32 v39, v63, v38 :: v_dual_mul_f32 v44, v62, v41
	v_add_f32_e32 v28, v28, v32
	s_delay_alu instid0(VALU_DEP_3) | instskip(NEXT) | instid1(VALU_DEP_4)
	v_fma_f32 v32, v62, v40, -v42
	v_add_f32_e32 v22, v22, v43
	s_delay_alu instid0(VALU_DEP_4) | instskip(SKIP_1) | instid1(VALU_DEP_3)
	v_dual_add_f32 v24, v24, v39 :: v_dual_fmac_f32 v44, v63, v40
	s_wait_dscnt 0x0
	v_dual_mul_f32 v42, v49, v35 :: v_dual_add_f32 v8, v8, v32
	ds_load_2addr_b64 v[38:41], v29 offset0:128 offset1:144
	v_dual_mul_f32 v32, v48, v35 :: v_dual_mul_f32 v43, v49, v37
	v_dual_fma_f32 v42, v48, v34, -v42 :: v_dual_mul_f32 v46, v48, v37
	s_delay_alu instid0(VALU_DEP_2) | instskip(NEXT) | instid1(VALU_DEP_2)
	v_dual_fmac_f32 v32, v49, v34 :: v_dual_add_f32 v20, v20, v44
	v_dual_add_f32 v30, v30, v42 :: v_dual_fma_f32 v43, v48, v36, -v43
	s_delay_alu instid0(VALU_DEP_2) | instskip(NEXT) | instid1(VALU_DEP_4)
	v_dual_mul_f32 v42, v65, v35 :: v_dual_add_f32 v31, v31, v32
	v_dual_fmac_f32 v46, v49, v36 :: v_dual_mul_f32 v32, v64, v35
	s_delay_alu instid0(VALU_DEP_2) | instskip(NEXT) | instid1(VALU_DEP_2)
	v_dual_add_f32 v26, v26, v43 :: v_dual_fma_f32 v35, v64, v34, -v42
	v_dual_mul_f32 v47, v65, v37 :: v_dual_add_f32 v28, v28, v46
	ds_load_b128 v[42:45], v33 offset:1056
	v_dual_fmac_f32 v32, v65, v34 :: v_dual_mul_f32 v46, v64, v37
	v_dual_fma_f32 v34, v64, v36, -v47 :: v_dual_add_f32 v22, v22, v35
	s_wait_dscnt 0x1
	s_delay_alu instid0(VALU_DEP_2) | instskip(NEXT) | instid1(VALU_DEP_2)
	v_dual_mul_f32 v35, v55, v39 :: v_dual_add_f32 v24, v24, v32
	v_dual_fmac_f32 v46, v65, v36 :: v_dual_add_f32 v8, v8, v34
	s_delay_alu instid0(VALU_DEP_2) | instskip(SKIP_3) | instid1(VALU_DEP_2)
	v_dual_mul_f32 v32, v54, v39 :: v_dual_fma_f32 v47, v54, v38, -v35
	ds_load_2addr_b64 v[34:37], v29 offset0:160 offset1:176
	v_dual_mul_f32 v48, v55, v41 :: v_dual_add_f32 v20, v20, v46
	v_dual_fmac_f32 v32, v55, v38 :: v_dual_add_f32 v30, v30, v47
	v_dual_mul_f32 v50, v54, v41 :: v_dual_fma_f32 v51, v54, v40, -v48
	ds_load_b128 v[46:49], v33 offset:1072
	v_add_f32_e32 v31, v31, v32
	s_wait_dscnt 0x2
	v_dual_mul_f32 v52, v43, v39 :: v_dual_mul_f32 v32, v42, v39
	v_dual_fmac_f32 v50, v55, v40 :: v_dual_add_f32 v26, v26, v51
	s_delay_alu instid0(VALU_DEP_2) | instskip(NEXT) | instid1(VALU_DEP_2)
	v_dual_fma_f32 v39, v42, v38, -v52 :: v_dual_mul_f32 v51, v43, v41
	v_add_f32_e32 v28, v28, v50
	s_delay_alu instid0(VALU_DEP_4) | instskip(NEXT) | instid1(VALU_DEP_3)
	v_dual_fmac_f32 v32, v43, v38 :: v_dual_mul_f32 v50, v42, v41
	v_add_f32_e32 v22, v22, v39
	s_wait_dscnt 0x1
	v_dual_fma_f32 v38, v42, v40, -v51 :: v_dual_mul_f32 v39, v57, v35
	s_delay_alu instid0(VALU_DEP_3) | instskip(SKIP_1) | instid1(VALU_DEP_3)
	v_add_f32_e32 v24, v24, v32
	v_dual_fmac_f32 v50, v43, v40 :: v_dual_mul_f32 v32, v56, v35
	v_dual_add_f32 v8, v8, v38 :: v_dual_mul_f32 v43, v57, v37
	s_delay_alu instid0(VALU_DEP_4) | instskip(SKIP_4) | instid1(VALU_DEP_3)
	v_fma_f32 v42, v56, v34, -v39
	ds_load_2addr_b64 v[38:41], v29 offset0:192 offset1:208
	v_fmac_f32_e32 v32, v57, v34
	v_add_f32_e32 v20, v20, v50
	v_dual_fma_f32 v43, v56, v36, -v43 :: v_dual_add_f32 v30, v30, v42
	v_dual_mul_f32 v42, v56, v37 :: v_dual_add_f32 v31, v31, v32
	v_dual_mul_f32 v32, v45, v35 :: v_dual_mul_f32 v35, v44, v35
	s_delay_alu instid0(VALU_DEP_3) | instskip(NEXT) | instid1(VALU_DEP_2)
	v_dual_add_f32 v26, v26, v43 :: v_dual_mul_f32 v43, v45, v37
	v_dual_fmac_f32 v42, v57, v36 :: v_dual_fma_f32 v32, v44, v34, -v32
	s_delay_alu instid0(VALU_DEP_3) | instskip(NEXT) | instid1(VALU_DEP_3)
	v_fmac_f32_e32 v35, v45, v34
	v_fma_f32 v34, v44, v36, -v43
	s_delay_alu instid0(VALU_DEP_3) | instskip(SKIP_1) | instid1(VALU_DEP_4)
	v_dual_add_f32 v28, v28, v42 :: v_dual_add_f32 v22, v22, v32
	v_mul_f32_e32 v42, v44, v37
	v_add_f32_e32 v24, v24, v35
	s_wait_dscnt 0x0
	v_dual_mul_f32 v32, v59, v39 :: v_dual_add_f32 v8, v8, v34
	s_delay_alu instid0(VALU_DEP_3) | instskip(SKIP_4) | instid1(VALU_DEP_3)
	v_dual_mul_f32 v43, v58, v39 :: v_dual_fmac_f32 v42, v45, v36
	ds_load_2addr_b64 v[34:37], v29 offset0:224 offset1:240
	v_dual_fma_f32 v32, v58, v38, -v32 :: v_dual_mul_f32 v44, v58, v41
	v_fmac_f32_e32 v43, v59, v38
	v_dual_add_f32 v20, v20, v42 :: v_dual_mul_f32 v42, v59, v41
	v_dual_add_f32 v30, v30, v32 :: v_dual_mul_f32 v32, v47, v39
	s_delay_alu instid0(VALU_DEP_3) | instskip(SKIP_1) | instid1(VALU_DEP_4)
	v_add_f32_e32 v31, v31, v43
	v_dual_fmac_f32 v44, v59, v40 :: v_dual_mul_f32 v39, v46, v39
	v_fma_f32 v42, v58, v40, -v42
	s_delay_alu instid0(VALU_DEP_4) | instskip(SKIP_1) | instid1(VALU_DEP_3)
	v_fma_f32 v32, v46, v38, -v32
	s_wait_dscnt 0x0
	v_add_f32_e32 v28, v28, v44
	s_barrier_signal -1
	v_dual_add_f32 v26, v26, v42 :: v_dual_mul_f32 v42, v47, v41
	v_dual_fmac_f32 v39, v47, v38 :: v_dual_add_f32 v22, v22, v32
	v_dual_mul_f32 v32, v46, v41 :: v_dual_mul_f32 v41, v61, v35
	s_delay_alu instid0(VALU_DEP_3) | instskip(NEXT) | instid1(VALU_DEP_2)
	v_dual_fma_f32 v38, v46, v40, -v42 :: v_dual_mul_f32 v42, v60, v35
	v_dual_add_f32 v24, v24, v39 :: v_dual_fmac_f32 v32, v47, v40
	s_delay_alu instid0(VALU_DEP_2) | instskip(NEXT) | instid1(VALU_DEP_3)
	v_dual_mul_f32 v39, v61, v37 :: v_dual_add_f32 v8, v8, v38
	v_dual_fma_f32 v38, v60, v34, -v41 :: v_dual_fmac_f32 v42, v61, v34
	v_mul_f32_e32 v40, v60, v37
	s_delay_alu instid0(VALU_DEP_4) | instskip(SKIP_1) | instid1(VALU_DEP_3)
	v_add_f32_e32 v20, v20, v32
	s_barrier_wait -1
	v_add_f32_e32 v30, v30, v38
	v_dual_add_f32 v32, v31, v42 :: v_dual_fma_f32 v31, v60, v36, -v39
	v_fmac_f32_e32 v40, v61, v36
	v_dual_mul_f32 v38, v49, v35 :: v_dual_mul_f32 v35, v48, v35
	v_dual_mul_f32 v39, v49, v37 :: v_dual_mul_f32 v37, v48, v37
	s_delay_alu instid0(VALU_DEP_2) | instskip(NEXT) | instid1(VALU_DEP_3)
	v_dual_add_f32 v26, v26, v31 :: v_dual_fma_f32 v31, v48, v34, -v38
	v_fmac_f32_e32 v35, v49, v34
	s_delay_alu instid0(VALU_DEP_3) | instskip(NEXT) | instid1(VALU_DEP_3)
	v_dual_fma_f32 v34, v48, v36, -v39 :: v_dual_fmac_f32 v37, v49, v36
	v_dual_add_f32 v28, v28, v40 :: v_dual_add_f32 v22, v22, v31
	s_delay_alu instid0(VALU_DEP_3) | instskip(NEXT) | instid1(VALU_DEP_3)
	v_add_f32_e32 v24, v24, v35
	v_add_f32_e32 v8, v8, v34
	s_delay_alu instid0(VALU_DEP_4)
	v_add_f32_e32 v20, v20, v37
	s_cbranch_scc0 .LBB393_15
.LBB393_9:                              ;   Parent Loop BB393_6 Depth=1
                                        ; =>  This Inner Loop Header: Depth=2
	v_add_nc_u32_e32 v31, s28, v21
	s_delay_alu instid0(VALU_DEP_1) | instskip(SKIP_1) | instid1(SALU_CYCLE_1)
	v_cmp_le_i32_e32 vcc_lo, s9, v31
	s_or_b32 s29, s27, vcc_lo
	s_and_saveexec_b32 s30, s29
	s_delay_alu instid0(SALU_CYCLE_1)
	s_xor_b32 s29, exec_lo, s30
; %bb.10:                               ;   in Loop: Header=BB393_9 Depth=2
	ds_store_b32 v25, v9
; %bb.11:                               ;   in Loop: Header=BB393_9 Depth=2
	s_or_saveexec_b32 s29, s29
	v_dual_mov_b32 v34, 0 :: v_dual_mov_b32 v31, 0
	s_xor_b32 exec_lo, exec_lo, s29
	s_cbranch_execz .LBB393_13
; %bb.12:                               ;   in Loop: Header=BB393_9 Depth=2
	flat_load_b64 v[36:37], v[16:17] offset:-4
	s_wait_loadcnt_dscnt 0x0
	v_xor_b32_e32 v31, 0x80000000, v37
	ds_store_b32 v25, v36
.LBB393_13:                             ;   in Loop: Header=BB393_9 Depth=2
	s_wait_xcnt 0x0
	s_or_b32 exec_lo, exec_lo, s29
	v_add_nc_u32_e32 v35, s28, v23
	ds_store_b32 v25, v31 offset:4
	v_cmp_gt_i32_e32 vcc_lo, s9, v35
	v_mov_b32_e32 v35, 0
	s_and_b32 s30, vcc_lo, s0
	s_delay_alu instid0(SALU_CYCLE_1)
	s_and_saveexec_b32 s29, s30
	s_cbranch_execz .LBB393_8
; %bb.14:                               ;   in Loop: Header=BB393_9 Depth=2
	flat_load_b64 v[34:35], v[18:19]
	s_branch .LBB393_8
.LBB393_15:                             ;   in Loop: Header=BB393_6 Depth=1
	s_wait_loadcnt 0x0
	v_add_nc_u64_e32 v[14:15], s[12:13], v[14:15]
	s_delay_alu instid0(VALU_DEP_1)
	v_lshl_add_u64 v[16:17], v[2:3], 3, v[14:15]
	s_and_saveexec_b32 s28, s22
	s_cbranch_execz .LBB393_20
; %bb.16:                               ;   in Loop: Header=BB393_6 Depth=1
	v_mov_b64_e32 v[18:19], s[4:5]
	v_mov_b64_e32 v[34:35], s[10:11]
	s_and_b32 vcc_lo, exec_lo, s18
	s_mov_b32 s29, -1
	s_delay_alu instid0(VALU_DEP_2) | instskip(NEXT) | instid1(VALU_DEP_1)
	v_pk_mul_f32 v[18:19], v[32:33], v[18:19] op_sel_hi:[0,1]
	v_pk_fma_f32 v[36:37], v[30:31], v[34:35], v[18:19] op_sel_hi:[0,1,1]
	v_pk_fma_f32 v[18:19], v[30:31], v[34:35], v[18:19] neg_lo:[0,0,1] neg_hi:[0,0,1]
	v_lshl_add_u64 v[30:31], v[0:1], 3, v[16:17]
	s_delay_alu instid0(VALU_DEP_3)
	v_mov_b32_e32 v19, v37
	s_cbranch_vccz .LBB393_18
; %bb.17:                               ;   in Loop: Header=BB393_6 Depth=1
	flat_load_b64 v[34:35], v[30:31]
	v_mov_b64_e32 v[36:37], s[6:7]
	v_mov_b64_e32 v[38:39], s[2:3]
	s_mov_b32 s29, 0
	s_wait_loadcnt_dscnt 0x0
	s_delay_alu instid0(VALU_DEP_2) | instskip(NEXT) | instid1(VALU_DEP_1)
	v_pk_mul_f32 v[36:37], v[34:35], v[36:37]
	v_pk_fma_f32 v[40:41], v[34:35], v[38:39], v[36:37] op_sel:[0,0,1] op_sel_hi:[1,1,0]
	v_pk_fma_f32 v[34:35], v[34:35], v[38:39], v[36:37] op_sel:[0,0,1] op_sel_hi:[1,1,0] neg_lo:[0,0,1] neg_hi:[0,0,1]
	s_delay_alu instid0(VALU_DEP_2) | instskip(NEXT) | instid1(VALU_DEP_1)
	v_mov_b32_e32 v35, v41
	v_pk_add_f32 v[34:35], v[18:19], v[34:35]
	flat_store_b64 v[30:31], v[34:35]
.LBB393_18:                             ;   in Loop: Header=BB393_6 Depth=1
	s_and_not1_b32 vcc_lo, exec_lo, s29
	s_cbranch_vccnz .LBB393_20
; %bb.19:                               ;   in Loop: Header=BB393_6 Depth=1
	flat_store_b64 v[30:31], v[18:19]
.LBB393_20:                             ;   in Loop: Header=BB393_6 Depth=1
	s_wait_xcnt 0x0
	s_or_b32 exec_lo, exec_lo, s28
	s_and_saveexec_b32 s28, s1
	s_cbranch_execz .LBB393_25
; %bb.21:                               ;   in Loop: Header=BB393_6 Depth=1
	v_mov_b64_e32 v[18:19], s[4:5]
	v_mov_b64_e32 v[30:31], s[10:11]
	v_lshl_add_u64 v[16:17], v[4:5], 3, v[16:17]
	s_and_not1_b32 vcc_lo, exec_lo, s18
	s_mov_b32 s29, -1
	s_delay_alu instid0(VALU_DEP_3) | instskip(NEXT) | instid1(VALU_DEP_1)
	v_pk_mul_f32 v[18:19], v[28:29], v[18:19] op_sel_hi:[0,1]
	v_pk_fma_f32 v[34:35], v[26:27], v[30:31], v[18:19] op_sel_hi:[0,1,1]
	v_pk_fma_f32 v[18:19], v[26:27], v[30:31], v[18:19] neg_lo:[0,0,1] neg_hi:[0,0,1]
	s_delay_alu instid0(VALU_DEP_2)
	v_mov_b32_e32 v19, v35
	s_cbranch_vccnz .LBB393_23
; %bb.22:                               ;   in Loop: Header=BB393_6 Depth=1
	flat_load_b64 v[30:31], v[16:17]
	v_mov_b64_e32 v[34:35], s[6:7]
	v_mov_b64_e32 v[36:37], s[2:3]
	s_mov_b32 s29, 0
	s_wait_loadcnt_dscnt 0x0
	s_delay_alu instid0(VALU_DEP_2) | instskip(NEXT) | instid1(VALU_DEP_1)
	v_pk_mul_f32 v[34:35], v[30:31], v[34:35]
	v_pk_fma_f32 v[38:39], v[30:31], v[36:37], v[34:35] op_sel:[0,0,1] op_sel_hi:[1,1,0]
	v_pk_fma_f32 v[30:31], v[30:31], v[36:37], v[34:35] op_sel:[0,0,1] op_sel_hi:[1,1,0] neg_lo:[0,0,1] neg_hi:[0,0,1]
	s_delay_alu instid0(VALU_DEP_2) | instskip(NEXT) | instid1(VALU_DEP_1)
	v_mov_b32_e32 v31, v39
	v_pk_add_f32 v[30:31], v[18:19], v[30:31]
	flat_store_b64 v[16:17], v[30:31]
.LBB393_23:                             ;   in Loop: Header=BB393_6 Depth=1
	s_and_not1_b32 vcc_lo, exec_lo, s29
	s_cbranch_vccnz .LBB393_25
; %bb.24:                               ;   in Loop: Header=BB393_6 Depth=1
	flat_store_b64 v[16:17], v[18:19]
.LBB393_25:                             ;   in Loop: Header=BB393_6 Depth=1
	s_wait_xcnt 0x0
	s_or_b32 exec_lo, exec_lo, s28
	v_lshl_add_u64 v[14:15], v[6:7], 3, v[14:15]
	s_and_saveexec_b32 s28, s8
	s_cbranch_execz .LBB393_30
; %bb.26:                               ;   in Loop: Header=BB393_6 Depth=1
	v_mov_b64_e32 v[16:17], s[4:5]
	v_mov_b64_e32 v[18:19], s[10:11]
	s_and_not1_b32 vcc_lo, exec_lo, s18
	s_mov_b32 s29, -1
	s_delay_alu instid0(VALU_DEP_2) | instskip(NEXT) | instid1(VALU_DEP_1)
	v_pk_mul_f32 v[16:17], v[24:25], v[16:17] op_sel_hi:[0,1]
	v_pk_fma_f32 v[30:31], v[22:23], v[18:19], v[16:17] op_sel_hi:[0,1,1]
	v_pk_fma_f32 v[16:17], v[22:23], v[18:19], v[16:17] neg_lo:[0,0,1] neg_hi:[0,0,1]
	v_lshl_add_u64 v[18:19], v[0:1], 3, v[14:15]
	s_delay_alu instid0(VALU_DEP_3)
	v_mov_b32_e32 v17, v31
	s_cbranch_vccnz .LBB393_28
; %bb.27:                               ;   in Loop: Header=BB393_6 Depth=1
	flat_load_b64 v[30:31], v[18:19]
	v_mov_b64_e32 v[34:35], s[6:7]
	v_mov_b64_e32 v[36:37], s[2:3]
	s_mov_b32 s29, 0
	s_wait_loadcnt_dscnt 0x0
	s_delay_alu instid0(VALU_DEP_2) | instskip(NEXT) | instid1(VALU_DEP_1)
	v_pk_mul_f32 v[34:35], v[30:31], v[34:35]
	v_pk_fma_f32 v[38:39], v[30:31], v[36:37], v[34:35] op_sel:[0,0,1] op_sel_hi:[1,1,0]
	v_pk_fma_f32 v[30:31], v[30:31], v[36:37], v[34:35] op_sel:[0,0,1] op_sel_hi:[1,1,0] neg_lo:[0,0,1] neg_hi:[0,0,1]
	s_delay_alu instid0(VALU_DEP_2) | instskip(NEXT) | instid1(VALU_DEP_1)
	v_mov_b32_e32 v31, v39
	v_pk_add_f32 v[30:31], v[16:17], v[30:31]
	flat_store_b64 v[18:19], v[30:31]
.LBB393_28:                             ;   in Loop: Header=BB393_6 Depth=1
	s_and_not1_b32 vcc_lo, exec_lo, s29
	s_cbranch_vccnz .LBB393_30
; %bb.29:                               ;   in Loop: Header=BB393_6 Depth=1
	flat_store_b64 v[18:19], v[16:17]
.LBB393_30:                             ;   in Loop: Header=BB393_6 Depth=1
	s_wait_xcnt 0x0
	s_or_b32 exec_lo, exec_lo, s28
	s_and_saveexec_b32 s28, s23
	s_cbranch_execz .LBB393_5
; %bb.31:                               ;   in Loop: Header=BB393_6 Depth=1
	v_mov_b64_e32 v[16:17], s[4:5]
	v_mov_b64_e32 v[18:19], s[10:11]
	v_lshl_add_u64 v[14:15], v[4:5], 3, v[14:15]
	s_and_not1_b32 vcc_lo, exec_lo, s18
	s_mov_b32 s29, -1
	s_delay_alu instid0(VALU_DEP_3) | instskip(NEXT) | instid1(VALU_DEP_1)
	v_pk_mul_f32 v[16:17], v[20:21], v[16:17] op_sel_hi:[0,1]
	v_pk_fma_f32 v[30:31], v[8:9], v[18:19], v[16:17] op_sel_hi:[0,1,1]
	v_pk_fma_f32 v[16:17], v[8:9], v[18:19], v[16:17] neg_lo:[0,0,1] neg_hi:[0,0,1]
	s_delay_alu instid0(VALU_DEP_2)
	v_mov_b32_e32 v17, v31
	s_cbranch_vccnz .LBB393_33
; %bb.32:                               ;   in Loop: Header=BB393_6 Depth=1
	flat_load_b64 v[18:19], v[14:15]
	v_mov_b64_e32 v[30:31], s[6:7]
	v_mov_b64_e32 v[34:35], s[2:3]
	s_mov_b32 s29, 0
	s_wait_loadcnt_dscnt 0x0
	s_delay_alu instid0(VALU_DEP_2) | instskip(NEXT) | instid1(VALU_DEP_1)
	v_pk_mul_f32 v[30:31], v[18:19], v[30:31]
	v_pk_fma_f32 v[36:37], v[18:19], v[34:35], v[30:31] op_sel:[0,0,1] op_sel_hi:[1,1,0]
	v_pk_fma_f32 v[18:19], v[18:19], v[34:35], v[30:31] op_sel:[0,0,1] op_sel_hi:[1,1,0] neg_lo:[0,0,1] neg_hi:[0,0,1]
	s_delay_alu instid0(VALU_DEP_2) | instskip(NEXT) | instid1(VALU_DEP_1)
	v_mov_b32_e32 v19, v37
	v_pk_add_f32 v[18:19], v[16:17], v[18:19]
	flat_store_b64 v[14:15], v[18:19]
.LBB393_33:                             ;   in Loop: Header=BB393_6 Depth=1
	s_and_not1_b32 vcc_lo, exec_lo, s29
	s_cbranch_vccnz .LBB393_5
; %bb.34:                               ;   in Loop: Header=BB393_6 Depth=1
	flat_store_b64 v[14:15], v[16:17]
	s_branch .LBB393_5
.LBB393_35:
	s_sendmsg sendmsg(MSG_DEALLOC_VGPRS)
	s_endpgm
	.section	.rodata,"a",@progbits
	.p2align	6, 0x0
	.amdhsa_kernel _ZL29rocblas_internal_gemmt_kernelIiLi16ELi32ELi8ELc67ELc78ELc76ELb1ELb0E19rocblas_complex_numIfES1_PKPKS1_PKPS1_EviT_T9_T10_S9_lSB_S9_lSA_T11_S9_li
		.amdhsa_group_segment_fixed_size 4096
		.amdhsa_private_segment_fixed_size 0
		.amdhsa_kernarg_size 100
		.amdhsa_user_sgpr_count 2
		.amdhsa_user_sgpr_dispatch_ptr 0
		.amdhsa_user_sgpr_queue_ptr 0
		.amdhsa_user_sgpr_kernarg_segment_ptr 1
		.amdhsa_user_sgpr_dispatch_id 0
		.amdhsa_user_sgpr_kernarg_preload_length 0
		.amdhsa_user_sgpr_kernarg_preload_offset 0
		.amdhsa_user_sgpr_private_segment_size 0
		.amdhsa_wavefront_size32 1
		.amdhsa_uses_dynamic_stack 0
		.amdhsa_enable_private_segment 0
		.amdhsa_system_sgpr_workgroup_id_x 1
		.amdhsa_system_sgpr_workgroup_id_y 1
		.amdhsa_system_sgpr_workgroup_id_z 1
		.amdhsa_system_sgpr_workgroup_info 0
		.amdhsa_system_vgpr_workitem_id 1
		.amdhsa_next_free_vgpr 72
		.amdhsa_next_free_sgpr 35
		.amdhsa_named_barrier_count 0
		.amdhsa_reserve_vcc 1
		.amdhsa_float_round_mode_32 0
		.amdhsa_float_round_mode_16_64 0
		.amdhsa_float_denorm_mode_32 3
		.amdhsa_float_denorm_mode_16_64 3
		.amdhsa_fp16_overflow 0
		.amdhsa_memory_ordered 1
		.amdhsa_forward_progress 1
		.amdhsa_inst_pref_size 26
		.amdhsa_round_robin_scheduling 0
		.amdhsa_exception_fp_ieee_invalid_op 0
		.amdhsa_exception_fp_denorm_src 0
		.amdhsa_exception_fp_ieee_div_zero 0
		.amdhsa_exception_fp_ieee_overflow 0
		.amdhsa_exception_fp_ieee_underflow 0
		.amdhsa_exception_fp_ieee_inexact 0
		.amdhsa_exception_int_div_zero 0
	.end_amdhsa_kernel
	.section	.text._ZL29rocblas_internal_gemmt_kernelIiLi16ELi32ELi8ELc67ELc78ELc76ELb1ELb0E19rocblas_complex_numIfES1_PKPKS1_PKPS1_EviT_T9_T10_S9_lSB_S9_lSA_T11_S9_li,"axG",@progbits,_ZL29rocblas_internal_gemmt_kernelIiLi16ELi32ELi8ELc67ELc78ELc76ELb1ELb0E19rocblas_complex_numIfES1_PKPKS1_PKPS1_EviT_T9_T10_S9_lSB_S9_lSA_T11_S9_li,comdat
.Lfunc_end393:
	.size	_ZL29rocblas_internal_gemmt_kernelIiLi16ELi32ELi8ELc67ELc78ELc76ELb1ELb0E19rocblas_complex_numIfES1_PKPKS1_PKPS1_EviT_T9_T10_S9_lSB_S9_lSA_T11_S9_li, .Lfunc_end393-_ZL29rocblas_internal_gemmt_kernelIiLi16ELi32ELi8ELc67ELc78ELc76ELb1ELb0E19rocblas_complex_numIfES1_PKPKS1_PKPS1_EviT_T9_T10_S9_lSB_S9_lSA_T11_S9_li
                                        ; -- End function
	.set _ZL29rocblas_internal_gemmt_kernelIiLi16ELi32ELi8ELc67ELc78ELc76ELb1ELb0E19rocblas_complex_numIfES1_PKPKS1_PKPS1_EviT_T9_T10_S9_lSB_S9_lSA_T11_S9_li.num_vgpr, 72
	.set _ZL29rocblas_internal_gemmt_kernelIiLi16ELi32ELi8ELc67ELc78ELc76ELb1ELb0E19rocblas_complex_numIfES1_PKPKS1_PKPS1_EviT_T9_T10_S9_lSB_S9_lSA_T11_S9_li.num_agpr, 0
	.set _ZL29rocblas_internal_gemmt_kernelIiLi16ELi32ELi8ELc67ELc78ELc76ELb1ELb0E19rocblas_complex_numIfES1_PKPKS1_PKPS1_EviT_T9_T10_S9_lSB_S9_lSA_T11_S9_li.numbered_sgpr, 35
	.set _ZL29rocblas_internal_gemmt_kernelIiLi16ELi32ELi8ELc67ELc78ELc76ELb1ELb0E19rocblas_complex_numIfES1_PKPKS1_PKPS1_EviT_T9_T10_S9_lSB_S9_lSA_T11_S9_li.num_named_barrier, 0
	.set _ZL29rocblas_internal_gemmt_kernelIiLi16ELi32ELi8ELc67ELc78ELc76ELb1ELb0E19rocblas_complex_numIfES1_PKPKS1_PKPS1_EviT_T9_T10_S9_lSB_S9_lSA_T11_S9_li.private_seg_size, 0
	.set _ZL29rocblas_internal_gemmt_kernelIiLi16ELi32ELi8ELc67ELc78ELc76ELb1ELb0E19rocblas_complex_numIfES1_PKPKS1_PKPS1_EviT_T9_T10_S9_lSB_S9_lSA_T11_S9_li.uses_vcc, 1
	.set _ZL29rocblas_internal_gemmt_kernelIiLi16ELi32ELi8ELc67ELc78ELc76ELb1ELb0E19rocblas_complex_numIfES1_PKPKS1_PKPS1_EviT_T9_T10_S9_lSB_S9_lSA_T11_S9_li.uses_flat_scratch, 0
	.set _ZL29rocblas_internal_gemmt_kernelIiLi16ELi32ELi8ELc67ELc78ELc76ELb1ELb0E19rocblas_complex_numIfES1_PKPKS1_PKPS1_EviT_T9_T10_S9_lSB_S9_lSA_T11_S9_li.has_dyn_sized_stack, 0
	.set _ZL29rocblas_internal_gemmt_kernelIiLi16ELi32ELi8ELc67ELc78ELc76ELb1ELb0E19rocblas_complex_numIfES1_PKPKS1_PKPS1_EviT_T9_T10_S9_lSB_S9_lSA_T11_S9_li.has_recursion, 0
	.set _ZL29rocblas_internal_gemmt_kernelIiLi16ELi32ELi8ELc67ELc78ELc76ELb1ELb0E19rocblas_complex_numIfES1_PKPKS1_PKPS1_EviT_T9_T10_S9_lSB_S9_lSA_T11_S9_li.has_indirect_call, 0
	.section	.AMDGPU.csdata,"",@progbits
; Kernel info:
; codeLenInByte = 3276
; TotalNumSgprs: 37
; NumVgprs: 72
; ScratchSize: 0
; MemoryBound: 0
; FloatMode: 240
; IeeeMode: 1
; LDSByteSize: 4096 bytes/workgroup (compile time only)
; SGPRBlocks: 0
; VGPRBlocks: 4
; NumSGPRsForWavesPerEU: 37
; NumVGPRsForWavesPerEU: 72
; NamedBarCnt: 0
; Occupancy: 12
; WaveLimiterHint : 1
; COMPUTE_PGM_RSRC2:SCRATCH_EN: 0
; COMPUTE_PGM_RSRC2:USER_SGPR: 2
; COMPUTE_PGM_RSRC2:TRAP_HANDLER: 0
; COMPUTE_PGM_RSRC2:TGID_X_EN: 1
; COMPUTE_PGM_RSRC2:TGID_Y_EN: 1
; COMPUTE_PGM_RSRC2:TGID_Z_EN: 1
; COMPUTE_PGM_RSRC2:TIDIG_COMP_CNT: 1
	.section	.text._ZL29rocblas_internal_gemmt_kernelIiLi16ELi32ELi8ELc67ELc84ELc76ELb1ELb0E19rocblas_complex_numIfES1_PKPKS1_PKPS1_EviT_T9_T10_S9_lSB_S9_lSA_T11_S9_li,"axG",@progbits,_ZL29rocblas_internal_gemmt_kernelIiLi16ELi32ELi8ELc67ELc84ELc76ELb1ELb0E19rocblas_complex_numIfES1_PKPKS1_PKPS1_EviT_T9_T10_S9_lSB_S9_lSA_T11_S9_li,comdat
	.globl	_ZL29rocblas_internal_gemmt_kernelIiLi16ELi32ELi8ELc67ELc84ELc76ELb1ELb0E19rocblas_complex_numIfES1_PKPKS1_PKPS1_EviT_T9_T10_S9_lSB_S9_lSA_T11_S9_li ; -- Begin function _ZL29rocblas_internal_gemmt_kernelIiLi16ELi32ELi8ELc67ELc84ELc76ELb1ELb0E19rocblas_complex_numIfES1_PKPKS1_PKPS1_EviT_T9_T10_S9_lSB_S9_lSA_T11_S9_li
	.p2align	8
	.type	_ZL29rocblas_internal_gemmt_kernelIiLi16ELi32ELi8ELc67ELc84ELc76ELb1ELb0E19rocblas_complex_numIfES1_PKPKS1_PKPS1_EviT_T9_T10_S9_lSB_S9_lSA_T11_S9_li,@function
_ZL29rocblas_internal_gemmt_kernelIiLi16ELi32ELi8ELc67ELc84ELc76ELb1ELb0E19rocblas_complex_numIfES1_PKPKS1_PKPS1_EviT_T9_T10_S9_lSB_S9_lSA_T11_S9_li: ; @_ZL29rocblas_internal_gemmt_kernelIiLi16ELi32ELi8ELc67ELc84ELc76ELb1ELb0E19rocblas_complex_numIfES1_PKPKS1_PKPS1_EviT_T9_T10_S9_lSB_S9_lSA_T11_S9_li
; %bb.0:
	s_clause 0x1
	s_load_b64 s[20:21], s[0:1], 0x40
	s_load_b128 s[4:7], s[0:1], 0x0
	s_wait_kmcnt 0x0
	s_cmp_neq_f32 s20, 1.0
	s_cselect_b32 s3, -1, 0
	s_and_b32 s8, s21, 0x7fffffff
	s_delay_alu instid0(SALU_CYCLE_1) | instskip(SKIP_3) | instid1(SALU_CYCLE_1)
	s_cmp_eq_u32 s8, 0
	s_cselect_b32 s2, -1, 0
	s_cmp_lg_u32 s8, 0
	s_cselect_b32 s8, -1, 0
	s_or_b32 s3, s3, s8
	s_delay_alu instid0(SALU_CYCLE_1)
	s_and_b32 vcc_lo, exec_lo, s3
	s_cbranch_vccnz .LBB394_2
; %bb.1:
	s_cmp_lg_u32 s5, 0
	s_cselect_b32 s3, -1, 0
	s_cmp_neq_f32 s6, 0
	s_cselect_b32 s8, -1, 0
	s_cmp_neq_f32 s7, 0
	s_cselect_b32 s9, -1, 0
	s_delay_alu instid0(SALU_CYCLE_1) | instskip(NEXT) | instid1(SALU_CYCLE_1)
	s_or_b32 s8, s8, s9
	s_and_b32 s3, s3, s8
.LBB394_2:
	s_delay_alu instid0(SALU_CYCLE_1)
	s_and_not1_b32 vcc_lo, exec_lo, s3
	s_cbranch_vccnz .LBB394_35
; %bb.3:
	s_load_b32 s30, s[0:1], 0x60
	s_bfe_u32 s3, ttmp6, 0x40014
	s_lshr_b32 s8, ttmp7, 16
	s_add_co_i32 s3, s3, 1
	s_bfe_u32 s10, ttmp6, 0x40008
	s_mul_i32 s9, s8, s3
	s_getreg_b32 s3, hwreg(HW_REG_IB_STS2, 6, 4)
	s_add_co_i32 s10, s10, s9
	s_cmp_eq_u32 s3, 0
	s_mov_b32 s23, 0
	s_cselect_b32 s22, s8, s10
	s_wait_kmcnt 0x0
	s_cmp_ge_u32 s22, s30
	s_cbranch_scc1 .LBB394_35
; %bb.4:
	s_clause 0x2
	s_load_b96 s[12:14], s[0:1], 0x10
	s_load_b32 s24, s[0:1], 0x30
	s_load_b96 s[16:18], s[0:1], 0x48
	v_and_b32_e32 v2, 0x3ff, v0
	v_bfe_u32 v7, v0, 10, 10
	s_clause 0x2
	s_load_b128 s[8:11], s[0:1], 0x20
	s_load_b64 s[26:27], s[0:1], 0x38
	s_load_b64 s[28:29], s[0:1], 0x58
	s_wait_xcnt 0x0
	s_bfe_u32 s1, ttmp6, 0x4000c
	s_bfe_u32 s15, ttmp6, 0x40010
	s_and_b32 s19, ttmp7, 0xffff
	s_add_co_i32 s1, s1, 1
	s_add_co_i32 s15, s15, 1
	v_lshl_add_u32 v1, v7, 4, v2
	s_and_b32 s0, ttmp6, 15
	s_bfe_u32 s31, ttmp6, 0x40004
	s_mul_i32 s33, ttmp9, s1
	s_mul_i32 s34, s19, s15
	s_add_co_i32 s0, s0, s33
	s_add_co_i32 s31, s31, s34
	v_dual_lshrrev_b32 v23, 5, v1 :: v_dual_bitop2_b32 v0, 7, v0 bitop3:0x40
	s_wait_kmcnt 0x0
	s_ashr_i32 s1, s14, 31
	s_ashr_i32 s25, s24, 31
	;; [unrolled: 1-line block ×3, first 2 shown]
	s_cmp_eq_u32 s3, 0
	v_dual_lshrrev_b32 v3, 3, v1 :: v_dual_bitop2_b32 v1, 31, v1 bitop3:0x40
	s_cselect_b32 s0, ttmp9, s0
	s_cselect_b32 s3, s19, s31
	s_lshl_b32 s19, s0, 5
	s_lshl_b32 s3, s3, 5
	s_delay_alu instid0(SALU_CYCLE_1) | instskip(SKIP_2) | instid1(VALU_DEP_2)
	v_dual_add_nc_u32 v14, s3, v3 :: v_dual_bitop2_b32 v4, s19, v1 bitop3:0x54
	v_dual_lshlrev_b32 v6, 3, v0 :: v_dual_lshlrev_b32 v1, 3, v1
	s_mov_b32 s0, s14
	v_ashrrev_i32_e32 v5, 31, v4
	v_cmp_gt_i32_e32 vcc_lo, s4, v4
	s_delay_alu instid0(VALU_DEP_3) | instskip(SKIP_4) | instid1(VALU_DEP_4)
	v_lshl_or_b32 v6, v3, 6, v6
	v_mov_b32_e32 v3, 0
	v_lshl_or_b32 v25, v23, 8, v1
	v_mul_u64_e32 v[12:13], s[0:1], v[4:5]
	v_dual_add_nc_u32 v16, s3, v7 :: v_dual_ashrrev_i32 v15, 31, v14
	v_dual_mov_b32 v1, v3 :: v_dual_lshlrev_b32 v29, 3, v2
	s_delay_alu instid0(VALU_DEP_2) | instskip(SKIP_1) | instid1(VALU_DEP_3)
	v_dual_add_nc_u32 v4, s19, v2 :: v_dual_add_nc_u32 v20, 16, v16
	v_add_nc_u32_e32 v27, 0x800, v6
	v_mul_u64_e32 v[18:19], s[24:25], v[0:1]
	v_dual_ashrrev_i32 v17, 31, v16 :: v_dual_lshlrev_b32 v2, 3, v23
	s_delay_alu instid0(VALU_DEP_4)
	v_dual_add_nc_u32 v6, 16, v4 :: v_dual_ashrrev_i32 v5, 31, v4
	v_ashrrev_i32_e32 v21, 31, v20
	s_cmp_neq_f32 s6, 0
	s_mov_b32 s14, s18
	v_lshl_add_u32 v1, v7, 6, 0x800
	v_mul_u64_e32 v[8:9], s[14:15], v[16:17]
	s_cselect_b32 s31, -1, 0
	s_cmp_neq_f32 s7, 0
	v_ashrrev_i32_e32 v7, 31, v6
	v_mul_u64_e32 v[10:11], s[14:15], v[20:21]
	v_cmp_gt_i32_e64 s0, s4, v14
	s_cselect_b32 s18, -1, 0
	v_cmp_le_i32_e64 s1, v16, v4
	s_or_b32 s18, s31, s18
	s_cmp_gt_i32 s5, 0
	v_cmp_le_i32_e64 s3, v16, v6
	s_cselect_b32 s35, -1, 0
	s_cmp_neq_f32 s20, 0
	s_cselect_b32 s19, -1, 0
	s_lshl_b64 s[8:9], s[8:9], 3
	s_xor_b32 s31, s2, -1
	v_lshl_add_u64 v[12:13], v[12:13], 3, s[8:9]
	v_cmp_gt_i32_e64 s2, s4, v4
	v_cmp_gt_i32_e64 s4, s4, v6
	s_lshl_b64 s[8:9], s[26:27], 3
	s_or_b32 s31, s19, s31
	v_add_nc_u64_e32 v[12:13], v[12:13], v[2:3]
	v_lshl_add_u64 v[16:17], v[18:19], 3, s[8:9]
	s_and_b32 s33, s1, s2
	s_and_b32 s34, s3, s4
	v_cmp_le_i32_e64 s1, v20, v4
	v_cmp_le_i32_e64 s3, v20, v6
	v_lshl_add_u64 v[14:15], v[14:15], 3, v[16:17]
	v_or_b32_e32 v12, 4, v12
	s_mov_b32 s8, s7
	s_and_b32 s1, s1, s2
	s_and_b32 s4, s3, s4
	s_mov_b32 s2, s20
	s_mov_b32 s3, s20
	;; [unrolled: 1-line block ×4, first 2 shown]
	s_and_b32 s26, s18, s35
	s_lshl_b64 s[14:15], s[24:25], 6
	s_xor_b32 s24, vcc_lo, -1
	s_lshl_b64 s[18:19], s[28:29], 3
	s_branch .LBB394_6
.LBB394_5:                              ;   in Loop: Header=BB394_6 Depth=1
	s_wait_xcnt 0x0
	s_or_b32 exec_lo, exec_lo, s25
	s_add_co_i32 s22, s22, 0x10000
	s_delay_alu instid0(SALU_CYCLE_1)
	s_cmp_lt_u32 s22, s30
	s_cbranch_scc0 .LBB394_35
.LBB394_6:                              ; =>This Loop Header: Depth=1
                                        ;     Child Loop BB394_9 Depth 2
	v_dual_mov_b32 v2, s22 :: v_dual_mov_b32 v32, 0
	v_dual_mov_b32 v34, 0 :: v_dual_mov_b32 v28, 0
	;; [unrolled: 1-line block ×3, first 2 shown]
	global_load_b64 v[16:17], v2, s[16:17] scale_offset
	s_wait_xcnt 0x0
	v_dual_mov_b32 v26, 0 :: v_dual_mov_b32 v2, 0
	v_mov_b32_e32 v22, 0
	s_and_not1_b32 vcc_lo, exec_lo, s26
	s_cbranch_vccnz .LBB394_15
; %bb.7:                                ;   in Loop: Header=BB394_6 Depth=1
	s_lshl_b64 s[28:29], s[22:23], 3
	v_dual_mov_b32 v22, 0 :: v_dual_mov_b32 v2, 0
	s_add_nc_u64 s[36:37], s[12:13], s[28:29]
	s_add_nc_u64 s[28:29], s[10:11], s[28:29]
	s_clause 0x1
	global_load_b64 v[18:19], v3, s[36:37]
	global_load_b64 v[20:21], v3, s[28:29]
	v_dual_mov_b32 v26, 0 :: v_dual_mov_b32 v24, 0
	v_dual_mov_b32 v30, 0 :: v_dual_mov_b32 v28, 0
	;; [unrolled: 1-line block ×3, first 2 shown]
	s_mov_b32 s25, 0
	s_wait_loadcnt 0x1
	v_add_nc_u64_e32 v[18:19], v[18:19], v[12:13]
	s_wait_loadcnt 0x0
	v_add_nc_u64_e32 v[20:21], v[20:21], v[14:15]
	s_branch .LBB394_9
.LBB394_8:                              ;   in Loop: Header=BB394_9 Depth=2
	s_wait_xcnt 0x0
	s_or_b32 exec_lo, exec_lo, s27
	s_wait_loadcnt_dscnt 0x0
	ds_store_b64 v27, v[36:37]
	s_wait_dscnt 0x0
	s_barrier_signal -1
	s_barrier_wait -1
	ds_load_b128 v[36:39], v1
	ds_load_2addr_b64 v[40:43], v29 offset1:16
	ds_load_b128 v[44:47], v1 offset:1024
	ds_load_b128 v[48:51], v1 offset:16
	ds_load_2addr_b64 v[52:55], v29 offset0:32 offset1:48
	ds_load_b128 v[56:59], v1 offset:32
	ds_load_b128 v[60:63], v1 offset:48
	;; [unrolled: 1-line block ×3, first 2 shown]
	v_add_nc_u64_e32 v[18:19], 64, v[18:19]
	v_add_nc_u64_e32 v[20:21], s[14:15], v[20:21]
	s_add_co_i32 s25, s25, 8
	s_delay_alu instid0(SALU_CYCLE_1)
	s_cmp_lt_i32 s25, s5
	s_wait_dscnt 0x6
	v_dual_mul_f32 v31, v37, v41 :: v_dual_mul_f32 v33, v36, v41
	v_dual_mul_f32 v35, v37, v43 :: v_dual_mul_f32 v68, v36, v43
	s_wait_dscnt 0x5
	v_dual_mul_f32 v69, v45, v41 :: v_dual_mul_f32 v41, v44, v41
	v_dual_mul_f32 v70, v45, v43 :: v_dual_mul_f32 v43, v44, v43
	v_dual_fma_f32 v31, v36, v40, -v31 :: v_dual_fmac_f32 v33, v37, v40
	v_dual_fma_f32 v35, v36, v42, -v35 :: v_dual_fmac_f32 v68, v37, v42
	s_delay_alu instid0(VALU_DEP_3) | instskip(NEXT) | instid1(VALU_DEP_3)
	v_dual_fma_f32 v36, v44, v40, -v69 :: v_dual_fma_f32 v37, v44, v42, -v70
	v_dual_fmac_f32 v41, v45, v40 :: v_dual_add_f32 v40, v32, v31
	s_delay_alu instid0(VALU_DEP_3) | instskip(NEXT) | instid1(VALU_DEP_4)
	v_dual_add_f32 v34, v34, v33 :: v_dual_add_f32 v28, v28, v35
	v_add_f32_e32 v35, v30, v68
	s_delay_alu instid0(VALU_DEP_3)
	v_dual_add_f32 v24, v24, v36 :: v_dual_add_f32 v26, v26, v41
	s_wait_dscnt 0x3
	v_mul_f32_e32 v36, v39, v53
	ds_load_2addr_b64 v[30:33], v29 offset0:64 offset1:80
	v_dual_fmac_f32 v43, v45, v42 :: v_dual_add_f32 v2, v2, v37
	v_dual_mul_f32 v37, v38, v53 :: v_dual_fma_f32 v36, v38, v52, -v36
	v_mul_f32_e32 v41, v39, v55
	s_delay_alu instid0(VALU_DEP_2) | instskip(NEXT) | instid1(VALU_DEP_3)
	v_dual_add_f32 v22, v22, v43 :: v_dual_fmac_f32 v37, v39, v52
	v_dual_mul_f32 v42, v38, v55 :: v_dual_add_f32 v40, v40, v36
	s_delay_alu instid0(VALU_DEP_3) | instskip(NEXT) | instid1(VALU_DEP_2)
	v_dual_fma_f32 v36, v38, v54, -v41 :: v_dual_mul_f32 v38, v47, v53
	v_dual_add_f32 v41, v34, v37 :: v_dual_fmac_f32 v42, v39, v54
	s_delay_alu instid0(VALU_DEP_2) | instskip(NEXT) | instid1(VALU_DEP_3)
	v_dual_mul_f32 v34, v46, v53 :: v_dual_add_f32 v28, v28, v36
	v_dual_mul_f32 v37, v47, v55 :: v_dual_fma_f32 v36, v46, v52, -v38
	s_delay_alu instid0(VALU_DEP_3) | instskip(NEXT) | instid1(VALU_DEP_3)
	v_add_f32_e32 v38, v35, v42
	v_dual_fmac_f32 v34, v47, v52 :: v_dual_mul_f32 v39, v46, v55
	s_delay_alu instid0(VALU_DEP_3) | instskip(SKIP_1) | instid1(VALU_DEP_2)
	v_dual_fma_f32 v35, v46, v54, -v37 :: v_dual_add_f32 v24, v24, v36
	s_wait_dscnt 0x0
	v_dual_mul_f32 v36, v49, v31 :: v_dual_add_f32 v26, v26, v34
	s_delay_alu instid0(VALU_DEP_3) | instskip(NEXT) | instid1(VALU_DEP_2)
	v_dual_fmac_f32 v39, v47, v54 :: v_dual_mul_f32 v42, v48, v31
	v_dual_add_f32 v2, v2, v35 :: v_dual_fma_f32 v43, v48, v30, -v36
	v_mul_f32_e32 v44, v49, v33
	ds_load_2addr_b64 v[34:37], v29 offset0:96 offset1:112
	v_dual_fmac_f32 v42, v49, v30 :: v_dual_add_f32 v22, v22, v39
	v_add_f32_e32 v39, v40, v43
	v_dual_fma_f32 v43, v48, v32, -v44 :: v_dual_mul_f32 v40, v48, v33
	s_delay_alu instid0(VALU_DEP_3) | instskip(SKIP_1) | instid1(VALU_DEP_3)
	v_add_f32_e32 v41, v41, v42
	v_dual_mul_f32 v42, v65, v31 :: v_dual_mul_f32 v31, v64, v31
	v_dual_add_f32 v28, v28, v43 :: v_dual_mul_f32 v43, v65, v33
	s_delay_alu instid0(VALU_DEP_2) | instskip(NEXT) | instid1(VALU_DEP_3)
	v_dual_fmac_f32 v40, v49, v32 :: v_dual_fma_f32 v42, v64, v30, -v42
	v_dual_fmac_f32 v31, v65, v30 :: v_dual_mul_f32 v44, v64, v33
	s_delay_alu instid0(VALU_DEP_3) | instskip(NEXT) | instid1(VALU_DEP_3)
	v_fma_f32 v30, v64, v32, -v43
	v_dual_add_f32 v45, v38, v40 :: v_dual_add_f32 v24, v24, v42
	s_delay_alu instid0(VALU_DEP_3) | instskip(SKIP_1) | instid1(VALU_DEP_3)
	v_dual_add_f32 v26, v26, v31 :: v_dual_fmac_f32 v44, v65, v32
	s_wait_dscnt 0x0
	v_dual_mul_f32 v38, v51, v35 :: v_dual_add_f32 v2, v2, v30
	ds_load_2addr_b64 v[30:33], v29 offset0:128 offset1:144
	v_dual_mul_f32 v40, v50, v35 :: v_dual_mul_f32 v42, v51, v37
	v_dual_fma_f32 v38, v50, v34, -v38 :: v_dual_mul_f32 v43, v50, v37
	s_delay_alu instid0(VALU_DEP_2) | instskip(NEXT) | instid1(VALU_DEP_2)
	v_dual_fmac_f32 v40, v51, v34 :: v_dual_add_f32 v22, v22, v44
	v_dual_add_f32 v44, v39, v38 :: v_dual_fma_f32 v42, v50, v36, -v42
	s_delay_alu instid0(VALU_DEP_2) | instskip(NEXT) | instid1(VALU_DEP_4)
	v_dual_mul_f32 v38, v67, v35 :: v_dual_add_f32 v46, v41, v40
	v_dual_fmac_f32 v43, v51, v36 :: v_dual_mul_f32 v35, v66, v35
	s_delay_alu instid0(VALU_DEP_3) | instskip(NEXT) | instid1(VALU_DEP_3)
	v_add_f32_e32 v28, v28, v42
	v_dual_fma_f32 v42, v66, v34, -v38 :: v_dual_mul_f32 v47, v67, v37
	s_delay_alu instid0(VALU_DEP_3)
	v_add_f32_e32 v48, v45, v43
	ds_load_b128 v[38:41], v1 offset:1056
	v_dual_fmac_f32 v35, v67, v34 :: v_dual_mul_f32 v43, v66, v37
	v_dual_fma_f32 v34, v66, v36, -v47 :: v_dual_add_f32 v24, v24, v42
	s_wait_dscnt 0x1
	v_dual_mul_f32 v37, v57, v31 :: v_dual_mul_f32 v47, v56, v31
	s_delay_alu instid0(VALU_DEP_3) | instskip(NEXT) | instid1(VALU_DEP_3)
	v_dual_fmac_f32 v43, v67, v36 :: v_dual_add_f32 v26, v26, v35
	v_add_f32_e32 v2, v2, v34
	s_delay_alu instid0(VALU_DEP_3) | instskip(SKIP_4) | instid1(VALU_DEP_3)
	v_fma_f32 v42, v56, v30, -v37
	ds_load_2addr_b64 v[34:37], v29 offset0:160 offset1:176
	v_dual_mul_f32 v45, v57, v33 :: v_dual_add_f32 v22, v22, v43
	v_dual_fmac_f32 v47, v57, v30 :: v_dual_mul_f32 v50, v56, v33
	v_add_f32_e32 v49, v44, v42
	v_fma_f32 v51, v56, v32, -v45
	ds_load_b128 v[42:45], v1 offset:1072
	v_add_f32_e32 v46, v46, v47
	s_wait_dscnt 0x2
	v_dual_mul_f32 v52, v39, v31 :: v_dual_fmac_f32 v50, v57, v32
	v_mul_f32_e32 v31, v38, v31
	v_dual_add_f32 v28, v28, v51 :: v_dual_mul_f32 v51, v39, v33
	s_delay_alu instid0(VALU_DEP_3) | instskip(NEXT) | instid1(VALU_DEP_4)
	v_fma_f32 v47, v38, v30, -v52
	v_add_f32_e32 v48, v48, v50
	s_delay_alu instid0(VALU_DEP_4) | instskip(NEXT) | instid1(VALU_DEP_3)
	v_dual_fmac_f32 v31, v39, v30 :: v_dual_mul_f32 v50, v38, v33
	v_dual_fma_f32 v30, v38, v32, -v51 :: v_dual_add_f32 v24, v24, v47
	s_wait_dscnt 0x1
	v_dual_mul_f32 v33, v59, v35 :: v_dual_mul_f32 v38, v58, v35
	s_delay_alu instid0(VALU_DEP_3) | instskip(NEXT) | instid1(VALU_DEP_3)
	v_dual_add_f32 v26, v26, v31 :: v_dual_fmac_f32 v50, v39, v32
	v_dual_add_f32 v2, v2, v30 :: v_dual_mul_f32 v47, v59, v37
	s_delay_alu instid0(VALU_DEP_3)
	v_dual_fma_f32 v39, v58, v34, -v33 :: v_dual_fmac_f32 v38, v59, v34
	ds_load_2addr_b64 v[30:33], v29 offset0:192 offset1:208
	v_add_f32_e32 v22, v22, v50
	v_dual_fma_f32 v47, v58, v36, -v47 :: v_dual_add_f32 v49, v49, v39
	v_mul_f32_e32 v39, v58, v37
	v_dual_add_f32 v46, v46, v38 :: v_dual_mul_f32 v38, v41, v35
	v_mul_f32_e32 v35, v40, v35
	s_delay_alu instid0(VALU_DEP_4) | instskip(NEXT) | instid1(VALU_DEP_3)
	v_dual_add_f32 v28, v28, v47 :: v_dual_mul_f32 v47, v41, v37
	v_dual_fmac_f32 v39, v59, v36 :: v_dual_fma_f32 v38, v40, v34, -v38
	s_delay_alu instid0(VALU_DEP_1) | instskip(NEXT) | instid1(VALU_DEP_3)
	v_dual_fmac_f32 v35, v41, v34 :: v_dual_add_f32 v34, v48, v39
	v_dual_mul_f32 v48, v40, v37 :: v_dual_fma_f32 v37, v40, v36, -v47
	s_delay_alu instid0(VALU_DEP_2) | instskip(SKIP_2) | instid1(VALU_DEP_3)
	v_dual_add_f32 v24, v24, v38 :: v_dual_add_f32 v26, v26, v35
	s_wait_dscnt 0x0
	v_mul_f32_e32 v35, v61, v31
	v_dual_fmac_f32 v48, v41, v36 :: v_dual_add_f32 v2, v2, v37
	ds_load_2addr_b64 v[36:39], v29 offset0:224 offset1:240
	v_dual_mul_f32 v40, v60, v31 :: v_dual_fma_f32 v35, v60, v30, -v35
	v_dual_add_f32 v22, v22, v48 :: v_dual_mul_f32 v41, v61, v33
	s_delay_alu instid0(VALU_DEP_2) | instskip(NEXT) | instid1(VALU_DEP_3)
	v_dual_mul_f32 v47, v60, v33 :: v_dual_fmac_f32 v40, v61, v30
	v_add_f32_e32 v35, v49, v35
	s_delay_alu instid0(VALU_DEP_3) | instskip(NEXT) | instid1(VALU_DEP_3)
	v_dual_mul_f32 v48, v43, v31 :: v_dual_fma_f32 v41, v60, v32, -v41
	v_dual_fmac_f32 v47, v61, v32 :: v_dual_mul_f32 v31, v42, v31
	s_delay_alu instid0(VALU_DEP_4) | instskip(NEXT) | instid1(VALU_DEP_3)
	v_add_f32_e32 v40, v46, v40
	v_dual_fma_f32 v46, v42, v30, -v48 :: v_dual_add_f32 v28, v28, v41
	s_delay_alu instid0(VALU_DEP_3) | instskip(NEXT) | instid1(VALU_DEP_4)
	v_dual_mul_f32 v41, v43, v33 :: v_dual_add_f32 v47, v34, v47
	v_dual_fmac_f32 v31, v43, v30 :: v_dual_mul_f32 v30, v42, v33
	s_delay_alu instid0(VALU_DEP_2) | instskip(SKIP_2) | instid1(VALU_DEP_3)
	v_dual_add_f32 v24, v24, v46 :: v_dual_fma_f32 v33, v42, v32, -v41
	s_wait_dscnt 0x0
	v_dual_mul_f32 v34, v63, v37 :: v_dual_mul_f32 v41, v62, v37
	v_dual_add_f32 v26, v26, v31 :: v_dual_fmac_f32 v30, v43, v32
	s_delay_alu instid0(VALU_DEP_3) | instskip(NEXT) | instid1(VALU_DEP_3)
	v_add_f32_e32 v2, v2, v33
	v_dual_fma_f32 v31, v62, v36, -v34 :: v_dual_mul_f32 v33, v63, v39
	s_delay_alu instid0(VALU_DEP_4) | instskip(NEXT) | instid1(VALU_DEP_2)
	v_dual_fmac_f32 v41, v63, v36 :: v_dual_mul_f32 v42, v62, v39
	v_dual_add_f32 v22, v22, v30 :: v_dual_add_f32 v32, v35, v31
	v_mul_f32_e32 v31, v45, v37
	s_delay_alu instid0(VALU_DEP_3) | instskip(NEXT) | instid1(VALU_DEP_4)
	v_dual_add_f32 v34, v40, v41 :: v_dual_fma_f32 v30, v62, v38, -v33
	v_dual_fmac_f32 v42, v63, v38 :: v_dual_mul_f32 v33, v44, v37
	v_dual_mul_f32 v35, v45, v39 :: v_dual_mul_f32 v37, v44, v39
	s_delay_alu instid0(VALU_DEP_3) | instskip(NEXT) | instid1(VALU_DEP_3)
	v_add_f32_e32 v28, v28, v30
	v_dual_fma_f32 v31, v44, v36, -v31 :: v_dual_fmac_f32 v33, v45, v36
	s_delay_alu instid0(VALU_DEP_3) | instskip(NEXT) | instid1(VALU_DEP_2)
	v_dual_fma_f32 v35, v44, v38, -v35 :: v_dual_fmac_f32 v37, v45, v38
	v_dual_add_f32 v30, v47, v42 :: v_dual_add_f32 v24, v24, v31
	s_delay_alu instid0(VALU_DEP_3) | instskip(NEXT) | instid1(VALU_DEP_3)
	v_add_f32_e32 v26, v26, v33
	v_add_f32_e32 v2, v2, v35
	s_delay_alu instid0(VALU_DEP_4)
	v_add_f32_e32 v22, v22, v37
	s_barrier_signal -1
	s_barrier_wait -1
	s_cbranch_scc0 .LBB394_15
.LBB394_9:                              ;   Parent Loop BB394_6 Depth=1
                                        ; =>  This Inner Loop Header: Depth=2
	v_add_nc_u32_e32 v31, s25, v23
	s_delay_alu instid0(VALU_DEP_1) | instskip(SKIP_3) | instid1(SALU_CYCLE_1)
	v_cmp_le_i32_e32 vcc_lo, s5, v31
	s_or_b32 s27, s24, vcc_lo
	s_wait_xcnt 0x0
	s_and_saveexec_b32 s28, s27
	s_xor_b32 s27, exec_lo, s28
; %bb.10:                               ;   in Loop: Header=BB394_9 Depth=2
	ds_store_b32 v25, v3
; %bb.11:                               ;   in Loop: Header=BB394_9 Depth=2
	s_or_saveexec_b32 s27, s27
	v_dual_mov_b32 v36, 0 :: v_dual_mov_b32 v31, 0
	s_xor_b32 exec_lo, exec_lo, s27
	s_cbranch_execz .LBB394_13
; %bb.12:                               ;   in Loop: Header=BB394_9 Depth=2
	flat_load_b64 v[38:39], v[18:19] offset:-4
	s_wait_loadcnt_dscnt 0x0
	v_xor_b32_e32 v31, 0x80000000, v39
	ds_store_b32 v25, v38
.LBB394_13:                             ;   in Loop: Header=BB394_9 Depth=2
	s_wait_xcnt 0x0
	s_or_b32 exec_lo, exec_lo, s27
	v_dual_add_nc_u32 v33, s25, v0 :: v_dual_mov_b32 v37, 0
	ds_store_b32 v25, v31 offset:4
	v_cmp_gt_i32_e32 vcc_lo, s5, v33
	s_and_b32 s28, vcc_lo, s0
	s_delay_alu instid0(SALU_CYCLE_1)
	s_and_saveexec_b32 s27, s28
	s_cbranch_execz .LBB394_8
; %bb.14:                               ;   in Loop: Header=BB394_9 Depth=2
	flat_load_b64 v[36:37], v[20:21]
	s_branch .LBB394_8
.LBB394_15:                             ;   in Loop: Header=BB394_6 Depth=1
	s_wait_loadcnt 0x0
	v_add_nc_u64_e32 v[16:17], s[18:19], v[16:17]
	s_delay_alu instid0(VALU_DEP_1)
	v_lshl_add_u64 v[18:19], v[8:9], 3, v[16:17]
	s_and_saveexec_b32 s25, s33
	s_cbranch_execz .LBB394_20
; %bb.16:                               ;   in Loop: Header=BB394_6 Depth=1
	v_mov_b64_e32 v[20:21], s[8:9]
	v_mov_b64_e32 v[36:37], s[6:7]
	s_and_b32 vcc_lo, exec_lo, s31
	s_mov_b32 s27, -1
	s_delay_alu instid0(VALU_DEP_2) | instskip(NEXT) | instid1(VALU_DEP_1)
	v_pk_mul_f32 v[20:21], v[34:35], v[20:21] op_sel_hi:[0,1]
	v_pk_fma_f32 v[34:35], v[32:33], v[36:37], v[20:21] op_sel_hi:[0,1,1]
	v_pk_fma_f32 v[20:21], v[32:33], v[36:37], v[20:21] neg_lo:[0,0,1] neg_hi:[0,0,1]
	v_lshl_add_u64 v[32:33], v[4:5], 3, v[18:19]
	s_delay_alu instid0(VALU_DEP_3)
	v_mov_b32_e32 v21, v35
	s_cbranch_vccz .LBB394_18
; %bb.17:                               ;   in Loop: Header=BB394_6 Depth=1
	flat_load_b64 v[34:35], v[32:33]
	v_mov_b64_e32 v[36:37], s[20:21]
	v_mov_b64_e32 v[38:39], s[2:3]
	s_mov_b32 s27, 0
	s_wait_loadcnt_dscnt 0x0
	s_delay_alu instid0(VALU_DEP_2) | instskip(NEXT) | instid1(VALU_DEP_1)
	v_pk_mul_f32 v[36:37], v[34:35], v[36:37]
	v_pk_fma_f32 v[40:41], v[34:35], v[38:39], v[36:37] op_sel:[0,0,1] op_sel_hi:[1,1,0]
	v_pk_fma_f32 v[34:35], v[34:35], v[38:39], v[36:37] op_sel:[0,0,1] op_sel_hi:[1,1,0] neg_lo:[0,0,1] neg_hi:[0,0,1]
	s_delay_alu instid0(VALU_DEP_2) | instskip(NEXT) | instid1(VALU_DEP_1)
	v_mov_b32_e32 v35, v41
	v_pk_add_f32 v[34:35], v[20:21], v[34:35]
	flat_store_b64 v[32:33], v[34:35]
.LBB394_18:                             ;   in Loop: Header=BB394_6 Depth=1
	s_and_not1_b32 vcc_lo, exec_lo, s27
	s_cbranch_vccnz .LBB394_20
; %bb.19:                               ;   in Loop: Header=BB394_6 Depth=1
	flat_store_b64 v[32:33], v[20:21]
.LBB394_20:                             ;   in Loop: Header=BB394_6 Depth=1
	s_wait_xcnt 0x0
	s_or_b32 exec_lo, exec_lo, s25
	s_and_saveexec_b32 s25, s34
	s_cbranch_execz .LBB394_25
; %bb.21:                               ;   in Loop: Header=BB394_6 Depth=1
	v_mov_b64_e32 v[20:21], s[8:9]
	v_mov_b64_e32 v[32:33], s[6:7]
	v_lshl_add_u64 v[18:19], v[6:7], 3, v[18:19]
	s_and_not1_b32 vcc_lo, exec_lo, s31
	s_mov_b32 s27, -1
	s_delay_alu instid0(VALU_DEP_3) | instskip(NEXT) | instid1(VALU_DEP_1)
	v_pk_mul_f32 v[20:21], v[30:31], v[20:21] op_sel_hi:[0,1]
	v_pk_fma_f32 v[30:31], v[28:29], v[32:33], v[20:21] op_sel_hi:[0,1,1]
	v_pk_fma_f32 v[20:21], v[28:29], v[32:33], v[20:21] neg_lo:[0,0,1] neg_hi:[0,0,1]
	s_delay_alu instid0(VALU_DEP_2)
	v_mov_b32_e32 v21, v31
	s_cbranch_vccnz .LBB394_23
; %bb.22:                               ;   in Loop: Header=BB394_6 Depth=1
	flat_load_b64 v[30:31], v[18:19]
	v_mov_b64_e32 v[32:33], s[20:21]
	v_mov_b64_e32 v[34:35], s[2:3]
	s_mov_b32 s27, 0
	s_wait_loadcnt_dscnt 0x0
	s_delay_alu instid0(VALU_DEP_2) | instskip(NEXT) | instid1(VALU_DEP_1)
	v_pk_mul_f32 v[32:33], v[30:31], v[32:33]
	v_pk_fma_f32 v[36:37], v[30:31], v[34:35], v[32:33] op_sel:[0,0,1] op_sel_hi:[1,1,0]
	v_pk_fma_f32 v[30:31], v[30:31], v[34:35], v[32:33] op_sel:[0,0,1] op_sel_hi:[1,1,0] neg_lo:[0,0,1] neg_hi:[0,0,1]
	s_delay_alu instid0(VALU_DEP_2) | instskip(NEXT) | instid1(VALU_DEP_1)
	v_mov_b32_e32 v31, v37
	v_pk_add_f32 v[30:31], v[20:21], v[30:31]
	flat_store_b64 v[18:19], v[30:31]
.LBB394_23:                             ;   in Loop: Header=BB394_6 Depth=1
	s_and_not1_b32 vcc_lo, exec_lo, s27
	s_cbranch_vccnz .LBB394_25
; %bb.24:                               ;   in Loop: Header=BB394_6 Depth=1
	flat_store_b64 v[18:19], v[20:21]
.LBB394_25:                             ;   in Loop: Header=BB394_6 Depth=1
	s_wait_xcnt 0x0
	s_or_b32 exec_lo, exec_lo, s25
	v_lshl_add_u64 v[16:17], v[10:11], 3, v[16:17]
	s_and_saveexec_b32 s25, s1
	s_cbranch_execz .LBB394_30
; %bb.26:                               ;   in Loop: Header=BB394_6 Depth=1
	v_mov_b64_e32 v[18:19], s[8:9]
	v_mov_b64_e32 v[20:21], s[6:7]
	s_and_not1_b32 vcc_lo, exec_lo, s31
	s_mov_b32 s27, -1
	s_delay_alu instid0(VALU_DEP_2) | instskip(NEXT) | instid1(VALU_DEP_1)
	v_pk_mul_f32 v[18:19], v[26:27], v[18:19] op_sel_hi:[0,1]
	v_pk_fma_f32 v[30:31], v[24:25], v[20:21], v[18:19] op_sel_hi:[0,1,1]
	v_pk_fma_f32 v[18:19], v[24:25], v[20:21], v[18:19] neg_lo:[0,0,1] neg_hi:[0,0,1]
	v_lshl_add_u64 v[20:21], v[4:5], 3, v[16:17]
	s_delay_alu instid0(VALU_DEP_3)
	v_mov_b32_e32 v19, v31
	s_cbranch_vccnz .LBB394_28
; %bb.27:                               ;   in Loop: Header=BB394_6 Depth=1
	flat_load_b64 v[30:31], v[20:21]
	v_mov_b64_e32 v[32:33], s[20:21]
	v_mov_b64_e32 v[34:35], s[2:3]
	s_mov_b32 s27, 0
	s_wait_loadcnt_dscnt 0x0
	s_delay_alu instid0(VALU_DEP_2) | instskip(NEXT) | instid1(VALU_DEP_1)
	v_pk_mul_f32 v[32:33], v[30:31], v[32:33]
	v_pk_fma_f32 v[36:37], v[30:31], v[34:35], v[32:33] op_sel:[0,0,1] op_sel_hi:[1,1,0]
	v_pk_fma_f32 v[30:31], v[30:31], v[34:35], v[32:33] op_sel:[0,0,1] op_sel_hi:[1,1,0] neg_lo:[0,0,1] neg_hi:[0,0,1]
	s_delay_alu instid0(VALU_DEP_2) | instskip(NEXT) | instid1(VALU_DEP_1)
	v_mov_b32_e32 v31, v37
	v_pk_add_f32 v[30:31], v[18:19], v[30:31]
	flat_store_b64 v[20:21], v[30:31]
.LBB394_28:                             ;   in Loop: Header=BB394_6 Depth=1
	s_and_not1_b32 vcc_lo, exec_lo, s27
	s_cbranch_vccnz .LBB394_30
; %bb.29:                               ;   in Loop: Header=BB394_6 Depth=1
	flat_store_b64 v[20:21], v[18:19]
.LBB394_30:                             ;   in Loop: Header=BB394_6 Depth=1
	s_wait_xcnt 0x0
	s_or_b32 exec_lo, exec_lo, s25
	s_and_saveexec_b32 s25, s4
	s_cbranch_execz .LBB394_5
; %bb.31:                               ;   in Loop: Header=BB394_6 Depth=1
	v_mov_b64_e32 v[18:19], s[8:9]
	v_mov_b64_e32 v[20:21], s[6:7]
	v_lshl_add_u64 v[16:17], v[6:7], 3, v[16:17]
	s_and_not1_b32 vcc_lo, exec_lo, s31
	s_mov_b32 s27, -1
	s_delay_alu instid0(VALU_DEP_3) | instskip(NEXT) | instid1(VALU_DEP_1)
	v_pk_mul_f32 v[18:19], v[22:23], v[18:19] op_sel_hi:[0,1]
	v_pk_fma_f32 v[30:31], v[2:3], v[20:21], v[18:19] op_sel_hi:[0,1,1]
	v_pk_fma_f32 v[18:19], v[2:3], v[20:21], v[18:19] neg_lo:[0,0,1] neg_hi:[0,0,1]
	s_delay_alu instid0(VALU_DEP_2)
	v_mov_b32_e32 v19, v31
	s_cbranch_vccnz .LBB394_33
; %bb.32:                               ;   in Loop: Header=BB394_6 Depth=1
	flat_load_b64 v[20:21], v[16:17]
	v_mov_b64_e32 v[30:31], s[20:21]
	v_mov_b64_e32 v[32:33], s[2:3]
	s_mov_b32 s27, 0
	s_wait_loadcnt_dscnt 0x0
	s_delay_alu instid0(VALU_DEP_2) | instskip(NEXT) | instid1(VALU_DEP_1)
	v_pk_mul_f32 v[30:31], v[20:21], v[30:31]
	v_pk_fma_f32 v[34:35], v[20:21], v[32:33], v[30:31] op_sel:[0,0,1] op_sel_hi:[1,1,0]
	v_pk_fma_f32 v[20:21], v[20:21], v[32:33], v[30:31] op_sel:[0,0,1] op_sel_hi:[1,1,0] neg_lo:[0,0,1] neg_hi:[0,0,1]
	s_delay_alu instid0(VALU_DEP_2) | instskip(NEXT) | instid1(VALU_DEP_1)
	v_mov_b32_e32 v21, v35
	v_pk_add_f32 v[20:21], v[18:19], v[20:21]
	flat_store_b64 v[16:17], v[20:21]
.LBB394_33:                             ;   in Loop: Header=BB394_6 Depth=1
	s_and_not1_b32 vcc_lo, exec_lo, s27
	s_cbranch_vccnz .LBB394_5
; %bb.34:                               ;   in Loop: Header=BB394_6 Depth=1
	flat_store_b64 v[16:17], v[18:19]
	s_branch .LBB394_5
.LBB394_35:
	s_sendmsg sendmsg(MSG_DEALLOC_VGPRS)
	s_endpgm
	.section	.rodata,"a",@progbits
	.p2align	6, 0x0
	.amdhsa_kernel _ZL29rocblas_internal_gemmt_kernelIiLi16ELi32ELi8ELc67ELc84ELc76ELb1ELb0E19rocblas_complex_numIfES1_PKPKS1_PKPS1_EviT_T9_T10_S9_lSB_S9_lSA_T11_S9_li
		.amdhsa_group_segment_fixed_size 4096
		.amdhsa_private_segment_fixed_size 0
		.amdhsa_kernarg_size 100
		.amdhsa_user_sgpr_count 2
		.amdhsa_user_sgpr_dispatch_ptr 0
		.amdhsa_user_sgpr_queue_ptr 0
		.amdhsa_user_sgpr_kernarg_segment_ptr 1
		.amdhsa_user_sgpr_dispatch_id 0
		.amdhsa_user_sgpr_kernarg_preload_length 0
		.amdhsa_user_sgpr_kernarg_preload_offset 0
		.amdhsa_user_sgpr_private_segment_size 0
		.amdhsa_wavefront_size32 1
		.amdhsa_uses_dynamic_stack 0
		.amdhsa_enable_private_segment 0
		.amdhsa_system_sgpr_workgroup_id_x 1
		.amdhsa_system_sgpr_workgroup_id_y 1
		.amdhsa_system_sgpr_workgroup_id_z 1
		.amdhsa_system_sgpr_workgroup_info 0
		.amdhsa_system_vgpr_workitem_id 1
		.amdhsa_next_free_vgpr 71
		.amdhsa_next_free_sgpr 38
		.amdhsa_named_barrier_count 0
		.amdhsa_reserve_vcc 1
		.amdhsa_float_round_mode_32 0
		.amdhsa_float_round_mode_16_64 0
		.amdhsa_float_denorm_mode_32 3
		.amdhsa_float_denorm_mode_16_64 3
		.amdhsa_fp16_overflow 0
		.amdhsa_memory_ordered 1
		.amdhsa_forward_progress 1
		.amdhsa_inst_pref_size 26
		.amdhsa_round_robin_scheduling 0
		.amdhsa_exception_fp_ieee_invalid_op 0
		.amdhsa_exception_fp_denorm_src 0
		.amdhsa_exception_fp_ieee_div_zero 0
		.amdhsa_exception_fp_ieee_overflow 0
		.amdhsa_exception_fp_ieee_underflow 0
		.amdhsa_exception_fp_ieee_inexact 0
		.amdhsa_exception_int_div_zero 0
	.end_amdhsa_kernel
	.section	.text._ZL29rocblas_internal_gemmt_kernelIiLi16ELi32ELi8ELc67ELc84ELc76ELb1ELb0E19rocblas_complex_numIfES1_PKPKS1_PKPS1_EviT_T9_T10_S9_lSB_S9_lSA_T11_S9_li,"axG",@progbits,_ZL29rocblas_internal_gemmt_kernelIiLi16ELi32ELi8ELc67ELc84ELc76ELb1ELb0E19rocblas_complex_numIfES1_PKPKS1_PKPS1_EviT_T9_T10_S9_lSB_S9_lSA_T11_S9_li,comdat
.Lfunc_end394:
	.size	_ZL29rocblas_internal_gemmt_kernelIiLi16ELi32ELi8ELc67ELc84ELc76ELb1ELb0E19rocblas_complex_numIfES1_PKPKS1_PKPS1_EviT_T9_T10_S9_lSB_S9_lSA_T11_S9_li, .Lfunc_end394-_ZL29rocblas_internal_gemmt_kernelIiLi16ELi32ELi8ELc67ELc84ELc76ELb1ELb0E19rocblas_complex_numIfES1_PKPKS1_PKPS1_EviT_T9_T10_S9_lSB_S9_lSA_T11_S9_li
                                        ; -- End function
	.set _ZL29rocblas_internal_gemmt_kernelIiLi16ELi32ELi8ELc67ELc84ELc76ELb1ELb0E19rocblas_complex_numIfES1_PKPKS1_PKPS1_EviT_T9_T10_S9_lSB_S9_lSA_T11_S9_li.num_vgpr, 71
	.set _ZL29rocblas_internal_gemmt_kernelIiLi16ELi32ELi8ELc67ELc84ELc76ELb1ELb0E19rocblas_complex_numIfES1_PKPKS1_PKPS1_EviT_T9_T10_S9_lSB_S9_lSA_T11_S9_li.num_agpr, 0
	.set _ZL29rocblas_internal_gemmt_kernelIiLi16ELi32ELi8ELc67ELc84ELc76ELb1ELb0E19rocblas_complex_numIfES1_PKPKS1_PKPS1_EviT_T9_T10_S9_lSB_S9_lSA_T11_S9_li.numbered_sgpr, 38
	.set _ZL29rocblas_internal_gemmt_kernelIiLi16ELi32ELi8ELc67ELc84ELc76ELb1ELb0E19rocblas_complex_numIfES1_PKPKS1_PKPS1_EviT_T9_T10_S9_lSB_S9_lSA_T11_S9_li.num_named_barrier, 0
	.set _ZL29rocblas_internal_gemmt_kernelIiLi16ELi32ELi8ELc67ELc84ELc76ELb1ELb0E19rocblas_complex_numIfES1_PKPKS1_PKPS1_EviT_T9_T10_S9_lSB_S9_lSA_T11_S9_li.private_seg_size, 0
	.set _ZL29rocblas_internal_gemmt_kernelIiLi16ELi32ELi8ELc67ELc84ELc76ELb1ELb0E19rocblas_complex_numIfES1_PKPKS1_PKPS1_EviT_T9_T10_S9_lSB_S9_lSA_T11_S9_li.uses_vcc, 1
	.set _ZL29rocblas_internal_gemmt_kernelIiLi16ELi32ELi8ELc67ELc84ELc76ELb1ELb0E19rocblas_complex_numIfES1_PKPKS1_PKPS1_EviT_T9_T10_S9_lSB_S9_lSA_T11_S9_li.uses_flat_scratch, 0
	.set _ZL29rocblas_internal_gemmt_kernelIiLi16ELi32ELi8ELc67ELc84ELc76ELb1ELb0E19rocblas_complex_numIfES1_PKPKS1_PKPS1_EviT_T9_T10_S9_lSB_S9_lSA_T11_S9_li.has_dyn_sized_stack, 0
	.set _ZL29rocblas_internal_gemmt_kernelIiLi16ELi32ELi8ELc67ELc84ELc76ELb1ELb0E19rocblas_complex_numIfES1_PKPKS1_PKPS1_EviT_T9_T10_S9_lSB_S9_lSA_T11_S9_li.has_recursion, 0
	.set _ZL29rocblas_internal_gemmt_kernelIiLi16ELi32ELi8ELc67ELc84ELc76ELb1ELb0E19rocblas_complex_numIfES1_PKPKS1_PKPS1_EviT_T9_T10_S9_lSB_S9_lSA_T11_S9_li.has_indirect_call, 0
	.section	.AMDGPU.csdata,"",@progbits
; Kernel info:
; codeLenInByte = 3292
; TotalNumSgprs: 40
; NumVgprs: 71
; ScratchSize: 0
; MemoryBound: 0
; FloatMode: 240
; IeeeMode: 1
; LDSByteSize: 4096 bytes/workgroup (compile time only)
; SGPRBlocks: 0
; VGPRBlocks: 4
; NumSGPRsForWavesPerEU: 40
; NumVGPRsForWavesPerEU: 71
; NamedBarCnt: 0
; Occupancy: 12
; WaveLimiterHint : 1
; COMPUTE_PGM_RSRC2:SCRATCH_EN: 0
; COMPUTE_PGM_RSRC2:USER_SGPR: 2
; COMPUTE_PGM_RSRC2:TRAP_HANDLER: 0
; COMPUTE_PGM_RSRC2:TGID_X_EN: 1
; COMPUTE_PGM_RSRC2:TGID_Y_EN: 1
; COMPUTE_PGM_RSRC2:TGID_Z_EN: 1
; COMPUTE_PGM_RSRC2:TIDIG_COMP_CNT: 1
	.section	.text._ZL29rocblas_internal_gemmt_kernelIiLi16ELi32ELi8ELc67ELc67ELc76ELb1ELb1E19rocblas_complex_numIfES1_PKPKS1_PKPS1_EviT_T9_T10_S9_lSB_S9_lSA_T11_S9_li,"axG",@progbits,_ZL29rocblas_internal_gemmt_kernelIiLi16ELi32ELi8ELc67ELc67ELc76ELb1ELb1E19rocblas_complex_numIfES1_PKPKS1_PKPS1_EviT_T9_T10_S9_lSB_S9_lSA_T11_S9_li,comdat
	.globl	_ZL29rocblas_internal_gemmt_kernelIiLi16ELi32ELi8ELc67ELc67ELc76ELb1ELb1E19rocblas_complex_numIfES1_PKPKS1_PKPS1_EviT_T9_T10_S9_lSB_S9_lSA_T11_S9_li ; -- Begin function _ZL29rocblas_internal_gemmt_kernelIiLi16ELi32ELi8ELc67ELc67ELc76ELb1ELb1E19rocblas_complex_numIfES1_PKPKS1_PKPS1_EviT_T9_T10_S9_lSB_S9_lSA_T11_S9_li
	.p2align	8
	.type	_ZL29rocblas_internal_gemmt_kernelIiLi16ELi32ELi8ELc67ELc67ELc76ELb1ELb1E19rocblas_complex_numIfES1_PKPKS1_PKPS1_EviT_T9_T10_S9_lSB_S9_lSA_T11_S9_li,@function
_ZL29rocblas_internal_gemmt_kernelIiLi16ELi32ELi8ELc67ELc67ELc76ELb1ELb1E19rocblas_complex_numIfES1_PKPKS1_PKPS1_EviT_T9_T10_S9_lSB_S9_lSA_T11_S9_li: ; @_ZL29rocblas_internal_gemmt_kernelIiLi16ELi32ELi8ELc67ELc67ELc76ELb1ELb1E19rocblas_complex_numIfES1_PKPKS1_PKPS1_EviT_T9_T10_S9_lSB_S9_lSA_T11_S9_li
; %bb.0:
	s_clause 0x1
	s_load_b64 s[6:7], s[0:1], 0x40
	s_load_b128 s[8:11], s[0:1], 0x0
	s_wait_kmcnt 0x0
	s_cmp_neq_f32 s6, 1.0
	s_cselect_b32 s2, -1, 0
	s_and_b32 s3, s7, 0x7fffffff
	s_delay_alu instid0(SALU_CYCLE_1) | instskip(SKIP_3) | instid1(SALU_CYCLE_1)
	s_cmp_eq_u32 s3, 0
	s_cselect_b32 s23, -1, 0
	s_cmp_lg_u32 s3, 0
	s_cselect_b32 s3, -1, 0
	s_or_b32 s2, s2, s3
	s_delay_alu instid0(SALU_CYCLE_1)
	s_and_b32 vcc_lo, exec_lo, s2
	s_cbranch_vccnz .LBB395_2
; %bb.1:
	s_cmp_lg_u32 s9, 0
	s_cselect_b32 s2, -1, 0
	s_cmp_neq_f32 s10, 0
	s_cselect_b32 s3, -1, 0
	s_cmp_neq_f32 s11, 0
	s_cselect_b32 s4, -1, 0
	s_delay_alu instid0(SALU_CYCLE_1) | instskip(NEXT) | instid1(SALU_CYCLE_1)
	s_or_b32 s3, s3, s4
	s_and_b32 s2, s2, s3
.LBB395_2:
	s_delay_alu instid0(SALU_CYCLE_1)
	s_and_not1_b32 vcc_lo, exec_lo, s2
	s_cbranch_vccnz .LBB395_37
; %bb.3:
	s_load_b32 s19, s[0:1], 0x60
	s_bfe_u32 s2, ttmp6, 0x40014
	s_lshr_b32 s3, ttmp7, 16
	s_add_co_i32 s2, s2, 1
	s_bfe_u32 s5, ttmp6, 0x40008
	s_mul_i32 s4, s3, s2
	s_getreg_b32 s2, hwreg(HW_REG_IB_STS2, 6, 4)
	s_add_co_i32 s5, s5, s4
	s_cmp_eq_u32 s2, 0
	s_mov_b32 s25, 0
	s_cselect_b32 s24, s3, s5
	s_wait_kmcnt 0x0
	s_cmp_ge_u32 s24, s19
	s_cbranch_scc1 .LBB395_37
; %bb.4:
	s_clause 0x2
	s_load_b96 s[16:18], s[0:1], 0x10
	s_load_b32 s26, s[0:1], 0x30
	s_load_b96 s[20:22], s[0:1], 0x48
	v_and_b32_e32 v2, 0x3ff, v0
	v_bfe_u32 v6, v0, 10, 10
	s_clause 0x2
	s_load_b128 s[12:15], s[0:1], 0x20
	s_load_b64 s[30:31], s[0:1], 0x38
	s_load_b64 s[28:29], s[0:1], 0x58
	s_wait_xcnt 0x0
	s_bfe_u32 s1, ttmp6, 0x4000c
	s_bfe_u32 s3, ttmp6, 0x40010
	s_and_b32 s4, ttmp7, 0xffff
	s_add_co_i32 s1, s1, 1
	s_add_co_i32 s3, s3, 1
	v_lshl_add_u32 v1, v6, 4, v2
	s_and_b32 s0, ttmp6, 15
	s_bfe_u32 s33, ttmp6, 0x40004
	s_mul_i32 s1, ttmp9, s1
	s_mul_i32 s34, s4, s3
	s_add_co_i32 s0, s0, s1
	s_add_co_i32 s33, s33, s34
	v_dual_lshrrev_b32 v23, 5, v1 :: v_dual_bitop2_b32 v0, 7, v0 bitop3:0x40
	s_wait_kmcnt 0x0
	s_ashr_i32 s3, s18, 31
	s_ashr_i32 s27, s26, 31
	s_ashr_i32 s5, s22, 31
	s_cmp_eq_u32 s2, 0
	v_dual_lshrrev_b32 v5, 3, v1 :: v_dual_bitop2_b32 v1, 31, v1 bitop3:0x40
	s_cselect_b32 s0, ttmp9, s0
	s_cselect_b32 s1, s4, s33
	s_lshl_b32 s33, s0, 5
	s_delay_alu instid0(VALU_DEP_1) | instid1(SALU_CYCLE_1)
	v_dual_mov_b32 v3, 0 :: v_dual_bitop2_b32 v4, s33, v1 bitop3:0x54
	s_lshl_b32 s1, s1, 5
	s_delay_alu instid0(SALU_CYCLE_1) | instskip(NEXT) | instid1(VALU_DEP_2)
	v_dual_lshlrev_b32 v7, 3, v0 :: v_dual_add_nc_u32 v12, s1, v5
	v_dual_mov_b32 v1, v3 :: v_dual_lshlrev_b32 v8, 3, v1
	v_add_nc_u32_e32 v16, s1, v6
	s_delay_alu instid0(VALU_DEP_3) | instskip(SKIP_4) | instid1(VALU_DEP_3)
	v_lshl_or_b32 v7, v5, 6, v7
	v_ashrrev_i32_e32 v5, 31, v4
	s_mov_b32 s2, s18
	v_mul_u64_e32 v[14:15], s[26:27], v[0:1]
	v_dual_add_nc_u32 v20, 16, v16 :: v_dual_ashrrev_i32 v17, 31, v16
	v_mul_u64_e32 v[18:19], s[2:3], v[4:5]
	s_cmp_neq_f32 s10, 0
	v_cmp_gt_i32_e32 vcc_lo, s8, v4
	s_delay_alu instid0(VALU_DEP_3)
	v_dual_add_nc_u32 v4, s33, v2 :: v_dual_ashrrev_i32 v21, 31, v20
	s_cselect_b32 s0, -1, 0
	s_cmp_neq_f32 s11, 0
	s_mov_b32 s4, s22
	v_add_nc_u32_e32 v1, 0x800, v7
	v_lshl_add_u32 v29, v6, 6, 0x800
	s_cselect_b32 s18, -1, 0
	v_mul_u64_e32 v[6:7], s[4:5], v[16:17]
	v_mul_u64_e32 v[10:11], s[4:5], v[20:21]
	s_or_b32 s34, s0, s18
	s_cmp_gt_i32 s9, 0
	v_lshl_or_b32 v25, v23, 8, v8
	s_cselect_b32 s35, -1, 0
	s_cmp_neq_f32 s6, 0
	v_dual_add_nc_u32 v8, 16, v4 :: v_dual_ashrrev_i32 v5, 31, v4
	v_dual_ashrrev_i32 v13, 31, v12 :: v_dual_lshlrev_b32 v27, 3, v2
	s_cselect_b32 s3, -1, 0
	s_xor_b32 s18, s23, -1
	s_delay_alu instid0(VALU_DEP_2)
	v_cmp_gt_i32_e64 s4, s8, v8
	s_or_b32 s18, s3, s18
	v_cmp_le_i32_e64 s3, v16, v8
	v_cmp_le_i32_e64 s5, v20, v8
	;; [unrolled: 1-line block ×3, first 2 shown]
	v_cmp_gt_i32_e64 s2, s8, v4
	v_dual_ashrrev_i32 v9, 31, v8 :: v_dual_lshlrev_b32 v2, 3, v23
	s_and_b32 s22, s3, s4
	s_and_b32 s33, s5, s4
	s_lshl_b64 s[4:5], s[30:31], 3
	v_cmp_gt_i32_e64 s0, s8, v12
	v_lshl_add_u64 v[14:15], v[14:15], 3, s[4:5]
	s_lshl_b64 s[4:5], s[12:13], 3
	s_and_b32 s8, s1, s2
	v_lshl_add_u64 v[16:17], v[18:19], 3, s[4:5]
	v_cmp_le_i32_e64 s1, v20, v4
	v_lshl_add_u64 v[12:13], v[12:13], 3, v[14:15]
	s_mov_b32 s3, s6
	s_mov_b32 s4, s11
	v_add_nc_u64_e32 v[14:15], v[16:17], v[2:3]
	s_and_b32 s23, s1, s2
	v_or_b32_e32 v12, 4, v12
	s_mov_b32 s2, s6
	s_mov_b32 s6, s7
	;; [unrolled: 1-line block ×3, first 2 shown]
	s_lshl_b64 s[12:13], s[26:27], 6
	s_and_b32 s26, s34, s35
	s_xor_b32 s27, vcc_lo, -1
	s_xor_b32 s30, s0, -1
	s_lshl_b64 s[0:1], s[28:29], 3
	s_branch .LBB395_6
.LBB395_5:                              ;   in Loop: Header=BB395_6 Depth=1
	s_wait_xcnt 0x0
	s_or_b32 exec_lo, exec_lo, s28
	s_add_co_i32 s24, s24, 0x10000
	s_delay_alu instid0(SALU_CYCLE_1)
	s_cmp_lt_u32 s24, s19
	s_cbranch_scc0 .LBB395_37
.LBB395_6:                              ; =>This Loop Header: Depth=1
                                        ;     Child Loop BB395_9 Depth 2
	v_dual_mov_b32 v2, s24 :: v_dual_mov_b32 v32, 0
	v_dual_mov_b32 v34, 0 :: v_dual_mov_b32 v28, 0
	;; [unrolled: 1-line block ×3, first 2 shown]
	global_load_b64 v[16:17], v2, s[20:21] scale_offset
	s_wait_xcnt 0x0
	v_dual_mov_b32 v26, 0 :: v_dual_mov_b32 v2, 0
	v_mov_b32_e32 v22, 0
	s_and_not1_b32 vcc_lo, exec_lo, s26
	s_cbranch_vccnz .LBB395_17
; %bb.7:                                ;   in Loop: Header=BB395_6 Depth=1
	s_lshl_b64 s[28:29], s[24:25], 3
	v_dual_mov_b32 v22, 0 :: v_dual_mov_b32 v2, 0
	s_add_nc_u64 s[34:35], s[16:17], s[28:29]
	s_add_nc_u64 s[28:29], s[14:15], s[28:29]
	s_clause 0x1
	global_load_b64 v[18:19], v3, s[34:35]
	global_load_b64 v[20:21], v3, s[28:29]
	v_dual_mov_b32 v26, 0 :: v_dual_mov_b32 v24, 0
	v_dual_mov_b32 v30, 0 :: v_dual_mov_b32 v28, 0
	;; [unrolled: 1-line block ×3, first 2 shown]
	s_wait_xcnt 0x0
	s_mov_b32 s28, 0
	s_wait_loadcnt 0x1
	v_add_nc_u64_e32 v[18:19], v[18:19], v[14:15]
	s_wait_loadcnt 0x0
	v_add_nc_u64_e32 v[20:21], v[20:21], v[12:13]
	s_branch .LBB395_9
.LBB395_8:                              ;   in Loop: Header=BB395_9 Depth=2
	s_wait_xcnt 0x0
	s_or_b32 exec_lo, exec_lo, s29
	ds_store_b32 v1, v31 offset:4
	s_wait_dscnt 0x0
	s_barrier_signal -1
	s_barrier_wait -1
	ds_load_b128 v[36:39], v29
	ds_load_2addr_b64 v[40:43], v27 offset1:16
	ds_load_b128 v[44:47], v29 offset:1024
	ds_load_b128 v[48:51], v29 offset:16
	ds_load_2addr_b64 v[52:55], v27 offset0:32 offset1:48
	ds_load_b128 v[56:59], v29 offset:32
	ds_load_b128 v[60:63], v29 offset:48
	;; [unrolled: 1-line block ×3, first 2 shown]
	v_add_nc_u64_e32 v[18:19], 64, v[18:19]
	v_add_nc_u64_e32 v[20:21], s[12:13], v[20:21]
	s_add_co_i32 s28, s28, 8
	s_delay_alu instid0(SALU_CYCLE_1)
	s_cmp_lt_i32 s28, s9
	s_wait_dscnt 0x6
	v_dual_mul_f32 v31, v37, v41 :: v_dual_mul_f32 v33, v36, v41
	v_dual_mul_f32 v35, v37, v43 :: v_dual_mul_f32 v68, v36, v43
	s_wait_dscnt 0x5
	v_dual_mul_f32 v69, v45, v41 :: v_dual_mul_f32 v41, v44, v41
	v_dual_mul_f32 v70, v45, v43 :: v_dual_mul_f32 v43, v44, v43
	v_dual_fma_f32 v31, v36, v40, -v31 :: v_dual_fmac_f32 v33, v37, v40
	v_dual_fma_f32 v35, v36, v42, -v35 :: v_dual_fmac_f32 v68, v37, v42
	s_delay_alu instid0(VALU_DEP_3) | instskip(NEXT) | instid1(VALU_DEP_3)
	v_dual_fma_f32 v36, v44, v40, -v69 :: v_dual_fma_f32 v37, v44, v42, -v70
	v_dual_fmac_f32 v41, v45, v40 :: v_dual_add_f32 v40, v32, v31
	s_delay_alu instid0(VALU_DEP_3) | instskip(NEXT) | instid1(VALU_DEP_4)
	v_dual_add_f32 v34, v34, v33 :: v_dual_add_f32 v28, v28, v35
	v_add_f32_e32 v35, v30, v68
	s_delay_alu instid0(VALU_DEP_3)
	v_dual_add_f32 v24, v24, v36 :: v_dual_add_f32 v26, v26, v41
	s_wait_dscnt 0x3
	v_mul_f32_e32 v36, v39, v53
	ds_load_2addr_b64 v[30:33], v27 offset0:64 offset1:80
	v_dual_fmac_f32 v43, v45, v42 :: v_dual_add_f32 v2, v2, v37
	v_dual_mul_f32 v37, v38, v53 :: v_dual_fma_f32 v36, v38, v52, -v36
	v_mul_f32_e32 v41, v39, v55
	s_delay_alu instid0(VALU_DEP_2) | instskip(NEXT) | instid1(VALU_DEP_3)
	v_dual_add_f32 v22, v22, v43 :: v_dual_fmac_f32 v37, v39, v52
	v_dual_mul_f32 v42, v38, v55 :: v_dual_add_f32 v40, v40, v36
	s_delay_alu instid0(VALU_DEP_3) | instskip(NEXT) | instid1(VALU_DEP_2)
	v_dual_fma_f32 v36, v38, v54, -v41 :: v_dual_mul_f32 v38, v47, v53
	v_dual_add_f32 v41, v34, v37 :: v_dual_fmac_f32 v42, v39, v54
	s_delay_alu instid0(VALU_DEP_2) | instskip(NEXT) | instid1(VALU_DEP_3)
	v_dual_mul_f32 v34, v46, v53 :: v_dual_add_f32 v28, v28, v36
	v_dual_mul_f32 v37, v47, v55 :: v_dual_fma_f32 v36, v46, v52, -v38
	s_delay_alu instid0(VALU_DEP_3) | instskip(NEXT) | instid1(VALU_DEP_3)
	v_add_f32_e32 v38, v35, v42
	v_dual_fmac_f32 v34, v47, v52 :: v_dual_mul_f32 v39, v46, v55
	s_delay_alu instid0(VALU_DEP_3) | instskip(SKIP_1) | instid1(VALU_DEP_2)
	v_dual_fma_f32 v35, v46, v54, -v37 :: v_dual_add_f32 v24, v24, v36
	s_wait_dscnt 0x0
	v_dual_mul_f32 v36, v49, v31 :: v_dual_add_f32 v26, v26, v34
	s_delay_alu instid0(VALU_DEP_3) | instskip(NEXT) | instid1(VALU_DEP_2)
	v_dual_fmac_f32 v39, v47, v54 :: v_dual_mul_f32 v42, v48, v31
	v_dual_add_f32 v2, v2, v35 :: v_dual_fma_f32 v43, v48, v30, -v36
	v_mul_f32_e32 v44, v49, v33
	ds_load_2addr_b64 v[34:37], v27 offset0:96 offset1:112
	v_dual_fmac_f32 v42, v49, v30 :: v_dual_add_f32 v22, v22, v39
	v_add_f32_e32 v39, v40, v43
	v_dual_fma_f32 v43, v48, v32, -v44 :: v_dual_mul_f32 v40, v48, v33
	s_delay_alu instid0(VALU_DEP_3) | instskip(SKIP_1) | instid1(VALU_DEP_3)
	v_add_f32_e32 v41, v41, v42
	v_dual_mul_f32 v42, v65, v31 :: v_dual_mul_f32 v31, v64, v31
	v_dual_add_f32 v28, v28, v43 :: v_dual_mul_f32 v43, v65, v33
	s_delay_alu instid0(VALU_DEP_2) | instskip(NEXT) | instid1(VALU_DEP_3)
	v_dual_fmac_f32 v40, v49, v32 :: v_dual_fma_f32 v42, v64, v30, -v42
	v_dual_fmac_f32 v31, v65, v30 :: v_dual_mul_f32 v44, v64, v33
	s_delay_alu instid0(VALU_DEP_3) | instskip(NEXT) | instid1(VALU_DEP_3)
	v_fma_f32 v30, v64, v32, -v43
	v_dual_add_f32 v45, v38, v40 :: v_dual_add_f32 v24, v24, v42
	s_delay_alu instid0(VALU_DEP_3) | instskip(SKIP_1) | instid1(VALU_DEP_3)
	v_dual_add_f32 v26, v26, v31 :: v_dual_fmac_f32 v44, v65, v32
	s_wait_dscnt 0x0
	v_dual_mul_f32 v38, v51, v35 :: v_dual_add_f32 v2, v2, v30
	ds_load_2addr_b64 v[30:33], v27 offset0:128 offset1:144
	v_dual_mul_f32 v40, v50, v35 :: v_dual_mul_f32 v42, v51, v37
	v_dual_fma_f32 v38, v50, v34, -v38 :: v_dual_mul_f32 v43, v50, v37
	s_delay_alu instid0(VALU_DEP_2) | instskip(NEXT) | instid1(VALU_DEP_2)
	v_dual_fmac_f32 v40, v51, v34 :: v_dual_add_f32 v22, v22, v44
	v_dual_add_f32 v44, v39, v38 :: v_dual_fma_f32 v42, v50, v36, -v42
	s_delay_alu instid0(VALU_DEP_2) | instskip(NEXT) | instid1(VALU_DEP_4)
	v_dual_mul_f32 v38, v67, v35 :: v_dual_add_f32 v46, v41, v40
	v_dual_fmac_f32 v43, v51, v36 :: v_dual_mul_f32 v35, v66, v35
	s_delay_alu instid0(VALU_DEP_3) | instskip(NEXT) | instid1(VALU_DEP_3)
	v_add_f32_e32 v28, v28, v42
	v_dual_fma_f32 v42, v66, v34, -v38 :: v_dual_mul_f32 v47, v67, v37
	s_delay_alu instid0(VALU_DEP_3)
	v_add_f32_e32 v48, v45, v43
	ds_load_b128 v[38:41], v29 offset:1056
	v_dual_fmac_f32 v35, v67, v34 :: v_dual_mul_f32 v43, v66, v37
	v_dual_fma_f32 v34, v66, v36, -v47 :: v_dual_add_f32 v24, v24, v42
	s_wait_dscnt 0x1
	v_dual_mul_f32 v37, v57, v31 :: v_dual_mul_f32 v47, v56, v31
	s_delay_alu instid0(VALU_DEP_3) | instskip(NEXT) | instid1(VALU_DEP_3)
	v_dual_fmac_f32 v43, v67, v36 :: v_dual_add_f32 v26, v26, v35
	v_add_f32_e32 v2, v2, v34
	s_delay_alu instid0(VALU_DEP_3) | instskip(SKIP_4) | instid1(VALU_DEP_3)
	v_fma_f32 v42, v56, v30, -v37
	ds_load_2addr_b64 v[34:37], v27 offset0:160 offset1:176
	v_dual_mul_f32 v45, v57, v33 :: v_dual_add_f32 v22, v22, v43
	v_dual_fmac_f32 v47, v57, v30 :: v_dual_mul_f32 v50, v56, v33
	v_add_f32_e32 v49, v44, v42
	v_fma_f32 v51, v56, v32, -v45
	ds_load_b128 v[42:45], v29 offset:1072
	v_add_f32_e32 v46, v46, v47
	s_wait_dscnt 0x2
	v_dual_mul_f32 v52, v39, v31 :: v_dual_fmac_f32 v50, v57, v32
	v_mul_f32_e32 v31, v38, v31
	v_dual_add_f32 v28, v28, v51 :: v_dual_mul_f32 v51, v39, v33
	s_delay_alu instid0(VALU_DEP_3) | instskip(NEXT) | instid1(VALU_DEP_4)
	v_fma_f32 v47, v38, v30, -v52
	v_add_f32_e32 v48, v48, v50
	s_delay_alu instid0(VALU_DEP_4) | instskip(NEXT) | instid1(VALU_DEP_3)
	v_dual_fmac_f32 v31, v39, v30 :: v_dual_mul_f32 v50, v38, v33
	v_dual_fma_f32 v30, v38, v32, -v51 :: v_dual_add_f32 v24, v24, v47
	s_wait_dscnt 0x1
	v_dual_mul_f32 v33, v59, v35 :: v_dual_mul_f32 v38, v58, v35
	s_delay_alu instid0(VALU_DEP_3) | instskip(NEXT) | instid1(VALU_DEP_3)
	v_dual_add_f32 v26, v26, v31 :: v_dual_fmac_f32 v50, v39, v32
	v_dual_add_f32 v2, v2, v30 :: v_dual_mul_f32 v47, v59, v37
	s_delay_alu instid0(VALU_DEP_3)
	v_dual_fma_f32 v39, v58, v34, -v33 :: v_dual_fmac_f32 v38, v59, v34
	ds_load_2addr_b64 v[30:33], v27 offset0:192 offset1:208
	v_add_f32_e32 v22, v22, v50
	v_dual_fma_f32 v47, v58, v36, -v47 :: v_dual_add_f32 v49, v49, v39
	v_mul_f32_e32 v39, v58, v37
	v_dual_add_f32 v46, v46, v38 :: v_dual_mul_f32 v38, v41, v35
	v_mul_f32_e32 v35, v40, v35
	s_delay_alu instid0(VALU_DEP_4) | instskip(NEXT) | instid1(VALU_DEP_3)
	v_dual_add_f32 v28, v28, v47 :: v_dual_mul_f32 v47, v41, v37
	v_dual_fmac_f32 v39, v59, v36 :: v_dual_fma_f32 v38, v40, v34, -v38
	s_delay_alu instid0(VALU_DEP_1) | instskip(NEXT) | instid1(VALU_DEP_3)
	v_dual_fmac_f32 v35, v41, v34 :: v_dual_add_f32 v34, v48, v39
	v_dual_mul_f32 v48, v40, v37 :: v_dual_fma_f32 v37, v40, v36, -v47
	s_delay_alu instid0(VALU_DEP_2) | instskip(SKIP_2) | instid1(VALU_DEP_3)
	v_dual_add_f32 v24, v24, v38 :: v_dual_add_f32 v26, v26, v35
	s_wait_dscnt 0x0
	v_mul_f32_e32 v35, v61, v31
	v_dual_fmac_f32 v48, v41, v36 :: v_dual_add_f32 v2, v2, v37
	ds_load_2addr_b64 v[36:39], v27 offset0:224 offset1:240
	v_dual_mul_f32 v40, v60, v31 :: v_dual_fma_f32 v35, v60, v30, -v35
	v_dual_add_f32 v22, v22, v48 :: v_dual_mul_f32 v41, v61, v33
	s_delay_alu instid0(VALU_DEP_2) | instskip(NEXT) | instid1(VALU_DEP_3)
	v_dual_mul_f32 v47, v60, v33 :: v_dual_fmac_f32 v40, v61, v30
	v_add_f32_e32 v35, v49, v35
	s_delay_alu instid0(VALU_DEP_3) | instskip(NEXT) | instid1(VALU_DEP_3)
	v_dual_mul_f32 v48, v43, v31 :: v_dual_fma_f32 v41, v60, v32, -v41
	v_dual_fmac_f32 v47, v61, v32 :: v_dual_mul_f32 v31, v42, v31
	s_delay_alu instid0(VALU_DEP_4) | instskip(NEXT) | instid1(VALU_DEP_3)
	v_add_f32_e32 v40, v46, v40
	v_dual_fma_f32 v46, v42, v30, -v48 :: v_dual_add_f32 v28, v28, v41
	s_delay_alu instid0(VALU_DEP_3) | instskip(NEXT) | instid1(VALU_DEP_4)
	v_dual_mul_f32 v41, v43, v33 :: v_dual_add_f32 v47, v34, v47
	v_dual_fmac_f32 v31, v43, v30 :: v_dual_mul_f32 v30, v42, v33
	s_delay_alu instid0(VALU_DEP_2) | instskip(SKIP_2) | instid1(VALU_DEP_3)
	v_dual_add_f32 v24, v24, v46 :: v_dual_fma_f32 v33, v42, v32, -v41
	s_wait_dscnt 0x0
	v_dual_mul_f32 v34, v63, v37 :: v_dual_mul_f32 v41, v62, v37
	v_dual_add_f32 v26, v26, v31 :: v_dual_fmac_f32 v30, v43, v32
	s_delay_alu instid0(VALU_DEP_3) | instskip(NEXT) | instid1(VALU_DEP_3)
	v_add_f32_e32 v2, v2, v33
	v_dual_fma_f32 v31, v62, v36, -v34 :: v_dual_mul_f32 v33, v63, v39
	s_delay_alu instid0(VALU_DEP_4) | instskip(NEXT) | instid1(VALU_DEP_2)
	v_dual_fmac_f32 v41, v63, v36 :: v_dual_mul_f32 v42, v62, v39
	v_dual_add_f32 v22, v22, v30 :: v_dual_add_f32 v32, v35, v31
	v_mul_f32_e32 v31, v45, v37
	s_delay_alu instid0(VALU_DEP_3) | instskip(NEXT) | instid1(VALU_DEP_4)
	v_dual_add_f32 v34, v40, v41 :: v_dual_fma_f32 v30, v62, v38, -v33
	v_dual_fmac_f32 v42, v63, v38 :: v_dual_mul_f32 v33, v44, v37
	v_dual_mul_f32 v35, v45, v39 :: v_dual_mul_f32 v37, v44, v39
	s_delay_alu instid0(VALU_DEP_3) | instskip(NEXT) | instid1(VALU_DEP_3)
	v_add_f32_e32 v28, v28, v30
	v_dual_fma_f32 v31, v44, v36, -v31 :: v_dual_fmac_f32 v33, v45, v36
	s_delay_alu instid0(VALU_DEP_3) | instskip(NEXT) | instid1(VALU_DEP_2)
	v_dual_fma_f32 v35, v44, v38, -v35 :: v_dual_fmac_f32 v37, v45, v38
	v_dual_add_f32 v30, v47, v42 :: v_dual_add_f32 v24, v24, v31
	s_delay_alu instid0(VALU_DEP_3) | instskip(NEXT) | instid1(VALU_DEP_3)
	v_add_f32_e32 v26, v26, v33
	v_add_f32_e32 v2, v2, v35
	s_delay_alu instid0(VALU_DEP_4)
	v_add_f32_e32 v22, v22, v37
	s_barrier_signal -1
	s_barrier_wait -1
	s_cbranch_scc0 .LBB395_17
.LBB395_9:                              ;   Parent Loop BB395_6 Depth=1
                                        ; =>  This Inner Loop Header: Depth=2
	v_add_nc_u32_e32 v31, s28, v23
	s_delay_alu instid0(VALU_DEP_1) | instskip(SKIP_1) | instid1(SALU_CYCLE_1)
	v_cmp_le_i32_e32 vcc_lo, s9, v31
	s_or_b32 s29, s27, vcc_lo
	s_and_saveexec_b32 s31, s29
	s_delay_alu instid0(SALU_CYCLE_1)
	s_xor_b32 s29, exec_lo, s31
; %bb.10:                               ;   in Loop: Header=BB395_9 Depth=2
	ds_store_b32 v25, v3
; %bb.11:                               ;   in Loop: Header=BB395_9 Depth=2
	s_or_saveexec_b32 s29, s29
	v_mov_b32_e32 v31, 0
	s_xor_b32 exec_lo, exec_lo, s29
	s_cbranch_execz .LBB395_13
; %bb.12:                               ;   in Loop: Header=BB395_9 Depth=2
	flat_load_b64 v[36:37], v[18:19]
	s_wait_loadcnt_dscnt 0x0
	v_xor_b32_e32 v31, 0x80000000, v37
	ds_store_b32 v25, v36
.LBB395_13:                             ;   in Loop: Header=BB395_9 Depth=2
	s_wait_xcnt 0x0
	s_or_b32 exec_lo, exec_lo, s29
	v_add_nc_u32_e32 v33, s28, v0
	ds_store_b32 v25, v31 offset:4
	v_cmp_le_i32_e32 vcc_lo, s9, v33
	s_or_b32 s29, vcc_lo, s30
	s_delay_alu instid0(SALU_CYCLE_1) | instskip(NEXT) | instid1(SALU_CYCLE_1)
	s_and_saveexec_b32 s31, s29
	s_xor_b32 s29, exec_lo, s31
; %bb.14:                               ;   in Loop: Header=BB395_9 Depth=2
	ds_store_b32 v1, v3
; %bb.15:                               ;   in Loop: Header=BB395_9 Depth=2
	s_or_saveexec_b32 s29, s29
	v_mov_b32_e32 v31, 0
	s_xor_b32 exec_lo, exec_lo, s29
	s_cbranch_execz .LBB395_8
; %bb.16:                               ;   in Loop: Header=BB395_9 Depth=2
	flat_load_b64 v[36:37], v[20:21] offset:-4
	s_wait_loadcnt_dscnt 0x0
	v_xor_b32_e32 v31, 0x80000000, v37
	ds_store_b32 v1, v36
	s_branch .LBB395_8
.LBB395_17:                             ;   in Loop: Header=BB395_6 Depth=1
	s_wait_loadcnt 0x0
	v_add_nc_u64_e32 v[16:17], s[0:1], v[16:17]
	s_delay_alu instid0(VALU_DEP_1)
	v_lshl_add_u64 v[18:19], v[6:7], 3, v[16:17]
	s_and_saveexec_b32 s28, s8
	s_cbranch_execz .LBB395_22
; %bb.18:                               ;   in Loop: Header=BB395_6 Depth=1
	v_mov_b64_e32 v[20:21], s[4:5]
	v_mov_b64_e32 v[36:37], s[10:11]
	s_and_b32 vcc_lo, exec_lo, s18
	s_mov_b32 s29, -1
	s_delay_alu instid0(VALU_DEP_2) | instskip(NEXT) | instid1(VALU_DEP_1)
	v_pk_mul_f32 v[20:21], v[34:35], v[20:21] op_sel_hi:[0,1]
	v_pk_fma_f32 v[34:35], v[32:33], v[36:37], v[20:21] op_sel_hi:[0,1,1]
	v_pk_fma_f32 v[20:21], v[32:33], v[36:37], v[20:21] neg_lo:[0,0,1] neg_hi:[0,0,1]
	v_lshl_add_u64 v[32:33], v[4:5], 3, v[18:19]
	s_delay_alu instid0(VALU_DEP_3)
	v_mov_b32_e32 v21, v35
	s_cbranch_vccz .LBB395_20
; %bb.19:                               ;   in Loop: Header=BB395_6 Depth=1
	flat_load_b64 v[34:35], v[32:33]
	v_mov_b64_e32 v[36:37], s[6:7]
	v_mov_b64_e32 v[38:39], s[2:3]
	s_mov_b32 s29, 0
	s_wait_loadcnt_dscnt 0x0
	s_delay_alu instid0(VALU_DEP_2) | instskip(NEXT) | instid1(VALU_DEP_1)
	v_pk_mul_f32 v[36:37], v[34:35], v[36:37]
	v_pk_fma_f32 v[40:41], v[34:35], v[38:39], v[36:37] op_sel:[0,0,1] op_sel_hi:[1,1,0]
	v_pk_fma_f32 v[34:35], v[34:35], v[38:39], v[36:37] op_sel:[0,0,1] op_sel_hi:[1,1,0] neg_lo:[0,0,1] neg_hi:[0,0,1]
	s_delay_alu instid0(VALU_DEP_2) | instskip(NEXT) | instid1(VALU_DEP_1)
	v_mov_b32_e32 v35, v41
	v_pk_add_f32 v[34:35], v[20:21], v[34:35]
	flat_store_b64 v[32:33], v[34:35]
.LBB395_20:                             ;   in Loop: Header=BB395_6 Depth=1
	s_and_not1_b32 vcc_lo, exec_lo, s29
	s_cbranch_vccnz .LBB395_22
; %bb.21:                               ;   in Loop: Header=BB395_6 Depth=1
	flat_store_b64 v[32:33], v[20:21]
.LBB395_22:                             ;   in Loop: Header=BB395_6 Depth=1
	s_wait_xcnt 0x0
	s_or_b32 exec_lo, exec_lo, s28
	s_and_saveexec_b32 s28, s22
	s_cbranch_execz .LBB395_27
; %bb.23:                               ;   in Loop: Header=BB395_6 Depth=1
	v_mov_b64_e32 v[20:21], s[4:5]
	v_mov_b64_e32 v[32:33], s[10:11]
	v_lshl_add_u64 v[18:19], v[8:9], 3, v[18:19]
	s_and_not1_b32 vcc_lo, exec_lo, s18
	s_mov_b32 s29, -1
	s_delay_alu instid0(VALU_DEP_3) | instskip(NEXT) | instid1(VALU_DEP_1)
	v_pk_mul_f32 v[20:21], v[30:31], v[20:21] op_sel_hi:[0,1]
	v_pk_fma_f32 v[30:31], v[28:29], v[32:33], v[20:21] op_sel_hi:[0,1,1]
	v_pk_fma_f32 v[20:21], v[28:29], v[32:33], v[20:21] neg_lo:[0,0,1] neg_hi:[0,0,1]
	s_delay_alu instid0(VALU_DEP_2)
	v_mov_b32_e32 v21, v31
	s_cbranch_vccnz .LBB395_25
; %bb.24:                               ;   in Loop: Header=BB395_6 Depth=1
	flat_load_b64 v[30:31], v[18:19]
	v_mov_b64_e32 v[32:33], s[6:7]
	v_mov_b64_e32 v[34:35], s[2:3]
	s_mov_b32 s29, 0
	s_wait_loadcnt_dscnt 0x0
	s_delay_alu instid0(VALU_DEP_2) | instskip(NEXT) | instid1(VALU_DEP_1)
	v_pk_mul_f32 v[32:33], v[30:31], v[32:33]
	v_pk_fma_f32 v[36:37], v[30:31], v[34:35], v[32:33] op_sel:[0,0,1] op_sel_hi:[1,1,0]
	v_pk_fma_f32 v[30:31], v[30:31], v[34:35], v[32:33] op_sel:[0,0,1] op_sel_hi:[1,1,0] neg_lo:[0,0,1] neg_hi:[0,0,1]
	s_delay_alu instid0(VALU_DEP_2) | instskip(NEXT) | instid1(VALU_DEP_1)
	v_mov_b32_e32 v31, v37
	v_pk_add_f32 v[30:31], v[20:21], v[30:31]
	flat_store_b64 v[18:19], v[30:31]
.LBB395_25:                             ;   in Loop: Header=BB395_6 Depth=1
	s_and_not1_b32 vcc_lo, exec_lo, s29
	s_cbranch_vccnz .LBB395_27
; %bb.26:                               ;   in Loop: Header=BB395_6 Depth=1
	flat_store_b64 v[18:19], v[20:21]
.LBB395_27:                             ;   in Loop: Header=BB395_6 Depth=1
	s_wait_xcnt 0x0
	s_or_b32 exec_lo, exec_lo, s28
	v_lshl_add_u64 v[16:17], v[10:11], 3, v[16:17]
	s_and_saveexec_b32 s28, s23
	s_cbranch_execz .LBB395_32
; %bb.28:                               ;   in Loop: Header=BB395_6 Depth=1
	v_mov_b64_e32 v[18:19], s[4:5]
	v_mov_b64_e32 v[20:21], s[10:11]
	s_and_not1_b32 vcc_lo, exec_lo, s18
	s_mov_b32 s29, -1
	s_delay_alu instid0(VALU_DEP_2) | instskip(NEXT) | instid1(VALU_DEP_1)
	v_pk_mul_f32 v[18:19], v[26:27], v[18:19] op_sel_hi:[0,1]
	v_pk_fma_f32 v[30:31], v[24:25], v[20:21], v[18:19] op_sel_hi:[0,1,1]
	v_pk_fma_f32 v[18:19], v[24:25], v[20:21], v[18:19] neg_lo:[0,0,1] neg_hi:[0,0,1]
	v_lshl_add_u64 v[20:21], v[4:5], 3, v[16:17]
	s_delay_alu instid0(VALU_DEP_3)
	v_mov_b32_e32 v19, v31
	s_cbranch_vccnz .LBB395_30
; %bb.29:                               ;   in Loop: Header=BB395_6 Depth=1
	flat_load_b64 v[30:31], v[20:21]
	v_mov_b64_e32 v[32:33], s[6:7]
	v_mov_b64_e32 v[34:35], s[2:3]
	s_mov_b32 s29, 0
	s_wait_loadcnt_dscnt 0x0
	s_delay_alu instid0(VALU_DEP_2) | instskip(NEXT) | instid1(VALU_DEP_1)
	v_pk_mul_f32 v[32:33], v[30:31], v[32:33]
	v_pk_fma_f32 v[36:37], v[30:31], v[34:35], v[32:33] op_sel:[0,0,1] op_sel_hi:[1,1,0]
	v_pk_fma_f32 v[30:31], v[30:31], v[34:35], v[32:33] op_sel:[0,0,1] op_sel_hi:[1,1,0] neg_lo:[0,0,1] neg_hi:[0,0,1]
	s_delay_alu instid0(VALU_DEP_2) | instskip(NEXT) | instid1(VALU_DEP_1)
	v_mov_b32_e32 v31, v37
	v_pk_add_f32 v[30:31], v[18:19], v[30:31]
	flat_store_b64 v[20:21], v[30:31]
.LBB395_30:                             ;   in Loop: Header=BB395_6 Depth=1
	s_and_not1_b32 vcc_lo, exec_lo, s29
	s_cbranch_vccnz .LBB395_32
; %bb.31:                               ;   in Loop: Header=BB395_6 Depth=1
	flat_store_b64 v[20:21], v[18:19]
.LBB395_32:                             ;   in Loop: Header=BB395_6 Depth=1
	s_wait_xcnt 0x0
	s_or_b32 exec_lo, exec_lo, s28
	s_and_saveexec_b32 s28, s33
	s_cbranch_execz .LBB395_5
; %bb.33:                               ;   in Loop: Header=BB395_6 Depth=1
	v_mov_b64_e32 v[18:19], s[4:5]
	v_mov_b64_e32 v[20:21], s[10:11]
	v_lshl_add_u64 v[16:17], v[8:9], 3, v[16:17]
	s_and_not1_b32 vcc_lo, exec_lo, s18
	s_mov_b32 s29, -1
	s_delay_alu instid0(VALU_DEP_3) | instskip(NEXT) | instid1(VALU_DEP_1)
	v_pk_mul_f32 v[18:19], v[22:23], v[18:19] op_sel_hi:[0,1]
	v_pk_fma_f32 v[30:31], v[2:3], v[20:21], v[18:19] op_sel_hi:[0,1,1]
	v_pk_fma_f32 v[18:19], v[2:3], v[20:21], v[18:19] neg_lo:[0,0,1] neg_hi:[0,0,1]
	s_delay_alu instid0(VALU_DEP_2)
	v_mov_b32_e32 v19, v31
	s_cbranch_vccnz .LBB395_35
; %bb.34:                               ;   in Loop: Header=BB395_6 Depth=1
	flat_load_b64 v[20:21], v[16:17]
	v_mov_b64_e32 v[30:31], s[6:7]
	v_mov_b64_e32 v[32:33], s[2:3]
	s_mov_b32 s29, 0
	s_wait_loadcnt_dscnt 0x0
	s_delay_alu instid0(VALU_DEP_2) | instskip(NEXT) | instid1(VALU_DEP_1)
	v_pk_mul_f32 v[30:31], v[20:21], v[30:31]
	v_pk_fma_f32 v[34:35], v[20:21], v[32:33], v[30:31] op_sel:[0,0,1] op_sel_hi:[1,1,0]
	v_pk_fma_f32 v[20:21], v[20:21], v[32:33], v[30:31] op_sel:[0,0,1] op_sel_hi:[1,1,0] neg_lo:[0,0,1] neg_hi:[0,0,1]
	s_delay_alu instid0(VALU_DEP_2) | instskip(NEXT) | instid1(VALU_DEP_1)
	v_mov_b32_e32 v21, v35
	v_pk_add_f32 v[20:21], v[18:19], v[20:21]
	flat_store_b64 v[16:17], v[20:21]
.LBB395_35:                             ;   in Loop: Header=BB395_6 Depth=1
	s_and_not1_b32 vcc_lo, exec_lo, s29
	s_cbranch_vccnz .LBB395_5
; %bb.36:                               ;   in Loop: Header=BB395_6 Depth=1
	flat_store_b64 v[16:17], v[18:19]
	s_branch .LBB395_5
.LBB395_37:
	s_sendmsg sendmsg(MSG_DEALLOC_VGPRS)
	s_endpgm
	.section	.rodata,"a",@progbits
	.p2align	6, 0x0
	.amdhsa_kernel _ZL29rocblas_internal_gemmt_kernelIiLi16ELi32ELi8ELc67ELc67ELc76ELb1ELb1E19rocblas_complex_numIfES1_PKPKS1_PKPS1_EviT_T9_T10_S9_lSB_S9_lSA_T11_S9_li
		.amdhsa_group_segment_fixed_size 4096
		.amdhsa_private_segment_fixed_size 0
		.amdhsa_kernarg_size 100
		.amdhsa_user_sgpr_count 2
		.amdhsa_user_sgpr_dispatch_ptr 0
		.amdhsa_user_sgpr_queue_ptr 0
		.amdhsa_user_sgpr_kernarg_segment_ptr 1
		.amdhsa_user_sgpr_dispatch_id 0
		.amdhsa_user_sgpr_kernarg_preload_length 0
		.amdhsa_user_sgpr_kernarg_preload_offset 0
		.amdhsa_user_sgpr_private_segment_size 0
		.amdhsa_wavefront_size32 1
		.amdhsa_uses_dynamic_stack 0
		.amdhsa_enable_private_segment 0
		.amdhsa_system_sgpr_workgroup_id_x 1
		.amdhsa_system_sgpr_workgroup_id_y 1
		.amdhsa_system_sgpr_workgroup_id_z 1
		.amdhsa_system_sgpr_workgroup_info 0
		.amdhsa_system_vgpr_workitem_id 1
		.amdhsa_next_free_vgpr 71
		.amdhsa_next_free_sgpr 36
		.amdhsa_named_barrier_count 0
		.amdhsa_reserve_vcc 1
		.amdhsa_float_round_mode_32 0
		.amdhsa_float_round_mode_16_64 0
		.amdhsa_float_denorm_mode_32 3
		.amdhsa_float_denorm_mode_16_64 3
		.amdhsa_fp16_overflow 0
		.amdhsa_memory_ordered 1
		.amdhsa_forward_progress 1
		.amdhsa_inst_pref_size 27
		.amdhsa_round_robin_scheduling 0
		.amdhsa_exception_fp_ieee_invalid_op 0
		.amdhsa_exception_fp_denorm_src 0
		.amdhsa_exception_fp_ieee_div_zero 0
		.amdhsa_exception_fp_ieee_overflow 0
		.amdhsa_exception_fp_ieee_underflow 0
		.amdhsa_exception_fp_ieee_inexact 0
		.amdhsa_exception_int_div_zero 0
	.end_amdhsa_kernel
	.section	.text._ZL29rocblas_internal_gemmt_kernelIiLi16ELi32ELi8ELc67ELc67ELc76ELb1ELb1E19rocblas_complex_numIfES1_PKPKS1_PKPS1_EviT_T9_T10_S9_lSB_S9_lSA_T11_S9_li,"axG",@progbits,_ZL29rocblas_internal_gemmt_kernelIiLi16ELi32ELi8ELc67ELc67ELc76ELb1ELb1E19rocblas_complex_numIfES1_PKPKS1_PKPS1_EviT_T9_T10_S9_lSB_S9_lSA_T11_S9_li,comdat
.Lfunc_end395:
	.size	_ZL29rocblas_internal_gemmt_kernelIiLi16ELi32ELi8ELc67ELc67ELc76ELb1ELb1E19rocblas_complex_numIfES1_PKPKS1_PKPS1_EviT_T9_T10_S9_lSB_S9_lSA_T11_S9_li, .Lfunc_end395-_ZL29rocblas_internal_gemmt_kernelIiLi16ELi32ELi8ELc67ELc67ELc76ELb1ELb1E19rocblas_complex_numIfES1_PKPKS1_PKPS1_EviT_T9_T10_S9_lSB_S9_lSA_T11_S9_li
                                        ; -- End function
	.set _ZL29rocblas_internal_gemmt_kernelIiLi16ELi32ELi8ELc67ELc67ELc76ELb1ELb1E19rocblas_complex_numIfES1_PKPKS1_PKPS1_EviT_T9_T10_S9_lSB_S9_lSA_T11_S9_li.num_vgpr, 71
	.set _ZL29rocblas_internal_gemmt_kernelIiLi16ELi32ELi8ELc67ELc67ELc76ELb1ELb1E19rocblas_complex_numIfES1_PKPKS1_PKPS1_EviT_T9_T10_S9_lSB_S9_lSA_T11_S9_li.num_agpr, 0
	.set _ZL29rocblas_internal_gemmt_kernelIiLi16ELi32ELi8ELc67ELc67ELc76ELb1ELb1E19rocblas_complex_numIfES1_PKPKS1_PKPS1_EviT_T9_T10_S9_lSB_S9_lSA_T11_S9_li.numbered_sgpr, 36
	.set _ZL29rocblas_internal_gemmt_kernelIiLi16ELi32ELi8ELc67ELc67ELc76ELb1ELb1E19rocblas_complex_numIfES1_PKPKS1_PKPS1_EviT_T9_T10_S9_lSB_S9_lSA_T11_S9_li.num_named_barrier, 0
	.set _ZL29rocblas_internal_gemmt_kernelIiLi16ELi32ELi8ELc67ELc67ELc76ELb1ELb1E19rocblas_complex_numIfES1_PKPKS1_PKPS1_EviT_T9_T10_S9_lSB_S9_lSA_T11_S9_li.private_seg_size, 0
	.set _ZL29rocblas_internal_gemmt_kernelIiLi16ELi32ELi8ELc67ELc67ELc76ELb1ELb1E19rocblas_complex_numIfES1_PKPKS1_PKPS1_EviT_T9_T10_S9_lSB_S9_lSA_T11_S9_li.uses_vcc, 1
	.set _ZL29rocblas_internal_gemmt_kernelIiLi16ELi32ELi8ELc67ELc67ELc76ELb1ELb1E19rocblas_complex_numIfES1_PKPKS1_PKPS1_EviT_T9_T10_S9_lSB_S9_lSA_T11_S9_li.uses_flat_scratch, 0
	.set _ZL29rocblas_internal_gemmt_kernelIiLi16ELi32ELi8ELc67ELc67ELc76ELb1ELb1E19rocblas_complex_numIfES1_PKPKS1_PKPS1_EviT_T9_T10_S9_lSB_S9_lSA_T11_S9_li.has_dyn_sized_stack, 0
	.set _ZL29rocblas_internal_gemmt_kernelIiLi16ELi32ELi8ELc67ELc67ELc76ELb1ELb1E19rocblas_complex_numIfES1_PKPKS1_PKPS1_EviT_T9_T10_S9_lSB_S9_lSA_T11_S9_li.has_recursion, 0
	.set _ZL29rocblas_internal_gemmt_kernelIiLi16ELi32ELi8ELc67ELc67ELc76ELb1ELb1E19rocblas_complex_numIfES1_PKPKS1_PKPS1_EviT_T9_T10_S9_lSB_S9_lSA_T11_S9_li.has_indirect_call, 0
	.section	.AMDGPU.csdata,"",@progbits
; Kernel info:
; codeLenInByte = 3332
; TotalNumSgprs: 38
; NumVgprs: 71
; ScratchSize: 0
; MemoryBound: 0
; FloatMode: 240
; IeeeMode: 1
; LDSByteSize: 4096 bytes/workgroup (compile time only)
; SGPRBlocks: 0
; VGPRBlocks: 4
; NumSGPRsForWavesPerEU: 38
; NumVGPRsForWavesPerEU: 71
; NamedBarCnt: 0
; Occupancy: 12
; WaveLimiterHint : 1
; COMPUTE_PGM_RSRC2:SCRATCH_EN: 0
; COMPUTE_PGM_RSRC2:USER_SGPR: 2
; COMPUTE_PGM_RSRC2:TRAP_HANDLER: 0
; COMPUTE_PGM_RSRC2:TGID_X_EN: 1
; COMPUTE_PGM_RSRC2:TGID_Y_EN: 1
; COMPUTE_PGM_RSRC2:TGID_Z_EN: 1
; COMPUTE_PGM_RSRC2:TIDIG_COMP_CNT: 1
	.section	.text._ZL29rocblas_internal_gemmt_kernelIiLi16ELi32ELi8ELc78ELc78ELc85ELb0ELb0E19rocblas_complex_numIdEPKS1_PKS3_PKPS1_EviT_T9_T10_S9_lSB_S9_lSA_T11_S9_li,"axG",@progbits,_ZL29rocblas_internal_gemmt_kernelIiLi16ELi32ELi8ELc78ELc78ELc85ELb0ELb0E19rocblas_complex_numIdEPKS1_PKS3_PKPS1_EviT_T9_T10_S9_lSB_S9_lSA_T11_S9_li,comdat
	.globl	_ZL29rocblas_internal_gemmt_kernelIiLi16ELi32ELi8ELc78ELc78ELc85ELb0ELb0E19rocblas_complex_numIdEPKS1_PKS3_PKPS1_EviT_T9_T10_S9_lSB_S9_lSA_T11_S9_li ; -- Begin function _ZL29rocblas_internal_gemmt_kernelIiLi16ELi32ELi8ELc78ELc78ELc85ELb0ELb0E19rocblas_complex_numIdEPKS1_PKS3_PKPS1_EviT_T9_T10_S9_lSB_S9_lSA_T11_S9_li
	.p2align	8
	.type	_ZL29rocblas_internal_gemmt_kernelIiLi16ELi32ELi8ELc78ELc78ELc85ELb0ELb0E19rocblas_complex_numIdEPKS1_PKS3_PKPS1_EviT_T9_T10_S9_lSB_S9_lSA_T11_S9_li,@function
_ZL29rocblas_internal_gemmt_kernelIiLi16ELi32ELi8ELc78ELc78ELc85ELb0ELb0E19rocblas_complex_numIdEPKS1_PKS3_PKPS1_EviT_T9_T10_S9_lSB_S9_lSA_T11_S9_li: ; @_ZL29rocblas_internal_gemmt_kernelIiLi16ELi32ELi8ELc78ELc78ELc85ELb0ELb0E19rocblas_complex_numIdEPKS1_PKS3_PKPS1_EviT_T9_T10_S9_lSB_S9_lSA_T11_S9_li
; %bb.0:
	s_load_b128 s[20:23], s[0:1], 0x38
	s_wait_kmcnt 0x0
	s_load_b128 s[4:7], s[22:23], 0x0
	s_load_b128 s[8:11], s[0:1], 0x8
	s_wait_xcnt 0x0
	s_load_b64 s[22:23], s[0:1], 0x0
	s_wait_kmcnt 0x0
	v_cmp_eq_f64_e64 s2, s[4:5], 1.0
	v_cmp_eq_f64_e64 s33, s[6:7], 0
	s_load_b128 s[12:15], s[8:9], 0x0
	s_and_b32 s2, s2, s33
	s_delay_alu instid0(SALU_CYCLE_1)
	s_and_not1_b32 vcc_lo, exec_lo, s2
	s_mov_b32 s2, -1
	s_cbranch_vccnz .LBB396_3
; %bb.1:
	s_cmp_lg_u32 s23, 0
	s_cbranch_scc0 .LBB396_38
; %bb.2:
	s_wait_kmcnt 0x0
	v_cmp_neq_f64_e64 s2, s[12:13], 0
	v_cmp_neq_f64_e64 s3, s[14:15], 0
	s_or_b32 s2, s2, s3
.LBB396_3:
	s_delay_alu instid0(SALU_CYCLE_1)
	s_and_b32 vcc_lo, exec_lo, s2
	s_cbranch_vccz .LBB396_39
; %bb.4:
	s_load_b32 s27, s[0:1], 0x60
	s_bfe_u32 s2, ttmp6, 0x40014
	s_lshr_b32 s3, ttmp7, 16
	s_add_co_i32 s2, s2, 1
	s_wait_xcnt 0x0
	s_bfe_u32 s8, ttmp6, 0x40008
	s_mul_i32 s2, s3, s2
	s_getreg_b32 s34, hwreg(HW_REG_IB_STS2, 6, 4)
	s_add_co_i32 s8, s8, s2
	s_cmp_eq_u32 s34, 0
	s_mov_b32 s9, 0
	s_cselect_b32 s8, s3, s8
	s_wait_kmcnt 0x0
	s_cmp_ge_u32 s8, s27
	s_cbranch_scc1 .LBB396_39
; %bb.5:
	s_clause 0x3
	s_load_b32 s28, s[0:1], 0x18
	s_load_b32 s2, s[0:1], 0x30
	s_load_b96 s[24:26], s[0:1], 0x48
	s_load_b128 s[16:19], s[0:1], 0x20
	v_and_b32_e32 v1, 0x3ff, v0
	v_bfe_u32 v5, v0, 10, 10
	s_load_b64 s[30:31], s[0:1], 0x58
	s_wait_xcnt 0x0
	s_bfe_u32 s1, ttmp6, 0x4000c
	s_bfe_u32 s39, ttmp6, 0x40010
	s_add_co_i32 s1, s1, 1
	s_add_co_i32 s39, s39, 1
	v_and_b32_e32 v40, 7, v0
	v_lshl_add_u32 v0, v5, 4, v1
	s_and_b32 s0, ttmp6, 15
	s_mul_i32 s1, ttmp9, s1
	s_bfe_u32 s40, ttmp6, 0x40004
	s_add_co_i32 s0, s0, s1
	v_dual_lshrrev_b32 v8, 3, v0 :: v_dual_bitop2_b32 v9, 31, v0 bitop3:0x40
	v_lshrrev_b32_e32 v6, 5, v0
	s_wait_kmcnt 0x0
	s_ashr_i32 s29, s28, 31
	s_ashr_i32 s3, s2, 31
	;; [unrolled: 1-line block ×3, first 2 shown]
	s_mov_b32 s36, s26
	s_and_b32 s26, ttmp7, 0xffff
	v_cmp_neq_f64_e64 s35, s[12:13], 0
	s_mul_i32 s39, s26, s39
	v_cmp_neq_f64_e64 s38, s[14:15], 0
	s_add_co_i32 s40, s40, s39
	s_cmp_eq_u32 s34, 0
	v_lshl_add_u32 v43, v5, 7, 0x1000
	s_cselect_b32 s1, s26, s40
	s_cselect_b32 s0, ttmp9, s0
	s_lshl_b32 s1, s1, 5
	s_delay_alu instid0(SALU_CYCLE_1) | instskip(SKIP_2) | instid1(VALU_DEP_2)
	v_dual_mov_b32 v0, 0 :: v_dual_add_nc_u32 v2, s1, v8
	s_lshl_b32 s0, s0, 5
	v_dual_add_nc_u32 v18, s1, v5 :: v_dual_lshlrev_b32 v20, 4, v40
	v_dual_mov_b32 v7, v0 :: v_dual_bitop2_b32 v4, s0, v9 bitop3:0x54
	s_delay_alu instid0(VALU_DEP_3) | instskip(NEXT) | instid1(VALU_DEP_3)
	v_dual_ashrrev_i32 v3, 31, v2 :: v_dual_lshlrev_b32 v9, 4, v9
	v_dual_add_nc_u32 v24, 16, v18 :: v_dual_ashrrev_i32 v19, 31, v18
	s_delay_alu instid0(VALU_DEP_3) | instskip(NEXT) | instid1(VALU_DEP_3)
	v_mul_u64_e32 v[16:17], s[28:29], v[6:7]
	v_mul_u64_e32 v[22:23], s[2:3], v[2:3]
	v_cmp_neq_f64_e64 s26, s[4:5], 0
	v_lshl_or_b32 v3, v8, 7, v20
	v_dual_add_nc_u32 v8, s0, v1 :: v_dual_ashrrev_i32 v25, 31, v24
	v_mul_u64_e32 v[10:11], s[36:37], v[18:19]
	v_cmp_gt_i32_e64 s0, s22, v2
	s_delay_alu instid0(VALU_DEP_4) | instskip(NEXT) | instid1(VALU_DEP_4)
	v_add_nc_u32_e32 v41, 0x1000, v3
	v_dual_add_nc_u32 v12, 16, v8 :: v_dual_lshlrev_b32 v42, 4, v1
	v_mul_u64_e32 v[14:15], s[36:37], v[24:25]
	v_lshl_or_b32 v7, v6, 9, v9
	v_cmp_gt_i32_e64 s1, s22, v18
	s_or_b32 s35, s35, s38
	s_cmp_gt_i32 s23, 0
	v_cmp_le_i32_e64 s2, v8, v18
	s_cselect_b32 s38, -1, 0
	s_lshl_b64 s[16:17], s[16:17], 4
	v_cmp_le_i32_e64 s3, v12, v18
	v_dual_ashrrev_i32 v9, 31, v8 :: v_dual_mov_b32 v21, v0
	v_ashrrev_i32_e32 v5, 31, v4
	s_xor_b32 s33, s33, -1
	v_cmp_gt_i32_e32 vcc_lo, s22, v4
	s_and_b32 s34, s1, s3
	v_cmp_le_i32_e64 s3, v12, v24
	v_ashrrev_i32_e32 v13, 31, v12
	v_lshl_add_u64 v[2:3], v[16:17], 4, s[16:17]
	s_lshl_b64 s[16:17], s[20:21], 4
	s_or_b32 s26, s26, s33
	v_lshl_add_u64 v[18:19], v[22:23], 4, s[16:17]
	s_and_b32 s33, s1, s2
	v_cmp_gt_i32_e64 s1, s22, v24
	v_cmp_le_i32_e64 s2, v8, v24
	v_lshl_add_u64 v[16:17], v[4:5], 4, v[2:3]
	v_add_nc_u64_e32 v[18:19], v[18:19], v[20:21]
	s_and_b32 s20, s35, s38
	s_and_b32 s17, s1, s3
	;; [unrolled: 1-line block ×3, first 2 shown]
	s_lshl_b64 s[2:3], s[28:29], 7
	s_xor_b32 s21, vcc_lo, -1
	s_xor_b32 s22, s0, -1
	s_lshl_b64 s[0:1], s[30:31], 4
	s_branch .LBB396_7
.LBB396_6:                              ;   in Loop: Header=BB396_7 Depth=1
	s_wait_xcnt 0x0
	s_or_b32 exec_lo, exec_lo, s28
	s_add_co_i32 s8, s8, 0x10000
	s_delay_alu instid0(SALU_CYCLE_1)
	s_cmp_lt_u32 s8, s27
	s_cbranch_scc0 .LBB396_39
.LBB396_7:                              ; =>This Loop Header: Depth=1
                                        ;     Child Loop BB396_10 Depth 2
	v_mov_b32_e32 v1, s8
	v_mov_b64_e32 v[36:37], 0
	v_mov_b64_e32 v[38:39], 0
	;; [unrolled: 1-line block ×4, first 2 shown]
	global_load_b64 v[4:5], v1, s[24:25] scale_offset
	v_mov_b64_e32 v[24:25], 0
	v_mov_b64_e32 v[26:27], 0
	;; [unrolled: 1-line block ×4, first 2 shown]
	s_and_not1_b32 vcc_lo, exec_lo, s20
	s_cbranch_vccnz .LBB396_18
; %bb.8:                                ;   in Loop: Header=BB396_7 Depth=1
	s_lshl_b64 s[28:29], s[8:9], 3
	v_mov_b64_e32 v[22:23], 0
	s_add_nc_u64 s[30:31], s[10:11], s[28:29]
	s_add_nc_u64 s[28:29], s[18:19], s[28:29]
	s_clause 0x1
	global_load_b64 v[2:3], v0, s[30:31]
	global_load_b64 v[30:31], v0, s[28:29]
	v_mov_b64_e32 v[20:21], 0
	v_mov_b64_e32 v[26:27], 0
	;; [unrolled: 1-line block ×7, first 2 shown]
	s_wait_xcnt 0x0
	s_mov_b32 s28, 0
	s_wait_loadcnt 0x1
	v_add_nc_u64_e32 v[28:29], v[2:3], v[16:17]
	s_wait_loadcnt 0x0
	v_add_nc_u64_e32 v[30:31], v[30:31], v[18:19]
	s_branch .LBB396_10
.LBB396_9:                              ;   in Loop: Header=BB396_10 Depth=2
	s_wait_xcnt 0x0
	s_or_b32 exec_lo, exec_lo, s29
	s_wait_dscnt 0x0
	s_barrier_signal -1
	s_barrier_wait -1
	ds_load_b128 v[44:47], v43
	ds_load_b128 v[48:51], v42
	ds_load_b128 v[52:55], v42 offset:256
	ds_load_b128 v[56:59], v43 offset:2048
	ds_load_b128 v[60:63], v43 offset:16
	ds_load_b128 v[64:67], v42 offset:512
	ds_load_b128 v[68:71], v42 offset:768
	ds_load_b128 v[72:75], v43 offset:2064
	ds_load_b128 v[76:79], v43 offset:32
	ds_load_b128 v[80:83], v42 offset:1024
	ds_load_b128 v[84:87], v42 offset:1280
	ds_load_b128 v[88:91], v43 offset:2080
	v_add_nc_u64_e32 v[28:29], s[2:3], v[28:29]
	v_add_nc_u64_e32 v[30:31], 0x80, v[30:31]
	s_add_co_i32 s28, s28, 8
	s_delay_alu instid0(SALU_CYCLE_1)
	s_cmp_lt_i32 s28, s23
	s_wait_dscnt 0xa
	v_mul_f64_e32 v[2:3], v[46:47], v[50:51]
	v_mul_f64_e32 v[92:93], v[44:45], v[50:51]
	s_wait_dscnt 0x9
	v_mul_f64_e32 v[94:95], v[46:47], v[54:55]
	v_mul_f64_e32 v[96:97], v[44:45], v[54:55]
	s_wait_dscnt 0x8
	v_mul_f64_e32 v[98:99], v[58:59], v[50:51]
	v_mul_f64_e32 v[100:101], v[56:57], v[50:51]
	v_mul_f64_e32 v[50:51], v[58:59], v[54:55]
	v_mul_f64_e32 v[102:103], v[56:57], v[54:55]
	s_wait_dscnt 0x6
	v_mul_f64_e32 v[104:105], v[62:63], v[66:67]
	v_mul_f64_e32 v[106:107], v[60:61], v[66:67]
	s_wait_dscnt 0x5
	v_mul_f64_e32 v[108:109], v[62:63], v[70:71]
	v_mul_f64_e32 v[110:111], v[60:61], v[70:71]
	s_wait_dscnt 0x4
	v_mul_f64_e32 v[112:113], v[74:75], v[66:67]
	v_mul_f64_e32 v[66:67], v[72:73], v[66:67]
	v_mul_f64_e32 v[114:115], v[74:75], v[70:71]
	v_mul_f64_e32 v[70:71], v[72:73], v[70:71]
	s_wait_dscnt 0x2
	v_mul_f64_e32 v[118:119], v[78:79], v[82:83]
	v_mul_f64_e32 v[120:121], v[76:77], v[82:83]
	s_wait_dscnt 0x1
	v_mul_f64_e32 v[122:123], v[78:79], v[86:87]
	v_mul_f64_e32 v[124:125], v[76:77], v[86:87]
	s_wait_dscnt 0x0
	v_mul_f64_e32 v[126:127], v[90:91], v[82:83]
	v_mul_f64_e32 v[82:83], v[88:89], v[82:83]
	v_mul_f64_e32 v[128:129], v[90:91], v[86:87]
	v_mul_f64_e32 v[86:87], v[88:89], v[86:87]
	v_fma_f64 v[2:3], v[44:45], v[48:49], -v[2:3]
	v_fmac_f64_e32 v[92:93], v[46:47], v[48:49]
	v_fma_f64 v[94:95], v[44:45], v[52:53], -v[94:95]
	v_fmac_f64_e32 v[96:97], v[46:47], v[52:53]
	;; [unrolled: 2-line block ×8, first 2 shown]
	ds_load_b128 v[44:47], v43 offset:48
	ds_load_b128 v[48:51], v43 offset:2096
	;; [unrolled: 1-line block ×4, first 2 shown]
	v_fma_f64 v[118:119], v[76:77], v[80:81], -v[118:119]
	v_fmac_f64_e32 v[120:121], v[78:79], v[80:81]
	v_fma_f64 v[76:77], v[76:77], v[84:85], -v[122:123]
	v_fmac_f64_e32 v[124:125], v[78:79], v[84:85]
	;; [unrolled: 2-line block ×4, first 2 shown]
	v_add_f64_e32 v[2:3], v[36:37], v[2:3]
	v_add_f64_e32 v[68:69], v[92:93], v[38:39]
	;; [unrolled: 1-line block ×8, first 2 shown]
	s_wait_dscnt 0x1
	v_mul_f64_e32 v[100:101], v[46:47], v[54:55]
	v_mul_f64_e32 v[102:103], v[44:45], v[54:55]
	s_wait_dscnt 0x0
	v_mul_f64_e32 v[108:109], v[46:47], v[58:59]
	v_mul_f64_e32 v[112:113], v[44:45], v[58:59]
	;; [unrolled: 1-line block ×6, first 2 shown]
	ds_load_b128 v[20:23], v43 offset:64
	ds_load_b128 v[24:27], v42 offset:2048
	;; [unrolled: 1-line block ×4, first 2 shown]
	v_add_f64_e32 v[2:3], v[2:3], v[104:105]
	v_add_f64_e32 v[84:85], v[106:107], v[68:69]
	;; [unrolled: 1-line block ×8, first 2 shown]
	s_wait_dscnt 0x2
	v_mul_f64_e32 v[98:99], v[22:23], v[26:27]
	v_mul_f64_e32 v[104:105], v[20:21], v[26:27]
	s_wait_dscnt 0x1
	v_mul_f64_e32 v[106:107], v[22:23], v[34:35]
	v_mul_f64_e32 v[110:111], v[20:21], v[34:35]
	;; [unrolled: 3-line block ×3, first 2 shown]
	v_mul_f64_e32 v[26:27], v[38:39], v[34:35]
	v_mul_f64_e32 v[128:129], v[36:37], v[34:35]
	v_fma_f64 v[34:35], v[44:45], v[52:53], -v[100:101]
	v_fmac_f64_e32 v[102:103], v[46:47], v[52:53]
	v_fma_f64 v[100:101], v[44:45], v[56:57], -v[108:109]
	v_fmac_f64_e32 v[112:113], v[46:47], v[56:57]
	;; [unrolled: 2-line block ×4, first 2 shown]
	ds_load_b128 v[58:61], v43 offset:80
	ds_load_b128 v[62:65], v43 offset:2128
	;; [unrolled: 1-line block ×4, first 2 shown]
	v_add_f64_e32 v[2:3], v[2:3], v[118:119]
	v_add_f64_e32 v[56:57], v[120:121], v[84:85]
	;; [unrolled: 1-line block ×8, first 2 shown]
	v_fma_f64 v[98:99], v[20:21], v[24:25], -v[98:99]
	v_fmac_f64_e32 v[104:105], v[22:23], v[24:25]
	v_fma_f64 v[106:107], v[20:21], v[32:33], -v[106:107]
	s_wait_dscnt 0x1
	v_mul_f64_e32 v[90:91], v[60:61], v[68:69]
	v_mul_f64_e32 v[92:93], v[58:59], v[68:69]
	s_wait_dscnt 0x0
	v_mul_f64_e32 v[94:95], v[60:61], v[72:73]
	v_mul_f64_e32 v[96:97], v[58:59], v[72:73]
	;; [unrolled: 1-line block ×6, first 2 shown]
	v_fmac_f64_e32 v[110:111], v[22:23], v[32:33]
	v_fma_f64 v[122:123], v[36:37], v[24:25], -v[122:123]
	v_fmac_f64_e32 v[126:127], v[38:39], v[24:25]
	v_fma_f64 v[124:125], v[36:37], v[32:33], -v[26:27]
	v_fmac_f64_e32 v[128:129], v[38:39], v[32:33]
	ds_load_b128 v[44:47], v43 offset:96
	ds_load_b128 v[48:51], v42 offset:3072
	;; [unrolled: 1-line block ×4, first 2 shown]
	v_add_f64_e32 v[2:3], v[2:3], v[34:35]
	v_add_f64_e32 v[56:57], v[102:103], v[56:57]
	v_add_f64_e32 v[84:85], v[84:85], v[100:101]
	v_add_f64_e32 v[88:89], v[112:113], v[88:89]
	v_add_f64_e32 v[78:79], v[78:79], v[108:109]
	v_add_f64_e32 v[82:83], v[116:117], v[82:83]
	v_add_f64_e32 v[80:81], v[80:81], v[114:115]
	v_add_f64_e32 v[86:87], v[130:131], v[86:87]
	ds_load_b128 v[20:23], v43 offset:112
	ds_load_b128 v[24:27], v43 offset:2160
	;; [unrolled: 1-line block ×4, first 2 shown]
	s_wait_dscnt 0x0
	v_mul_f64_e32 v[100:101], v[46:47], v[50:51]
	v_mul_f64_e32 v[102:103], v[44:45], v[50:51]
	;; [unrolled: 1-line block ×8, first 2 shown]
	v_fma_f64 v[90:91], v[58:59], v[66:67], -v[90:91]
	v_fmac_f64_e32 v[92:93], v[60:61], v[66:67]
	v_fma_f64 v[58:59], v[58:59], v[70:71], -v[94:95]
	v_fmac_f64_e32 v[96:97], v[60:61], v[70:71]
	;; [unrolled: 2-line block ×4, first 2 shown]
	s_barrier_signal -1
	s_barrier_wait -1
	v_mul_f64_e32 v[94:95], v[20:21], v[38:39]
	v_add_f64_e32 v[2:3], v[2:3], v[98:99]
	v_add_f64_e32 v[56:57], v[104:105], v[56:57]
	;; [unrolled: 1-line block ×8, first 2 shown]
	v_mul_f64_e32 v[84:85], v[22:23], v[34:35]
	v_mul_f64_e32 v[86:87], v[20:21], v[34:35]
	;; [unrolled: 1-line block ×7, first 2 shown]
	v_fma_f64 v[38:39], v[44:45], v[48:49], -v[100:101]
	v_fmac_f64_e32 v[102:103], v[46:47], v[48:49]
	v_fma_f64 v[44:45], v[44:45], v[52:53], -v[108:109]
	v_fmac_f64_e32 v[112:113], v[46:47], v[52:53]
	;; [unrolled: 2-line block ×4, first 2 shown]
	v_fmac_f64_e32 v[94:95], v[22:23], v[36:37]
	v_add_f64_e32 v[2:3], v[2:3], v[90:91]
	v_add_f64_e32 v[52:53], v[92:93], v[56:57]
	;; [unrolled: 1-line block ×8, first 2 shown]
	v_fma_f64 v[68:69], v[20:21], v[32:33], -v[84:85]
	v_fmac_f64_e32 v[86:87], v[22:23], v[32:33]
	v_fma_f64 v[20:21], v[20:21], v[36:37], -v[88:89]
	v_fma_f64 v[22:23], v[24:25], v[32:33], -v[98:99]
	v_fmac_f64_e32 v[104:105], v[26:27], v[32:33]
	v_fma_f64 v[70:71], v[24:25], v[36:37], -v[34:35]
	v_fmac_f64_e32 v[106:107], v[26:27], v[36:37]
	v_add_f64_e32 v[2:3], v[2:3], v[38:39]
	v_add_f64_e32 v[24:25], v[102:103], v[52:53]
	;; [unrolled: 1-line block ×16, first 2 shown]
	s_cbranch_scc0 .LBB396_18
.LBB396_10:                             ;   Parent Loop BB396_7 Depth=1
                                        ; =>  This Inner Loop Header: Depth=2
	v_add_nc_u32_e32 v1, s28, v6
	s_delay_alu instid0(VALU_DEP_1) | instskip(SKIP_1) | instid1(SALU_CYCLE_1)
	v_cmp_le_i32_e32 vcc_lo, s23, v1
	s_or_b32 s29, s21, vcc_lo
	s_and_saveexec_b32 s30, s29
	s_delay_alu instid0(SALU_CYCLE_1)
	s_xor_b32 s29, exec_lo, s30
; %bb.11:                               ;   in Loop: Header=BB396_10 Depth=2
	v_dual_mov_b32 v1, v0 :: v_dual_mov_b32 v2, v0
	v_mov_b32_e32 v3, v0
	ds_store_b128 v7, v[0:3]
; %bb.12:                               ;   in Loop: Header=BB396_10 Depth=2
	s_and_not1_saveexec_b32 s29, s29
	s_cbranch_execz .LBB396_14
; %bb.13:                               ;   in Loop: Header=BB396_10 Depth=2
	flat_load_b128 v[44:47], v[28:29]
	s_wait_loadcnt_dscnt 0x0
	ds_store_2addr_b64 v7, v[44:45], v[46:47] offset1:1
.LBB396_14:                             ;   in Loop: Header=BB396_10 Depth=2
	s_wait_xcnt 0x0
	s_or_b32 exec_lo, exec_lo, s29
	v_add_nc_u32_e32 v1, s28, v40
	s_delay_alu instid0(VALU_DEP_1) | instskip(SKIP_1) | instid1(SALU_CYCLE_1)
	v_cmp_le_i32_e32 vcc_lo, s23, v1
	s_or_b32 s29, vcc_lo, s22
	s_and_saveexec_b32 s30, s29
	s_delay_alu instid0(SALU_CYCLE_1)
	s_xor_b32 s29, exec_lo, s30
; %bb.15:                               ;   in Loop: Header=BB396_10 Depth=2
	v_dual_mov_b32 v1, v0 :: v_dual_mov_b32 v2, v0
	v_mov_b32_e32 v3, v0
	ds_store_b128 v41, v[0:3]
; %bb.16:                               ;   in Loop: Header=BB396_10 Depth=2
	s_and_not1_saveexec_b32 s29, s29
	s_cbranch_execz .LBB396_9
; %bb.17:                               ;   in Loop: Header=BB396_10 Depth=2
	flat_load_b128 v[44:47], v[30:31]
	s_wait_loadcnt_dscnt 0x0
	ds_store_2addr_b64 v41, v[44:45], v[46:47] offset1:1
	s_branch .LBB396_9
.LBB396_18:                             ;   in Loop: Header=BB396_7 Depth=1
	s_wait_loadcnt 0x0
	v_add_nc_u64_e32 v[28:29], s[0:1], v[4:5]
	s_delay_alu instid0(VALU_DEP_1)
	v_lshl_add_u64 v[30:31], v[10:11], 4, v[28:29]
	s_wait_xcnt 0x0
	s_and_saveexec_b32 s28, s33
	s_cbranch_execz .LBB396_23
; %bb.19:                               ;   in Loop: Header=BB396_7 Depth=1
	v_mul_f64_e32 v[2:3], s[14:15], v[38:39]
	v_mul_f64_e32 v[4:5], s[12:13], v[38:39]
	s_and_b32 vcc_lo, exec_lo, s26
	s_mov_b32 s29, -1
	s_delay_alu instid0(VALU_DEP_2) | instskip(NEXT) | instid1(VALU_DEP_2)
	v_fma_f64 v[2:3], s[12:13], v[36:37], -v[2:3]
	v_fmac_f64_e32 v[4:5], s[14:15], v[36:37]
	v_lshl_add_u64 v[36:37], v[8:9], 4, v[30:31]
	s_cbranch_vccz .LBB396_21
; %bb.20:                               ;   in Loop: Header=BB396_7 Depth=1
	flat_load_b128 v[44:47], v[36:37]
	s_mov_b32 s29, 0
	s_wait_loadcnt_dscnt 0x0
	v_mul_f64_e32 v[38:39], s[6:7], v[46:47]
	v_mul_f64_e32 v[46:47], s[4:5], v[46:47]
	s_delay_alu instid0(VALU_DEP_2) | instskip(NEXT) | instid1(VALU_DEP_2)
	v_fma_f64 v[38:39], s[4:5], v[44:45], -v[38:39]
	v_fmac_f64_e32 v[46:47], s[6:7], v[44:45]
	s_delay_alu instid0(VALU_DEP_2) | instskip(NEXT) | instid1(VALU_DEP_2)
	v_add_f64_e32 v[44:45], v[2:3], v[38:39]
	v_add_f64_e32 v[46:47], v[4:5], v[46:47]
	flat_store_b128 v[36:37], v[44:47]
.LBB396_21:                             ;   in Loop: Header=BB396_7 Depth=1
	s_and_not1_b32 vcc_lo, exec_lo, s29
	s_cbranch_vccnz .LBB396_23
; %bb.22:                               ;   in Loop: Header=BB396_7 Depth=1
	flat_store_b128 v[36:37], v[2:5]
.LBB396_23:                             ;   in Loop: Header=BB396_7 Depth=1
	s_wait_xcnt 0x0
	s_or_b32 exec_lo, exec_lo, s28
	s_and_saveexec_b32 s28, s34
	s_cbranch_execz .LBB396_28
; %bb.24:                               ;   in Loop: Header=BB396_7 Depth=1
	v_mul_f64_e32 v[2:3], s[14:15], v[34:35]
	v_mul_f64_e32 v[4:5], s[12:13], v[34:35]
	v_lshl_add_u64 v[30:31], v[12:13], 4, v[30:31]
	s_and_not1_b32 vcc_lo, exec_lo, s26
	s_mov_b32 s29, -1
	s_delay_alu instid0(VALU_DEP_3) | instskip(NEXT) | instid1(VALU_DEP_3)
	v_fma_f64 v[2:3], s[12:13], v[32:33], -v[2:3]
	v_fmac_f64_e32 v[4:5], s[14:15], v[32:33]
	s_cbranch_vccnz .LBB396_26
; %bb.25:                               ;   in Loop: Header=BB396_7 Depth=1
	flat_load_b128 v[32:35], v[30:31]
	s_mov_b32 s29, 0
	s_wait_loadcnt_dscnt 0x0
	v_mul_f64_e32 v[36:37], s[6:7], v[34:35]
	v_mul_f64_e32 v[34:35], s[4:5], v[34:35]
	s_delay_alu instid0(VALU_DEP_2) | instskip(NEXT) | instid1(VALU_DEP_2)
	v_fma_f64 v[36:37], s[4:5], v[32:33], -v[36:37]
	v_fmac_f64_e32 v[34:35], s[6:7], v[32:33]
	s_delay_alu instid0(VALU_DEP_2) | instskip(NEXT) | instid1(VALU_DEP_2)
	v_add_f64_e32 v[32:33], v[2:3], v[36:37]
	v_add_f64_e32 v[34:35], v[4:5], v[34:35]
	flat_store_b128 v[30:31], v[32:35]
.LBB396_26:                             ;   in Loop: Header=BB396_7 Depth=1
	s_and_not1_b32 vcc_lo, exec_lo, s29
	s_cbranch_vccnz .LBB396_28
; %bb.27:                               ;   in Loop: Header=BB396_7 Depth=1
	flat_store_b128 v[30:31], v[2:5]
.LBB396_28:                             ;   in Loop: Header=BB396_7 Depth=1
	s_wait_xcnt 0x0
	s_or_b32 exec_lo, exec_lo, s28
	v_lshl_add_u64 v[28:29], v[14:15], 4, v[28:29]
	s_and_saveexec_b32 s28, s16
	s_cbranch_execz .LBB396_33
; %bb.29:                               ;   in Loop: Header=BB396_7 Depth=1
	v_mul_f64_e32 v[2:3], s[14:15], v[26:27]
	v_mul_f64_e32 v[4:5], s[12:13], v[26:27]
	s_and_not1_b32 vcc_lo, exec_lo, s26
	s_mov_b32 s29, -1
	s_delay_alu instid0(VALU_DEP_2) | instskip(NEXT) | instid1(VALU_DEP_2)
	v_fma_f64 v[2:3], s[12:13], v[24:25], -v[2:3]
	v_fmac_f64_e32 v[4:5], s[14:15], v[24:25]
	v_lshl_add_u64 v[24:25], v[8:9], 4, v[28:29]
	s_cbranch_vccnz .LBB396_31
; %bb.30:                               ;   in Loop: Header=BB396_7 Depth=1
	flat_load_b128 v[30:33], v[24:25]
	s_mov_b32 s29, 0
	s_wait_loadcnt_dscnt 0x0
	v_mul_f64_e32 v[26:27], s[6:7], v[32:33]
	v_mul_f64_e32 v[32:33], s[4:5], v[32:33]
	s_delay_alu instid0(VALU_DEP_2) | instskip(NEXT) | instid1(VALU_DEP_2)
	v_fma_f64 v[26:27], s[4:5], v[30:31], -v[26:27]
	v_fmac_f64_e32 v[32:33], s[6:7], v[30:31]
	s_delay_alu instid0(VALU_DEP_2) | instskip(NEXT) | instid1(VALU_DEP_2)
	v_add_f64_e32 v[30:31], v[2:3], v[26:27]
	v_add_f64_e32 v[32:33], v[4:5], v[32:33]
	flat_store_b128 v[24:25], v[30:33]
.LBB396_31:                             ;   in Loop: Header=BB396_7 Depth=1
	s_and_not1_b32 vcc_lo, exec_lo, s29
	s_cbranch_vccnz .LBB396_33
; %bb.32:                               ;   in Loop: Header=BB396_7 Depth=1
	flat_store_b128 v[24:25], v[2:5]
.LBB396_33:                             ;   in Loop: Header=BB396_7 Depth=1
	s_wait_xcnt 0x0
	s_or_b32 exec_lo, exec_lo, s28
	s_and_saveexec_b32 s28, s17
	s_cbranch_execz .LBB396_6
; %bb.34:                               ;   in Loop: Header=BB396_7 Depth=1
	s_delay_alu instid0(VALU_DEP_4) | instskip(SKIP_3) | instid1(VALU_DEP_2)
	v_mul_f64_e32 v[2:3], s[14:15], v[22:23]
	v_mul_f64_e32 v[4:5], s[12:13], v[22:23]
	s_and_not1_b32 vcc_lo, exec_lo, s26
	s_mov_b32 s29, -1
	v_fma_f64 v[2:3], s[12:13], v[20:21], -v[2:3]
	s_delay_alu instid0(VALU_DEP_2)
	v_fmac_f64_e32 v[4:5], s[14:15], v[20:21]
	v_lshl_add_u64 v[20:21], v[12:13], 4, v[28:29]
	s_cbranch_vccnz .LBB396_36
; %bb.35:                               ;   in Loop: Header=BB396_7 Depth=1
	flat_load_b128 v[22:25], v[20:21]
	s_mov_b32 s29, 0
	s_wait_loadcnt_dscnt 0x0
	v_mul_f64_e32 v[26:27], s[6:7], v[24:25]
	v_mul_f64_e32 v[24:25], s[4:5], v[24:25]
	s_delay_alu instid0(VALU_DEP_2) | instskip(NEXT) | instid1(VALU_DEP_2)
	v_fma_f64 v[26:27], s[4:5], v[22:23], -v[26:27]
	v_fmac_f64_e32 v[24:25], s[6:7], v[22:23]
	s_delay_alu instid0(VALU_DEP_2) | instskip(NEXT) | instid1(VALU_DEP_2)
	v_add_f64_e32 v[22:23], v[2:3], v[26:27]
	v_add_f64_e32 v[24:25], v[4:5], v[24:25]
	flat_store_b128 v[20:21], v[22:25]
.LBB396_36:                             ;   in Loop: Header=BB396_7 Depth=1
	s_and_not1_b32 vcc_lo, exec_lo, s29
	s_cbranch_vccnz .LBB396_6
; %bb.37:                               ;   in Loop: Header=BB396_7 Depth=1
	flat_store_b128 v[20:21], v[2:5]
	s_branch .LBB396_6
.LBB396_38:
.LBB396_39:
	s_sendmsg sendmsg(MSG_DEALLOC_VGPRS)
	s_endpgm
	.section	.rodata,"a",@progbits
	.p2align	6, 0x0
	.amdhsa_kernel _ZL29rocblas_internal_gemmt_kernelIiLi16ELi32ELi8ELc78ELc78ELc85ELb0ELb0E19rocblas_complex_numIdEPKS1_PKS3_PKPS1_EviT_T9_T10_S9_lSB_S9_lSA_T11_S9_li
		.amdhsa_group_segment_fixed_size 8192
		.amdhsa_private_segment_fixed_size 0
		.amdhsa_kernarg_size 100
		.amdhsa_user_sgpr_count 2
		.amdhsa_user_sgpr_dispatch_ptr 0
		.amdhsa_user_sgpr_queue_ptr 0
		.amdhsa_user_sgpr_kernarg_segment_ptr 1
		.amdhsa_user_sgpr_dispatch_id 0
		.amdhsa_user_sgpr_kernarg_preload_length 0
		.amdhsa_user_sgpr_kernarg_preload_offset 0
		.amdhsa_user_sgpr_private_segment_size 0
		.amdhsa_wavefront_size32 1
		.amdhsa_uses_dynamic_stack 0
		.amdhsa_enable_private_segment 0
		.amdhsa_system_sgpr_workgroup_id_x 1
		.amdhsa_system_sgpr_workgroup_id_y 1
		.amdhsa_system_sgpr_workgroup_id_z 1
		.amdhsa_system_sgpr_workgroup_info 0
		.amdhsa_system_vgpr_workitem_id 1
		.amdhsa_next_free_vgpr 132
		.amdhsa_next_free_sgpr 41
		.amdhsa_named_barrier_count 0
		.amdhsa_reserve_vcc 1
		.amdhsa_float_round_mode_32 0
		.amdhsa_float_round_mode_16_64 0
		.amdhsa_float_denorm_mode_32 3
		.amdhsa_float_denorm_mode_16_64 3
		.amdhsa_fp16_overflow 0
		.amdhsa_memory_ordered 1
		.amdhsa_forward_progress 1
		.amdhsa_inst_pref_size 24
		.amdhsa_round_robin_scheduling 0
		.amdhsa_exception_fp_ieee_invalid_op 0
		.amdhsa_exception_fp_denorm_src 0
		.amdhsa_exception_fp_ieee_div_zero 0
		.amdhsa_exception_fp_ieee_overflow 0
		.amdhsa_exception_fp_ieee_underflow 0
		.amdhsa_exception_fp_ieee_inexact 0
		.amdhsa_exception_int_div_zero 0
	.end_amdhsa_kernel
	.section	.text._ZL29rocblas_internal_gemmt_kernelIiLi16ELi32ELi8ELc78ELc78ELc85ELb0ELb0E19rocblas_complex_numIdEPKS1_PKS3_PKPS1_EviT_T9_T10_S9_lSB_S9_lSA_T11_S9_li,"axG",@progbits,_ZL29rocblas_internal_gemmt_kernelIiLi16ELi32ELi8ELc78ELc78ELc85ELb0ELb0E19rocblas_complex_numIdEPKS1_PKS3_PKPS1_EviT_T9_T10_S9_lSB_S9_lSA_T11_S9_li,comdat
.Lfunc_end396:
	.size	_ZL29rocblas_internal_gemmt_kernelIiLi16ELi32ELi8ELc78ELc78ELc85ELb0ELb0E19rocblas_complex_numIdEPKS1_PKS3_PKPS1_EviT_T9_T10_S9_lSB_S9_lSA_T11_S9_li, .Lfunc_end396-_ZL29rocblas_internal_gemmt_kernelIiLi16ELi32ELi8ELc78ELc78ELc85ELb0ELb0E19rocblas_complex_numIdEPKS1_PKS3_PKPS1_EviT_T9_T10_S9_lSB_S9_lSA_T11_S9_li
                                        ; -- End function
	.set _ZL29rocblas_internal_gemmt_kernelIiLi16ELi32ELi8ELc78ELc78ELc85ELb0ELb0E19rocblas_complex_numIdEPKS1_PKS3_PKPS1_EviT_T9_T10_S9_lSB_S9_lSA_T11_S9_li.num_vgpr, 132
	.set _ZL29rocblas_internal_gemmt_kernelIiLi16ELi32ELi8ELc78ELc78ELc85ELb0ELb0E19rocblas_complex_numIdEPKS1_PKS3_PKPS1_EviT_T9_T10_S9_lSB_S9_lSA_T11_S9_li.num_agpr, 0
	.set _ZL29rocblas_internal_gemmt_kernelIiLi16ELi32ELi8ELc78ELc78ELc85ELb0ELb0E19rocblas_complex_numIdEPKS1_PKS3_PKPS1_EviT_T9_T10_S9_lSB_S9_lSA_T11_S9_li.numbered_sgpr, 41
	.set _ZL29rocblas_internal_gemmt_kernelIiLi16ELi32ELi8ELc78ELc78ELc85ELb0ELb0E19rocblas_complex_numIdEPKS1_PKS3_PKPS1_EviT_T9_T10_S9_lSB_S9_lSA_T11_S9_li.num_named_barrier, 0
	.set _ZL29rocblas_internal_gemmt_kernelIiLi16ELi32ELi8ELc78ELc78ELc85ELb0ELb0E19rocblas_complex_numIdEPKS1_PKS3_PKPS1_EviT_T9_T10_S9_lSB_S9_lSA_T11_S9_li.private_seg_size, 0
	.set _ZL29rocblas_internal_gemmt_kernelIiLi16ELi32ELi8ELc78ELc78ELc85ELb0ELb0E19rocblas_complex_numIdEPKS1_PKS3_PKPS1_EviT_T9_T10_S9_lSB_S9_lSA_T11_S9_li.uses_vcc, 1
	.set _ZL29rocblas_internal_gemmt_kernelIiLi16ELi32ELi8ELc78ELc78ELc85ELb0ELb0E19rocblas_complex_numIdEPKS1_PKS3_PKPS1_EviT_T9_T10_S9_lSB_S9_lSA_T11_S9_li.uses_flat_scratch, 0
	.set _ZL29rocblas_internal_gemmt_kernelIiLi16ELi32ELi8ELc78ELc78ELc85ELb0ELb0E19rocblas_complex_numIdEPKS1_PKS3_PKPS1_EviT_T9_T10_S9_lSB_S9_lSA_T11_S9_li.has_dyn_sized_stack, 0
	.set _ZL29rocblas_internal_gemmt_kernelIiLi16ELi32ELi8ELc78ELc78ELc85ELb0ELb0E19rocblas_complex_numIdEPKS1_PKS3_PKPS1_EviT_T9_T10_S9_lSB_S9_lSA_T11_S9_li.has_recursion, 0
	.set _ZL29rocblas_internal_gemmt_kernelIiLi16ELi32ELi8ELc78ELc78ELc85ELb0ELb0E19rocblas_complex_numIdEPKS1_PKS3_PKPS1_EviT_T9_T10_S9_lSB_S9_lSA_T11_S9_li.has_indirect_call, 0
	.section	.AMDGPU.csdata,"",@progbits
; Kernel info:
; codeLenInByte = 3012
; TotalNumSgprs: 43
; NumVgprs: 132
; ScratchSize: 0
; MemoryBound: 0
; FloatMode: 240
; IeeeMode: 1
; LDSByteSize: 8192 bytes/workgroup (compile time only)
; SGPRBlocks: 0
; VGPRBlocks: 8
; NumSGPRsForWavesPerEU: 43
; NumVGPRsForWavesPerEU: 132
; NamedBarCnt: 0
; Occupancy: 7
; WaveLimiterHint : 1
; COMPUTE_PGM_RSRC2:SCRATCH_EN: 0
; COMPUTE_PGM_RSRC2:USER_SGPR: 2
; COMPUTE_PGM_RSRC2:TRAP_HANDLER: 0
; COMPUTE_PGM_RSRC2:TGID_X_EN: 1
; COMPUTE_PGM_RSRC2:TGID_Y_EN: 1
; COMPUTE_PGM_RSRC2:TGID_Z_EN: 1
; COMPUTE_PGM_RSRC2:TIDIG_COMP_CNT: 1
	.section	.text._ZL29rocblas_internal_gemmt_kernelIiLi16ELi32ELi8ELc78ELc84ELc85ELb0ELb0E19rocblas_complex_numIdEPKS1_PKS3_PKPS1_EviT_T9_T10_S9_lSB_S9_lSA_T11_S9_li,"axG",@progbits,_ZL29rocblas_internal_gemmt_kernelIiLi16ELi32ELi8ELc78ELc84ELc85ELb0ELb0E19rocblas_complex_numIdEPKS1_PKS3_PKPS1_EviT_T9_T10_S9_lSB_S9_lSA_T11_S9_li,comdat
	.globl	_ZL29rocblas_internal_gemmt_kernelIiLi16ELi32ELi8ELc78ELc84ELc85ELb0ELb0E19rocblas_complex_numIdEPKS1_PKS3_PKPS1_EviT_T9_T10_S9_lSB_S9_lSA_T11_S9_li ; -- Begin function _ZL29rocblas_internal_gemmt_kernelIiLi16ELi32ELi8ELc78ELc84ELc85ELb0ELb0E19rocblas_complex_numIdEPKS1_PKS3_PKPS1_EviT_T9_T10_S9_lSB_S9_lSA_T11_S9_li
	.p2align	8
	.type	_ZL29rocblas_internal_gemmt_kernelIiLi16ELi32ELi8ELc78ELc84ELc85ELb0ELb0E19rocblas_complex_numIdEPKS1_PKS3_PKPS1_EviT_T9_T10_S9_lSB_S9_lSA_T11_S9_li,@function
_ZL29rocblas_internal_gemmt_kernelIiLi16ELi32ELi8ELc78ELc84ELc85ELb0ELb0E19rocblas_complex_numIdEPKS1_PKS3_PKPS1_EviT_T9_T10_S9_lSB_S9_lSA_T11_S9_li: ; @_ZL29rocblas_internal_gemmt_kernelIiLi16ELi32ELi8ELc78ELc84ELc85ELb0ELb0E19rocblas_complex_numIdEPKS1_PKS3_PKPS1_EviT_T9_T10_S9_lSB_S9_lSA_T11_S9_li
; %bb.0:
	s_load_b128 s[20:23], s[0:1], 0x38
	s_wait_kmcnt 0x0
	s_load_b128 s[4:7], s[22:23], 0x0
	s_load_b128 s[8:11], s[0:1], 0x8
	s_wait_xcnt 0x0
	s_load_b64 s[22:23], s[0:1], 0x0
	s_wait_kmcnt 0x0
	v_cmp_eq_f64_e64 s2, s[4:5], 1.0
	v_cmp_eq_f64_e64 s3, s[6:7], 0
	s_load_b128 s[12:15], s[8:9], 0x0
	s_and_b32 s2, s2, s3
	s_delay_alu instid0(SALU_CYCLE_1)
	s_and_not1_b32 vcc_lo, exec_lo, s2
	s_mov_b32 s2, -1
	s_cbranch_vccnz .LBB397_3
; %bb.1:
	s_cmp_lg_u32 s23, 0
	s_cbranch_scc0 .LBB397_38
; %bb.2:
	s_wait_kmcnt 0x0
	v_cmp_neq_f64_e64 s2, s[12:13], 0
	v_cmp_neq_f64_e64 s8, s[14:15], 0
	s_or_b32 s2, s2, s8
.LBB397_3:
	s_delay_alu instid0(SALU_CYCLE_1)
	s_and_b32 vcc_lo, exec_lo, s2
	s_cbranch_vccz .LBB397_39
; %bb.4:
	s_load_b32 s27, s[0:1], 0x60
	s_bfe_u32 s2, ttmp6, 0x40014
	s_wait_xcnt 0x0
	s_lshr_b32 s8, ttmp7, 16
	s_add_co_i32 s2, s2, 1
	s_bfe_u32 s16, ttmp6, 0x40008
	s_mul_i32 s9, s8, s2
	s_getreg_b32 s2, hwreg(HW_REG_IB_STS2, 6, 4)
	s_add_co_i32 s16, s16, s9
	s_cmp_eq_u32 s2, 0
	s_mov_b32 s9, 0
	s_cselect_b32 s8, s8, s16
	s_wait_kmcnt 0x0
	s_cmp_ge_u32 s8, s27
	s_cbranch_scc1 .LBB397_39
; %bb.5:
	s_clause 0x4
	s_load_b32 s28, s[0:1], 0x18
	s_load_b32 s30, s[0:1], 0x30
	s_load_b96 s[24:26], s[0:1], 0x48
	s_load_b128 s[16:19], s[0:1], 0x20
	s_load_b64 s[34:35], s[0:1], 0x58
	s_wait_xcnt 0x0
	s_bfe_u32 s1, ttmp6, 0x4000c
	s_bfe_u32 s39, ttmp6, 0x40010
	v_and_b32_e32 v1, 0x3ff, v0
	v_bfe_u32 v3, v0, 10, 10
	s_add_co_i32 s1, s1, 1
	s_add_co_i32 s39, s39, 1
	s_and_b32 s0, ttmp6, 15
	s_mul_i32 s1, ttmp9, s1
	s_bfe_u32 s40, ttmp6, 0x40004
	v_and_b32_e32 v6, 7, v0
	v_lshl_add_u32 v0, v3, 4, v1
	s_add_co_i32 s0, s0, s1
	v_cmp_neq_f64_e64 s33, s[12:13], 0
	v_cmp_neq_f64_e64 s38, s[14:15], 0
	v_lshl_add_u32 v43, v3, 7, 0x1000
	s_wait_kmcnt 0x0
	s_ashr_i32 s29, s28, 31
	s_ashr_i32 s31, s30, 31
	;; [unrolled: 1-line block ×3, first 2 shown]
	s_mov_b32 s36, s26
	s_and_b32 s26, ttmp7, 0xffff
	v_lshrrev_b32_e32 v8, 5, v0
	s_mul_i32 s39, s26, s39
	v_dual_lshrrev_b32 v5, 3, v0 :: v_dual_bitop2_b32 v10, 31, v0 bitop3:0x40
	s_add_co_i32 s40, s40, s39
	s_cmp_eq_u32 s2, 0
	s_cselect_b32 s0, ttmp9, s0
	s_cselect_b32 s1, s26, s40
	s_lshl_b32 s2, s0, 5
	s_delay_alu instid0(SALU_CYCLE_1) | instskip(SKIP_2) | instid1(VALU_DEP_2)
	v_dual_mov_b32 v0, 0 :: v_dual_bitop2_b32 v2, s2, v10 bitop3:0x54
	s_lshl_b32 s0, s1, 5
	v_cmp_neq_f64_e64 s26, s[4:5], 0
	v_dual_mov_b32 v9, v0 :: v_dual_add_nc_u32 v20, s0, v3
	v_dual_mov_b32 v7, v0 :: v_dual_add_nc_u32 v4, s0, v5
	v_ashrrev_i32_e32 v3, 31, v2
	v_cmp_gt_i32_e32 vcc_lo, s22, v2
	s_delay_alu instid0(VALU_DEP_4)
	v_mul_u64_e32 v[18:19], s[28:29], v[8:9]
	v_lshlrev_b32_e32 v9, 4, v10
	v_lshlrev_b32_e32 v10, 4, v6
	v_mul_u64_e32 v[22:23], s[30:31], v[6:7]
	v_dual_add_nc_u32 v24, 16, v20 :: v_dual_ashrrev_i32 v21, 31, v20
	s_or_b32 s38, s33, s38
	s_delay_alu instid0(VALU_DEP_3) | instskip(NEXT) | instid1(VALU_DEP_2)
	v_lshl_or_b32 v5, v5, 7, v10
	v_dual_add_nc_u32 v10, s2, v1 :: v_dual_ashrrev_i32 v25, 31, v24
	s_delay_alu instid0(VALU_DEP_3) | instskip(SKIP_1) | instid1(VALU_DEP_4)
	v_mul_u64_e32 v[12:13], s[36:37], v[20:21]
	v_lshl_or_b32 v7, v8, 9, v9
	v_add_nc_u32_e32 v9, 0x1000, v5
	s_delay_alu instid0(VALU_DEP_4)
	v_dual_ashrrev_i32 v5, 31, v4 :: v_dual_add_nc_u32 v14, 16, v10
	v_mul_u64_e32 v[16:17], s[36:37], v[24:25]
	s_cmp_gt_i32 s23, 0
	v_cmp_gt_i32_e64 s1, s22, v20
	s_cselect_b32 s39, -1, 0
	s_lshl_b64 s[16:17], s[16:17], 4
	v_cmp_le_i32_e64 s2, v10, v20
	s_xor_b32 s33, s3, -1
	v_cmp_le_i32_e64 s3, v14, v20
	v_cmp_gt_i32_e64 s0, s22, v4
	v_dual_lshlrev_b32 v42, 4, v1 :: v_dual_ashrrev_i32 v11, 31, v10
	s_or_b32 s26, s26, s33
	s_and_b32 s33, s1, s2
	s_and_b32 s36, s1, s3
	v_cmp_gt_i32_e64 s1, s22, v24
	v_cmp_le_i32_e64 s2, v10, v24
	v_cmp_le_i32_e64 s3, v14, v24
	v_lshl_add_u64 v[18:19], v[18:19], 4, s[16:17]
	s_lshl_b64 s[16:17], s[20:21], 4
	v_ashrrev_i32_e32 v15, 31, v14
	v_lshl_add_u64 v[20:21], v[22:23], 4, s[16:17]
	s_and_b32 s20, s1, s2
	v_lshl_add_u64 v[18:19], v[2:3], 4, v[18:19]
	s_and_b32 s21, s1, s3
	s_lshl_b64 s[2:3], s[28:29], 7
	v_lshl_add_u64 v[20:21], v[4:5], 4, v[20:21]
	s_lshl_b64 s[16:17], s[30:31], 7
	s_and_b32 s22, s38, s39
	s_xor_b32 s28, vcc_lo, -1
	s_xor_b32 s29, s0, -1
	s_lshl_b64 s[0:1], s[34:35], 4
	s_branch .LBB397_7
.LBB397_6:                              ;   in Loop: Header=BB397_7 Depth=1
	s_wait_xcnt 0x0
	s_or_b32 exec_lo, exec_lo, s30
	s_add_co_i32 s8, s8, 0x10000
	s_delay_alu instid0(SALU_CYCLE_1)
	s_cmp_lt_u32 s8, s27
	s_cbranch_scc0 .LBB397_39
.LBB397_7:                              ; =>This Loop Header: Depth=1
                                        ;     Child Loop BB397_10 Depth 2
	v_mov_b32_e32 v1, s8
	v_mov_b64_e32 v[38:39], 0
	v_mov_b64_e32 v[40:41], 0
	;; [unrolled: 1-line block ×4, first 2 shown]
	global_load_b64 v[4:5], v1, s[24:25] scale_offset
	v_mov_b64_e32 v[26:27], 0
	v_mov_b64_e32 v[28:29], 0
	;; [unrolled: 1-line block ×4, first 2 shown]
	s_and_not1_b32 vcc_lo, exec_lo, s22
	s_cbranch_vccnz .LBB397_18
; %bb.8:                                ;   in Loop: Header=BB397_7 Depth=1
	s_lshl_b64 s[30:31], s[8:9], 3
	v_mov_b64_e32 v[24:25], 0
	s_add_nc_u64 s[34:35], s[10:11], s[30:31]
	s_add_nc_u64 s[30:31], s[18:19], s[30:31]
	s_clause 0x1
	global_load_b64 v[2:3], v0, s[34:35]
	global_load_b64 v[32:33], v0, s[30:31]
	v_mov_b64_e32 v[22:23], 0
	v_mov_b64_e32 v[28:29], 0
	v_mov_b64_e32 v[26:27], 0
	v_mov_b64_e32 v[36:37], 0
	v_mov_b64_e32 v[34:35], 0
	v_mov_b64_e32 v[40:41], 0
	v_mov_b64_e32 v[38:39], 0
	s_wait_xcnt 0x0
	s_mov_b32 s30, 0
	s_wait_loadcnt 0x1
	v_add_nc_u64_e32 v[30:31], v[2:3], v[18:19]
	s_wait_loadcnt 0x0
	v_add_nc_u64_e32 v[32:33], v[32:33], v[20:21]
	s_branch .LBB397_10
.LBB397_9:                              ;   in Loop: Header=BB397_10 Depth=2
	s_wait_xcnt 0x0
	s_or_b32 exec_lo, exec_lo, s31
	s_wait_dscnt 0x0
	s_barrier_signal -1
	s_barrier_wait -1
	ds_load_b128 v[44:47], v43
	ds_load_b128 v[48:51], v42
	ds_load_b128 v[52:55], v42 offset:256
	ds_load_b128 v[56:59], v43 offset:2048
	;; [unrolled: 1-line block ×10, first 2 shown]
	v_add_nc_u64_e32 v[30:31], s[2:3], v[30:31]
	v_add_nc_u64_e32 v[32:33], s[16:17], v[32:33]
	s_add_co_i32 s30, s30, 8
	s_delay_alu instid0(SALU_CYCLE_1)
	s_cmp_lt_i32 s30, s23
	s_wait_dscnt 0xa
	v_mul_f64_e32 v[2:3], v[46:47], v[50:51]
	v_mul_f64_e32 v[92:93], v[44:45], v[50:51]
	s_wait_dscnt 0x9
	v_mul_f64_e32 v[94:95], v[46:47], v[54:55]
	v_mul_f64_e32 v[96:97], v[44:45], v[54:55]
	s_wait_dscnt 0x8
	v_mul_f64_e32 v[98:99], v[58:59], v[50:51]
	v_mul_f64_e32 v[100:101], v[56:57], v[50:51]
	v_mul_f64_e32 v[50:51], v[58:59], v[54:55]
	v_mul_f64_e32 v[102:103], v[56:57], v[54:55]
	s_wait_dscnt 0x6
	v_mul_f64_e32 v[104:105], v[62:63], v[66:67]
	v_mul_f64_e32 v[106:107], v[60:61], v[66:67]
	s_wait_dscnt 0x5
	v_mul_f64_e32 v[108:109], v[62:63], v[70:71]
	v_mul_f64_e32 v[110:111], v[60:61], v[70:71]
	s_wait_dscnt 0x4
	v_mul_f64_e32 v[112:113], v[74:75], v[66:67]
	v_mul_f64_e32 v[66:67], v[72:73], v[66:67]
	v_mul_f64_e32 v[114:115], v[74:75], v[70:71]
	v_mul_f64_e32 v[70:71], v[72:73], v[70:71]
	;; [unrolled: 11-line block ×3, first 2 shown]
	v_fma_f64 v[2:3], v[44:45], v[48:49], -v[2:3]
	v_fmac_f64_e32 v[92:93], v[46:47], v[48:49]
	v_fma_f64 v[94:95], v[44:45], v[52:53], -v[94:95]
	v_fmac_f64_e32 v[96:97], v[46:47], v[52:53]
	;; [unrolled: 2-line block ×8, first 2 shown]
	ds_load_b128 v[44:47], v43 offset:48
	ds_load_b128 v[48:51], v43 offset:2096
	;; [unrolled: 1-line block ×4, first 2 shown]
	v_fma_f64 v[118:119], v[76:77], v[80:81], -v[118:119]
	v_fmac_f64_e32 v[120:121], v[78:79], v[80:81]
	v_fma_f64 v[76:77], v[76:77], v[84:85], -v[122:123]
	v_fmac_f64_e32 v[124:125], v[78:79], v[84:85]
	;; [unrolled: 2-line block ×4, first 2 shown]
	v_add_f64_e32 v[2:3], v[38:39], v[2:3]
	v_add_f64_e32 v[68:69], v[92:93], v[40:41]
	;; [unrolled: 1-line block ×8, first 2 shown]
	s_wait_dscnt 0x1
	v_mul_f64_e32 v[100:101], v[46:47], v[54:55]
	v_mul_f64_e32 v[102:103], v[44:45], v[54:55]
	s_wait_dscnt 0x0
	v_mul_f64_e32 v[108:109], v[46:47], v[58:59]
	v_mul_f64_e32 v[112:113], v[44:45], v[58:59]
	;; [unrolled: 1-line block ×6, first 2 shown]
	ds_load_b128 v[22:25], v43 offset:64
	ds_load_b128 v[26:29], v42 offset:2048
	;; [unrolled: 1-line block ×4, first 2 shown]
	v_add_f64_e32 v[2:3], v[2:3], v[104:105]
	v_add_f64_e32 v[84:85], v[106:107], v[68:69]
	v_add_f64_e32 v[88:89], v[72:73], v[60:61]
	v_add_f64_e32 v[74:75], v[110:111], v[74:75]
	v_add_f64_e32 v[90:91], v[92:93], v[62:63]
	v_add_f64_e32 v[92:93], v[66:67], v[94:95]
	v_add_f64_e32 v[94:95], v[96:97], v[64:65]
	v_add_f64_e32 v[96:97], v[70:71], v[98:99]
	s_wait_dscnt 0x2
	v_mul_f64_e32 v[98:99], v[24:25], v[28:29]
	v_mul_f64_e32 v[104:105], v[22:23], v[28:29]
	s_wait_dscnt 0x1
	v_mul_f64_e32 v[106:107], v[24:25], v[36:37]
	v_mul_f64_e32 v[110:111], v[22:23], v[36:37]
	;; [unrolled: 3-line block ×3, first 2 shown]
	v_mul_f64_e32 v[28:29], v[40:41], v[36:37]
	v_mul_f64_e32 v[128:129], v[38:39], v[36:37]
	v_fma_f64 v[36:37], v[44:45], v[52:53], -v[100:101]
	v_fmac_f64_e32 v[102:103], v[46:47], v[52:53]
	v_fma_f64 v[100:101], v[44:45], v[56:57], -v[108:109]
	v_fmac_f64_e32 v[112:113], v[46:47], v[56:57]
	;; [unrolled: 2-line block ×4, first 2 shown]
	ds_load_b128 v[58:61], v43 offset:80
	ds_load_b128 v[62:65], v43 offset:2128
	;; [unrolled: 1-line block ×4, first 2 shown]
	v_add_f64_e32 v[2:3], v[2:3], v[118:119]
	v_add_f64_e32 v[56:57], v[120:121], v[84:85]
	;; [unrolled: 1-line block ×8, first 2 shown]
	v_fma_f64 v[98:99], v[22:23], v[26:27], -v[98:99]
	v_fmac_f64_e32 v[104:105], v[24:25], v[26:27]
	v_fma_f64 v[106:107], v[22:23], v[34:35], -v[106:107]
	s_wait_dscnt 0x1
	v_mul_f64_e32 v[90:91], v[60:61], v[68:69]
	v_mul_f64_e32 v[92:93], v[58:59], v[68:69]
	s_wait_dscnt 0x0
	v_mul_f64_e32 v[94:95], v[60:61], v[72:73]
	v_mul_f64_e32 v[96:97], v[58:59], v[72:73]
	;; [unrolled: 1-line block ×6, first 2 shown]
	v_fmac_f64_e32 v[110:111], v[24:25], v[34:35]
	v_fma_f64 v[122:123], v[38:39], v[26:27], -v[122:123]
	v_fmac_f64_e32 v[126:127], v[40:41], v[26:27]
	v_fma_f64 v[124:125], v[38:39], v[34:35], -v[28:29]
	v_fmac_f64_e32 v[128:129], v[40:41], v[34:35]
	ds_load_b128 v[44:47], v43 offset:96
	ds_load_b128 v[48:51], v42 offset:3072
	;; [unrolled: 1-line block ×4, first 2 shown]
	v_add_f64_e32 v[2:3], v[2:3], v[36:37]
	v_add_f64_e32 v[56:57], v[102:103], v[56:57]
	v_add_f64_e32 v[84:85], v[84:85], v[100:101]
	v_add_f64_e32 v[88:89], v[112:113], v[88:89]
	v_add_f64_e32 v[78:79], v[78:79], v[108:109]
	v_add_f64_e32 v[82:83], v[116:117], v[82:83]
	v_add_f64_e32 v[80:81], v[80:81], v[114:115]
	v_add_f64_e32 v[86:87], v[130:131], v[86:87]
	ds_load_b128 v[22:25], v43 offset:112
	ds_load_b128 v[26:29], v43 offset:2160
	;; [unrolled: 1-line block ×4, first 2 shown]
	s_wait_dscnt 0x0
	v_mul_f64_e32 v[100:101], v[46:47], v[50:51]
	v_mul_f64_e32 v[102:103], v[44:45], v[50:51]
	;; [unrolled: 1-line block ×8, first 2 shown]
	v_fma_f64 v[90:91], v[58:59], v[66:67], -v[90:91]
	v_fmac_f64_e32 v[92:93], v[60:61], v[66:67]
	v_fma_f64 v[58:59], v[58:59], v[70:71], -v[94:95]
	v_fmac_f64_e32 v[96:97], v[60:61], v[70:71]
	;; [unrolled: 2-line block ×4, first 2 shown]
	s_barrier_signal -1
	s_barrier_wait -1
	v_mul_f64_e32 v[94:95], v[22:23], v[40:41]
	v_add_f64_e32 v[2:3], v[2:3], v[98:99]
	v_add_f64_e32 v[56:57], v[104:105], v[56:57]
	;; [unrolled: 1-line block ×8, first 2 shown]
	v_mul_f64_e32 v[84:85], v[24:25], v[36:37]
	v_mul_f64_e32 v[86:87], v[22:23], v[36:37]
	;; [unrolled: 1-line block ×7, first 2 shown]
	v_fma_f64 v[40:41], v[44:45], v[48:49], -v[100:101]
	v_fmac_f64_e32 v[102:103], v[46:47], v[48:49]
	v_fma_f64 v[44:45], v[44:45], v[52:53], -v[108:109]
	v_fmac_f64_e32 v[112:113], v[46:47], v[52:53]
	;; [unrolled: 2-line block ×4, first 2 shown]
	v_fmac_f64_e32 v[94:95], v[24:25], v[38:39]
	v_add_f64_e32 v[2:3], v[2:3], v[90:91]
	v_add_f64_e32 v[52:53], v[92:93], v[56:57]
	;; [unrolled: 1-line block ×8, first 2 shown]
	v_fma_f64 v[68:69], v[22:23], v[34:35], -v[84:85]
	v_fmac_f64_e32 v[86:87], v[24:25], v[34:35]
	v_fma_f64 v[22:23], v[22:23], v[38:39], -v[88:89]
	v_fma_f64 v[24:25], v[26:27], v[34:35], -v[98:99]
	v_fmac_f64_e32 v[104:105], v[28:29], v[34:35]
	v_fma_f64 v[70:71], v[26:27], v[38:39], -v[36:37]
	v_fmac_f64_e32 v[106:107], v[28:29], v[38:39]
	v_add_f64_e32 v[2:3], v[2:3], v[40:41]
	v_add_f64_e32 v[26:27], v[102:103], v[52:53]
	;; [unrolled: 1-line block ×16, first 2 shown]
	s_cbranch_scc0 .LBB397_18
.LBB397_10:                             ;   Parent Loop BB397_7 Depth=1
                                        ; =>  This Inner Loop Header: Depth=2
	v_add_nc_u32_e32 v1, s30, v8
	s_delay_alu instid0(VALU_DEP_1) | instskip(SKIP_1) | instid1(SALU_CYCLE_1)
	v_cmp_le_i32_e32 vcc_lo, s23, v1
	s_or_b32 s31, s28, vcc_lo
	s_and_saveexec_b32 s34, s31
	s_delay_alu instid0(SALU_CYCLE_1)
	s_xor_b32 s31, exec_lo, s34
; %bb.11:                               ;   in Loop: Header=BB397_10 Depth=2
	v_dual_mov_b32 v1, v0 :: v_dual_mov_b32 v2, v0
	v_mov_b32_e32 v3, v0
	ds_store_b128 v7, v[0:3]
; %bb.12:                               ;   in Loop: Header=BB397_10 Depth=2
	s_and_not1_saveexec_b32 s31, s31
	s_cbranch_execz .LBB397_14
; %bb.13:                               ;   in Loop: Header=BB397_10 Depth=2
	flat_load_b128 v[44:47], v[30:31]
	s_wait_loadcnt_dscnt 0x0
	ds_store_2addr_b64 v7, v[44:45], v[46:47] offset1:1
.LBB397_14:                             ;   in Loop: Header=BB397_10 Depth=2
	s_wait_xcnt 0x0
	s_or_b32 exec_lo, exec_lo, s31
	v_add_nc_u32_e32 v1, s30, v6
	s_delay_alu instid0(VALU_DEP_1) | instskip(SKIP_1) | instid1(SALU_CYCLE_1)
	v_cmp_le_i32_e32 vcc_lo, s23, v1
	s_or_b32 s31, vcc_lo, s29
	s_and_saveexec_b32 s34, s31
	s_delay_alu instid0(SALU_CYCLE_1)
	s_xor_b32 s31, exec_lo, s34
; %bb.15:                               ;   in Loop: Header=BB397_10 Depth=2
	v_dual_mov_b32 v1, v0 :: v_dual_mov_b32 v2, v0
	v_mov_b32_e32 v3, v0
	ds_store_b128 v9, v[0:3]
; %bb.16:                               ;   in Loop: Header=BB397_10 Depth=2
	s_and_not1_saveexec_b32 s31, s31
	s_cbranch_execz .LBB397_9
; %bb.17:                               ;   in Loop: Header=BB397_10 Depth=2
	flat_load_b128 v[44:47], v[32:33]
	s_wait_loadcnt_dscnt 0x0
	ds_store_2addr_b64 v9, v[44:45], v[46:47] offset1:1
	s_branch .LBB397_9
.LBB397_18:                             ;   in Loop: Header=BB397_7 Depth=1
	s_wait_loadcnt 0x0
	v_add_nc_u64_e32 v[30:31], s[0:1], v[4:5]
	s_delay_alu instid0(VALU_DEP_1)
	v_lshl_add_u64 v[32:33], v[12:13], 4, v[30:31]
	s_wait_xcnt 0x0
	s_and_saveexec_b32 s30, s33
	s_cbranch_execz .LBB397_23
; %bb.19:                               ;   in Loop: Header=BB397_7 Depth=1
	v_mul_f64_e32 v[2:3], s[14:15], v[40:41]
	v_mul_f64_e32 v[4:5], s[12:13], v[40:41]
	s_and_b32 vcc_lo, exec_lo, s26
	s_mov_b32 s31, -1
	s_delay_alu instid0(VALU_DEP_2) | instskip(NEXT) | instid1(VALU_DEP_2)
	v_fma_f64 v[2:3], s[12:13], v[38:39], -v[2:3]
	v_fmac_f64_e32 v[4:5], s[14:15], v[38:39]
	v_lshl_add_u64 v[38:39], v[10:11], 4, v[32:33]
	s_cbranch_vccz .LBB397_21
; %bb.20:                               ;   in Loop: Header=BB397_7 Depth=1
	flat_load_b128 v[44:47], v[38:39]
	s_mov_b32 s31, 0
	s_wait_loadcnt_dscnt 0x0
	v_mul_f64_e32 v[40:41], s[6:7], v[46:47]
	v_mul_f64_e32 v[46:47], s[4:5], v[46:47]
	s_delay_alu instid0(VALU_DEP_2) | instskip(NEXT) | instid1(VALU_DEP_2)
	v_fma_f64 v[40:41], s[4:5], v[44:45], -v[40:41]
	v_fmac_f64_e32 v[46:47], s[6:7], v[44:45]
	s_delay_alu instid0(VALU_DEP_2) | instskip(NEXT) | instid1(VALU_DEP_2)
	v_add_f64_e32 v[44:45], v[2:3], v[40:41]
	v_add_f64_e32 v[46:47], v[4:5], v[46:47]
	flat_store_b128 v[38:39], v[44:47]
.LBB397_21:                             ;   in Loop: Header=BB397_7 Depth=1
	s_and_not1_b32 vcc_lo, exec_lo, s31
	s_cbranch_vccnz .LBB397_23
; %bb.22:                               ;   in Loop: Header=BB397_7 Depth=1
	flat_store_b128 v[38:39], v[2:5]
.LBB397_23:                             ;   in Loop: Header=BB397_7 Depth=1
	s_wait_xcnt 0x0
	s_or_b32 exec_lo, exec_lo, s30
	s_and_saveexec_b32 s30, s36
	s_cbranch_execz .LBB397_28
; %bb.24:                               ;   in Loop: Header=BB397_7 Depth=1
	v_mul_f64_e32 v[2:3], s[14:15], v[36:37]
	v_mul_f64_e32 v[4:5], s[12:13], v[36:37]
	v_lshl_add_u64 v[32:33], v[14:15], 4, v[32:33]
	s_and_not1_b32 vcc_lo, exec_lo, s26
	s_mov_b32 s31, -1
	s_delay_alu instid0(VALU_DEP_3) | instskip(NEXT) | instid1(VALU_DEP_3)
	v_fma_f64 v[2:3], s[12:13], v[34:35], -v[2:3]
	v_fmac_f64_e32 v[4:5], s[14:15], v[34:35]
	s_cbranch_vccnz .LBB397_26
; %bb.25:                               ;   in Loop: Header=BB397_7 Depth=1
	flat_load_b128 v[34:37], v[32:33]
	s_mov_b32 s31, 0
	s_wait_loadcnt_dscnt 0x0
	v_mul_f64_e32 v[38:39], s[6:7], v[36:37]
	v_mul_f64_e32 v[36:37], s[4:5], v[36:37]
	s_delay_alu instid0(VALU_DEP_2) | instskip(NEXT) | instid1(VALU_DEP_2)
	v_fma_f64 v[38:39], s[4:5], v[34:35], -v[38:39]
	v_fmac_f64_e32 v[36:37], s[6:7], v[34:35]
	s_delay_alu instid0(VALU_DEP_2) | instskip(NEXT) | instid1(VALU_DEP_2)
	v_add_f64_e32 v[34:35], v[2:3], v[38:39]
	v_add_f64_e32 v[36:37], v[4:5], v[36:37]
	flat_store_b128 v[32:33], v[34:37]
.LBB397_26:                             ;   in Loop: Header=BB397_7 Depth=1
	s_and_not1_b32 vcc_lo, exec_lo, s31
	s_cbranch_vccnz .LBB397_28
; %bb.27:                               ;   in Loop: Header=BB397_7 Depth=1
	flat_store_b128 v[32:33], v[2:5]
.LBB397_28:                             ;   in Loop: Header=BB397_7 Depth=1
	s_wait_xcnt 0x0
	s_or_b32 exec_lo, exec_lo, s30
	v_lshl_add_u64 v[30:31], v[16:17], 4, v[30:31]
	s_and_saveexec_b32 s30, s20
	s_cbranch_execz .LBB397_33
; %bb.29:                               ;   in Loop: Header=BB397_7 Depth=1
	v_mul_f64_e32 v[2:3], s[14:15], v[28:29]
	v_mul_f64_e32 v[4:5], s[12:13], v[28:29]
	s_and_not1_b32 vcc_lo, exec_lo, s26
	s_mov_b32 s31, -1
	s_delay_alu instid0(VALU_DEP_2) | instskip(NEXT) | instid1(VALU_DEP_2)
	v_fma_f64 v[2:3], s[12:13], v[26:27], -v[2:3]
	v_fmac_f64_e32 v[4:5], s[14:15], v[26:27]
	v_lshl_add_u64 v[26:27], v[10:11], 4, v[30:31]
	s_cbranch_vccnz .LBB397_31
; %bb.30:                               ;   in Loop: Header=BB397_7 Depth=1
	flat_load_b128 v[32:35], v[26:27]
	s_mov_b32 s31, 0
	s_wait_loadcnt_dscnt 0x0
	v_mul_f64_e32 v[28:29], s[6:7], v[34:35]
	v_mul_f64_e32 v[34:35], s[4:5], v[34:35]
	s_delay_alu instid0(VALU_DEP_2) | instskip(NEXT) | instid1(VALU_DEP_2)
	v_fma_f64 v[28:29], s[4:5], v[32:33], -v[28:29]
	v_fmac_f64_e32 v[34:35], s[6:7], v[32:33]
	s_delay_alu instid0(VALU_DEP_2) | instskip(NEXT) | instid1(VALU_DEP_2)
	v_add_f64_e32 v[32:33], v[2:3], v[28:29]
	v_add_f64_e32 v[34:35], v[4:5], v[34:35]
	flat_store_b128 v[26:27], v[32:35]
.LBB397_31:                             ;   in Loop: Header=BB397_7 Depth=1
	s_and_not1_b32 vcc_lo, exec_lo, s31
	s_cbranch_vccnz .LBB397_33
; %bb.32:                               ;   in Loop: Header=BB397_7 Depth=1
	flat_store_b128 v[26:27], v[2:5]
.LBB397_33:                             ;   in Loop: Header=BB397_7 Depth=1
	s_wait_xcnt 0x0
	s_or_b32 exec_lo, exec_lo, s30
	s_and_saveexec_b32 s30, s21
	s_cbranch_execz .LBB397_6
; %bb.34:                               ;   in Loop: Header=BB397_7 Depth=1
	s_delay_alu instid0(VALU_DEP_4) | instskip(SKIP_3) | instid1(VALU_DEP_2)
	v_mul_f64_e32 v[2:3], s[14:15], v[24:25]
	v_mul_f64_e32 v[4:5], s[12:13], v[24:25]
	s_and_not1_b32 vcc_lo, exec_lo, s26
	s_mov_b32 s31, -1
	v_fma_f64 v[2:3], s[12:13], v[22:23], -v[2:3]
	s_delay_alu instid0(VALU_DEP_2)
	v_fmac_f64_e32 v[4:5], s[14:15], v[22:23]
	v_lshl_add_u64 v[22:23], v[14:15], 4, v[30:31]
	s_cbranch_vccnz .LBB397_36
; %bb.35:                               ;   in Loop: Header=BB397_7 Depth=1
	flat_load_b128 v[24:27], v[22:23]
	s_mov_b32 s31, 0
	s_wait_loadcnt_dscnt 0x0
	v_mul_f64_e32 v[28:29], s[6:7], v[26:27]
	v_mul_f64_e32 v[26:27], s[4:5], v[26:27]
	s_delay_alu instid0(VALU_DEP_2) | instskip(NEXT) | instid1(VALU_DEP_2)
	v_fma_f64 v[28:29], s[4:5], v[24:25], -v[28:29]
	v_fmac_f64_e32 v[26:27], s[6:7], v[24:25]
	s_delay_alu instid0(VALU_DEP_2) | instskip(NEXT) | instid1(VALU_DEP_2)
	v_add_f64_e32 v[24:25], v[2:3], v[28:29]
	v_add_f64_e32 v[26:27], v[4:5], v[26:27]
	flat_store_b128 v[22:23], v[24:27]
.LBB397_36:                             ;   in Loop: Header=BB397_7 Depth=1
	s_and_not1_b32 vcc_lo, exec_lo, s31
	s_cbranch_vccnz .LBB397_6
; %bb.37:                               ;   in Loop: Header=BB397_7 Depth=1
	flat_store_b128 v[22:23], v[2:5]
	s_branch .LBB397_6
.LBB397_38:
.LBB397_39:
	s_sendmsg sendmsg(MSG_DEALLOC_VGPRS)
	s_endpgm
	.section	.rodata,"a",@progbits
	.p2align	6, 0x0
	.amdhsa_kernel _ZL29rocblas_internal_gemmt_kernelIiLi16ELi32ELi8ELc78ELc84ELc85ELb0ELb0E19rocblas_complex_numIdEPKS1_PKS3_PKPS1_EviT_T9_T10_S9_lSB_S9_lSA_T11_S9_li
		.amdhsa_group_segment_fixed_size 8192
		.amdhsa_private_segment_fixed_size 0
		.amdhsa_kernarg_size 100
		.amdhsa_user_sgpr_count 2
		.amdhsa_user_sgpr_dispatch_ptr 0
		.amdhsa_user_sgpr_queue_ptr 0
		.amdhsa_user_sgpr_kernarg_segment_ptr 1
		.amdhsa_user_sgpr_dispatch_id 0
		.amdhsa_user_sgpr_kernarg_preload_length 0
		.amdhsa_user_sgpr_kernarg_preload_offset 0
		.amdhsa_user_sgpr_private_segment_size 0
		.amdhsa_wavefront_size32 1
		.amdhsa_uses_dynamic_stack 0
		.amdhsa_enable_private_segment 0
		.amdhsa_system_sgpr_workgroup_id_x 1
		.amdhsa_system_sgpr_workgroup_id_y 1
		.amdhsa_system_sgpr_workgroup_id_z 1
		.amdhsa_system_sgpr_workgroup_info 0
		.amdhsa_system_vgpr_workitem_id 1
		.amdhsa_next_free_vgpr 132
		.amdhsa_next_free_sgpr 41
		.amdhsa_named_barrier_count 0
		.amdhsa_reserve_vcc 1
		.amdhsa_float_round_mode_32 0
		.amdhsa_float_round_mode_16_64 0
		.amdhsa_float_denorm_mode_32 3
		.amdhsa_float_denorm_mode_16_64 3
		.amdhsa_fp16_overflow 0
		.amdhsa_memory_ordered 1
		.amdhsa_forward_progress 1
		.amdhsa_inst_pref_size 24
		.amdhsa_round_robin_scheduling 0
		.amdhsa_exception_fp_ieee_invalid_op 0
		.amdhsa_exception_fp_denorm_src 0
		.amdhsa_exception_fp_ieee_div_zero 0
		.amdhsa_exception_fp_ieee_overflow 0
		.amdhsa_exception_fp_ieee_underflow 0
		.amdhsa_exception_fp_ieee_inexact 0
		.amdhsa_exception_int_div_zero 0
	.end_amdhsa_kernel
	.section	.text._ZL29rocblas_internal_gemmt_kernelIiLi16ELi32ELi8ELc78ELc84ELc85ELb0ELb0E19rocblas_complex_numIdEPKS1_PKS3_PKPS1_EviT_T9_T10_S9_lSB_S9_lSA_T11_S9_li,"axG",@progbits,_ZL29rocblas_internal_gemmt_kernelIiLi16ELi32ELi8ELc78ELc84ELc85ELb0ELb0E19rocblas_complex_numIdEPKS1_PKS3_PKPS1_EviT_T9_T10_S9_lSB_S9_lSA_T11_S9_li,comdat
.Lfunc_end397:
	.size	_ZL29rocblas_internal_gemmt_kernelIiLi16ELi32ELi8ELc78ELc84ELc85ELb0ELb0E19rocblas_complex_numIdEPKS1_PKS3_PKPS1_EviT_T9_T10_S9_lSB_S9_lSA_T11_S9_li, .Lfunc_end397-_ZL29rocblas_internal_gemmt_kernelIiLi16ELi32ELi8ELc78ELc84ELc85ELb0ELb0E19rocblas_complex_numIdEPKS1_PKS3_PKPS1_EviT_T9_T10_S9_lSB_S9_lSA_T11_S9_li
                                        ; -- End function
	.set _ZL29rocblas_internal_gemmt_kernelIiLi16ELi32ELi8ELc78ELc84ELc85ELb0ELb0E19rocblas_complex_numIdEPKS1_PKS3_PKPS1_EviT_T9_T10_S9_lSB_S9_lSA_T11_S9_li.num_vgpr, 132
	.set _ZL29rocblas_internal_gemmt_kernelIiLi16ELi32ELi8ELc78ELc84ELc85ELb0ELb0E19rocblas_complex_numIdEPKS1_PKS3_PKPS1_EviT_T9_T10_S9_lSB_S9_lSA_T11_S9_li.num_agpr, 0
	.set _ZL29rocblas_internal_gemmt_kernelIiLi16ELi32ELi8ELc78ELc84ELc85ELb0ELb0E19rocblas_complex_numIdEPKS1_PKS3_PKPS1_EviT_T9_T10_S9_lSB_S9_lSA_T11_S9_li.numbered_sgpr, 41
	.set _ZL29rocblas_internal_gemmt_kernelIiLi16ELi32ELi8ELc78ELc84ELc85ELb0ELb0E19rocblas_complex_numIdEPKS1_PKS3_PKPS1_EviT_T9_T10_S9_lSB_S9_lSA_T11_S9_li.num_named_barrier, 0
	.set _ZL29rocblas_internal_gemmt_kernelIiLi16ELi32ELi8ELc78ELc84ELc85ELb0ELb0E19rocblas_complex_numIdEPKS1_PKS3_PKPS1_EviT_T9_T10_S9_lSB_S9_lSA_T11_S9_li.private_seg_size, 0
	.set _ZL29rocblas_internal_gemmt_kernelIiLi16ELi32ELi8ELc78ELc84ELc85ELb0ELb0E19rocblas_complex_numIdEPKS1_PKS3_PKPS1_EviT_T9_T10_S9_lSB_S9_lSA_T11_S9_li.uses_vcc, 1
	.set _ZL29rocblas_internal_gemmt_kernelIiLi16ELi32ELi8ELc78ELc84ELc85ELb0ELb0E19rocblas_complex_numIdEPKS1_PKS3_PKPS1_EviT_T9_T10_S9_lSB_S9_lSA_T11_S9_li.uses_flat_scratch, 0
	.set _ZL29rocblas_internal_gemmt_kernelIiLi16ELi32ELi8ELc78ELc84ELc85ELb0ELb0E19rocblas_complex_numIdEPKS1_PKS3_PKPS1_EviT_T9_T10_S9_lSB_S9_lSA_T11_S9_li.has_dyn_sized_stack, 0
	.set _ZL29rocblas_internal_gemmt_kernelIiLi16ELi32ELi8ELc78ELc84ELc85ELb0ELb0E19rocblas_complex_numIdEPKS1_PKS3_PKPS1_EviT_T9_T10_S9_lSB_S9_lSA_T11_S9_li.has_recursion, 0
	.set _ZL29rocblas_internal_gemmt_kernelIiLi16ELi32ELi8ELc78ELc84ELc85ELb0ELb0E19rocblas_complex_numIdEPKS1_PKS3_PKPS1_EviT_T9_T10_S9_lSB_S9_lSA_T11_S9_li.has_indirect_call, 0
	.section	.AMDGPU.csdata,"",@progbits
; Kernel info:
; codeLenInByte = 3008
; TotalNumSgprs: 43
; NumVgprs: 132
; ScratchSize: 0
; MemoryBound: 0
; FloatMode: 240
; IeeeMode: 1
; LDSByteSize: 8192 bytes/workgroup (compile time only)
; SGPRBlocks: 0
; VGPRBlocks: 8
; NumSGPRsForWavesPerEU: 43
; NumVGPRsForWavesPerEU: 132
; NamedBarCnt: 0
; Occupancy: 7
; WaveLimiterHint : 1
; COMPUTE_PGM_RSRC2:SCRATCH_EN: 0
; COMPUTE_PGM_RSRC2:USER_SGPR: 2
; COMPUTE_PGM_RSRC2:TRAP_HANDLER: 0
; COMPUTE_PGM_RSRC2:TGID_X_EN: 1
; COMPUTE_PGM_RSRC2:TGID_Y_EN: 1
; COMPUTE_PGM_RSRC2:TGID_Z_EN: 1
; COMPUTE_PGM_RSRC2:TIDIG_COMP_CNT: 1
	.section	.text._ZL29rocblas_internal_gemmt_kernelIiLi16ELi32ELi8ELc78ELc67ELc85ELb0ELb1E19rocblas_complex_numIdEPKS1_PKS3_PKPS1_EviT_T9_T10_S9_lSB_S9_lSA_T11_S9_li,"axG",@progbits,_ZL29rocblas_internal_gemmt_kernelIiLi16ELi32ELi8ELc78ELc67ELc85ELb0ELb1E19rocblas_complex_numIdEPKS1_PKS3_PKPS1_EviT_T9_T10_S9_lSB_S9_lSA_T11_S9_li,comdat
	.globl	_ZL29rocblas_internal_gemmt_kernelIiLi16ELi32ELi8ELc78ELc67ELc85ELb0ELb1E19rocblas_complex_numIdEPKS1_PKS3_PKPS1_EviT_T9_T10_S9_lSB_S9_lSA_T11_S9_li ; -- Begin function _ZL29rocblas_internal_gemmt_kernelIiLi16ELi32ELi8ELc78ELc67ELc85ELb0ELb1E19rocblas_complex_numIdEPKS1_PKS3_PKPS1_EviT_T9_T10_S9_lSB_S9_lSA_T11_S9_li
	.p2align	8
	.type	_ZL29rocblas_internal_gemmt_kernelIiLi16ELi32ELi8ELc78ELc67ELc85ELb0ELb1E19rocblas_complex_numIdEPKS1_PKS3_PKPS1_EviT_T9_T10_S9_lSB_S9_lSA_T11_S9_li,@function
_ZL29rocblas_internal_gemmt_kernelIiLi16ELi32ELi8ELc78ELc67ELc85ELb0ELb1E19rocblas_complex_numIdEPKS1_PKS3_PKPS1_EviT_T9_T10_S9_lSB_S9_lSA_T11_S9_li: ; @_ZL29rocblas_internal_gemmt_kernelIiLi16ELi32ELi8ELc78ELc67ELc85ELb0ELb1E19rocblas_complex_numIdEPKS1_PKS3_PKPS1_EviT_T9_T10_S9_lSB_S9_lSA_T11_S9_li
; %bb.0:
	s_load_b128 s[20:23], s[0:1], 0x38
	s_wait_kmcnt 0x0
	s_load_b128 s[4:7], s[22:23], 0x0
	s_load_b128 s[8:11], s[0:1], 0x8
	s_wait_xcnt 0x0
	s_load_b64 s[22:23], s[0:1], 0x0
	s_wait_kmcnt 0x0
	v_cmp_eq_f64_e64 s2, s[4:5], 1.0
	v_cmp_eq_f64_e64 s3, s[6:7], 0
	s_load_b128 s[12:15], s[8:9], 0x0
	s_and_b32 s2, s2, s3
	s_delay_alu instid0(SALU_CYCLE_1)
	s_and_not1_b32 vcc_lo, exec_lo, s2
	s_mov_b32 s2, -1
	s_cbranch_vccnz .LBB398_3
; %bb.1:
	s_cmp_lg_u32 s23, 0
	s_cbranch_scc0 .LBB398_36
; %bb.2:
	s_wait_kmcnt 0x0
	v_cmp_neq_f64_e64 s2, s[12:13], 0
	v_cmp_neq_f64_e64 s8, s[14:15], 0
	s_or_b32 s2, s2, s8
.LBB398_3:
	s_delay_alu instid0(SALU_CYCLE_1)
	s_and_b32 vcc_lo, exec_lo, s2
	s_cbranch_vccz .LBB398_37
; %bb.4:
	s_load_b32 s27, s[0:1], 0x60
	s_bfe_u32 s2, ttmp6, 0x40014
	s_wait_xcnt 0x0
	s_lshr_b32 s8, ttmp7, 16
	s_add_co_i32 s2, s2, 1
	s_bfe_u32 s16, ttmp6, 0x40008
	s_mul_i32 s9, s8, s2
	s_getreg_b32 s2, hwreg(HW_REG_IB_STS2, 6, 4)
	s_add_co_i32 s16, s16, s9
	s_cmp_eq_u32 s2, 0
	s_mov_b32 s9, 0
	s_cselect_b32 s8, s8, s16
	s_wait_kmcnt 0x0
	s_cmp_ge_u32 s8, s27
	s_cbranch_scc1 .LBB398_37
; %bb.5:
	s_clause 0x4
	s_load_b32 s30, s[0:1], 0x18
	s_load_b32 s28, s[0:1], 0x30
	s_load_b96 s[24:26], s[0:1], 0x48
	s_load_b128 s[16:19], s[0:1], 0x20
	s_load_b64 s[34:35], s[0:1], 0x58
	s_wait_xcnt 0x0
	s_bfe_u32 s1, ttmp6, 0x4000c
	s_bfe_u32 s39, ttmp6, 0x40010
	v_and_b32_e32 v1, 0x3ff, v0
	v_bfe_u32 v3, v0, 10, 10
	s_add_co_i32 s1, s1, 1
	s_add_co_i32 s39, s39, 1
	s_and_b32 s0, ttmp6, 15
	s_mul_i32 s1, ttmp9, s1
	s_bfe_u32 s40, ttmp6, 0x40004
	v_and_b32_e32 v6, 7, v0
	v_lshl_add_u32 v0, v3, 4, v1
	s_add_co_i32 s0, s0, s1
	v_cmp_neq_f64_e64 s33, s[12:13], 0
	v_cmp_neq_f64_e64 s38, s[14:15], 0
	v_lshl_add_u32 v45, v3, 7, 0x1000
	s_wait_kmcnt 0x0
	s_ashr_i32 s31, s30, 31
	s_ashr_i32 s29, s28, 31
	;; [unrolled: 1-line block ×3, first 2 shown]
	s_mov_b32 s36, s26
	s_and_b32 s26, ttmp7, 0xffff
	v_lshrrev_b32_e32 v8, 5, v0
	s_mul_i32 s39, s26, s39
	v_dual_lshrrev_b32 v5, 3, v0 :: v_dual_bitop2_b32 v10, 31, v0 bitop3:0x40
	s_add_co_i32 s40, s40, s39
	s_cmp_eq_u32 s2, 0
	s_cselect_b32 s0, ttmp9, s0
	s_cselect_b32 s1, s26, s40
	s_lshl_b32 s2, s0, 5
	s_delay_alu instid0(SALU_CYCLE_1) | instskip(SKIP_1) | instid1(SALU_CYCLE_1)
	v_dual_mov_b32 v0, 0 :: v_dual_bitop2_b32 v2, s2, v10 bitop3:0x54
	s_lshl_b32 s0, s1, 5
	v_dual_lshlrev_b32 v10, 4, v10 :: v_dual_add_nc_u32 v4, s0, v5
	s_delay_alu instid0(VALU_DEP_2) | instskip(SKIP_3) | instid1(VALU_DEP_4)
	v_dual_mov_b32 v7, v0 :: v_dual_mov_b32 v9, v0
	v_add_nc_u32_e32 v20, s0, v3
	v_cmp_neq_f64_e64 s26, s[4:5], 0
	v_ashrrev_i32_e32 v3, 31, v2
	v_mul_u64_e32 v[18:19], s[28:29], v[6:7]
	v_mul_u64_e32 v[22:23], s[30:31], v[8:9]
	v_dual_lshlrev_b32 v9, 4, v6 :: v_dual_add_nc_u32 v24, 16, v20
	v_ashrrev_i32_e32 v21, 31, v20
	v_lshl_or_b32 v7, v8, 9, v10
	v_add_nc_u32_e32 v10, s2, v1
	s_delay_alu instid0(VALU_DEP_4)
	v_lshl_or_b32 v5, v5, 7, v9
	v_ashrrev_i32_e32 v25, 31, v24
	v_mul_u64_e32 v[12:13], s[36:37], v[20:21]
	s_or_b32 s38, s33, s38
	s_cmp_gt_i32 s23, 0
	v_add_nc_u32_e32 v9, 0x1000, v5
	v_mul_u64_e32 v[16:17], s[36:37], v[24:25]
	s_cselect_b32 s39, -1, 0
	v_dual_ashrrev_i32 v5, 31, v4 :: v_dual_add_nc_u32 v14, 16, v10
	s_lshl_b64 s[20:21], s[20:21], 4
	v_cmp_gt_i32_e64 s1, s22, v20
	v_cmp_le_i32_e64 s2, v10, v20
	s_xor_b32 s33, s3, -1
	v_cmp_le_i32_e64 s3, v14, v20
	s_lshl_b64 s[16:17], s[16:17], 4
	v_cmp_gt_i32_e32 vcc_lo, s22, v2
	v_cmp_gt_i32_e64 s0, s22, v4
	v_dual_lshlrev_b32 v44, 4, v1 :: v_dual_ashrrev_i32 v11, 31, v10
	s_and_b32 s36, s1, s3
	v_cmp_le_i32_e64 s3, v14, v24
	v_ashrrev_i32_e32 v15, 31, v14
	s_or_b32 s26, s26, s33
	s_and_b32 s33, s1, s2
	v_lshl_add_u64 v[18:19], v[18:19], 4, s[20:21]
	v_lshl_add_u64 v[20:21], v[22:23], 4, s[16:17]
	v_cmp_gt_i32_e64 s1, s22, v24
	v_cmp_le_i32_e64 s2, v10, v24
	s_lshl_b64 s[16:17], s[28:29], 7
	v_lshl_add_u64 v[18:19], v[4:5], 4, v[18:19]
	v_lshl_add_u64 v[20:21], v[2:3], 4, v[20:21]
	s_xor_b32 s28, vcc_lo, -1
	s_and_b32 s22, s1, s2
	s_and_b32 s1, s1, s3
	v_or_b32_e32 v18, 8, v18
	s_lshl_b64 s[2:3], s[30:31], 7
	s_and_b32 s30, s38, s39
	s_lshl_b64 s[20:21], s[34:35], 4
	s_branch .LBB398_7
.LBB398_6:                              ;   in Loop: Header=BB398_7 Depth=1
	s_wait_xcnt 0x0
	s_or_b32 exec_lo, exec_lo, s29
	s_add_co_i32 s8, s8, 0x10000
	s_delay_alu instid0(SALU_CYCLE_1)
	s_cmp_lt_u32 s8, s27
	s_cbranch_scc0 .LBB398_37
.LBB398_7:                              ; =>This Loop Header: Depth=1
                                        ;     Child Loop BB398_10 Depth 2
	v_mov_b32_e32 v1, s8
	v_mov_b64_e32 v[40:41], 0
	v_mov_b64_e32 v[42:43], 0
	;; [unrolled: 1-line block ×4, first 2 shown]
	global_load_b64 v[26:27], v1, s[24:25] scale_offset
	v_mov_b64_e32 v[28:29], 0
	v_mov_b64_e32 v[30:31], 0
	;; [unrolled: 1-line block ×4, first 2 shown]
	s_and_not1_b32 vcc_lo, exec_lo, s30
	s_cbranch_vccnz .LBB398_16
; %bb.8:                                ;   in Loop: Header=BB398_7 Depth=1
	s_lshl_b64 s[34:35], s[8:9], 3
	v_mov_b64_e32 v[24:25], 0
	s_add_nc_u64 s[38:39], s[10:11], s[34:35]
	s_add_nc_u64 s[34:35], s[18:19], s[34:35]
	s_clause 0x1
	global_load_b64 v[2:3], v0, s[38:39]
	global_load_b64 v[4:5], v0, s[34:35]
	v_mov_b64_e32 v[22:23], 0
	v_mov_b64_e32 v[30:31], 0
	;; [unrolled: 1-line block ×7, first 2 shown]
	s_mov_b32 s29, 0
	s_wait_loadcnt 0x1
	v_add_nc_u64_e32 v[32:33], v[2:3], v[20:21]
	s_wait_loadcnt 0x0
	v_add_nc_u64_e32 v[34:35], v[4:5], v[18:19]
	s_branch .LBB398_10
.LBB398_9:                              ;   in Loop: Header=BB398_10 Depth=2
	s_wait_xcnt 0x0
	s_or_b32 exec_lo, exec_lo, s31
	ds_store_b128 v9, v[2:5]
	s_wait_dscnt 0x0
	s_barrier_signal -1
	s_barrier_wait -1
	ds_load_b128 v[2:5], v45
	ds_load_b128 v[46:49], v44
	ds_load_b128 v[50:53], v44 offset:256
	ds_load_b128 v[54:57], v45 offset:2048
	;; [unrolled: 1-line block ×10, first 2 shown]
	v_add_nc_u64_e32 v[32:33], s[2:3], v[32:33]
	v_add_nc_u64_e32 v[34:35], s[16:17], v[34:35]
	s_add_co_i32 s29, s29, 8
	s_delay_alu instid0(SALU_CYCLE_1)
	s_cmp_lt_i32 s29, s23
	s_wait_dscnt 0xa
	v_mul_f64_e32 v[90:91], v[4:5], v[48:49]
	v_mul_f64_e32 v[92:93], v[2:3], v[48:49]
	s_wait_dscnt 0x9
	v_mul_f64_e32 v[94:95], v[4:5], v[52:53]
	v_mul_f64_e32 v[96:97], v[2:3], v[52:53]
	s_wait_dscnt 0x8
	v_mul_f64_e32 v[98:99], v[56:57], v[48:49]
	v_mul_f64_e32 v[100:101], v[54:55], v[48:49]
	v_mul_f64_e32 v[48:49], v[56:57], v[52:53]
	v_mul_f64_e32 v[102:103], v[54:55], v[52:53]
	s_wait_dscnt 0x6
	v_mul_f64_e32 v[104:105], v[60:61], v[64:65]
	v_mul_f64_e32 v[106:107], v[58:59], v[64:65]
	s_wait_dscnt 0x5
	v_mul_f64_e32 v[108:109], v[60:61], v[68:69]
	v_mul_f64_e32 v[110:111], v[58:59], v[68:69]
	s_wait_dscnt 0x4
	v_mul_f64_e32 v[112:113], v[72:73], v[64:65]
	v_mul_f64_e32 v[64:65], v[70:71], v[64:65]
	v_mul_f64_e32 v[114:115], v[72:73], v[68:69]
	v_mul_f64_e32 v[68:69], v[70:71], v[68:69]
	;; [unrolled: 11-line block ×3, first 2 shown]
	v_fma_f64 v[90:91], v[2:3], v[46:47], -v[90:91]
	v_fmac_f64_e32 v[92:93], v[4:5], v[46:47]
	v_fma_f64 v[94:95], v[2:3], v[50:51], -v[94:95]
	v_fmac_f64_e32 v[96:97], v[4:5], v[50:51]
	;; [unrolled: 2-line block ×8, first 2 shown]
	ds_load_b128 v[2:5], v45 offset:48
	ds_load_b128 v[46:49], v45 offset:2096
	;; [unrolled: 1-line block ×4, first 2 shown]
	v_fma_f64 v[118:119], v[74:75], v[78:79], -v[118:119]
	v_fmac_f64_e32 v[120:121], v[76:77], v[78:79]
	v_fma_f64 v[74:75], v[74:75], v[82:83], -v[122:123]
	v_fmac_f64_e32 v[124:125], v[76:77], v[82:83]
	v_fma_f64 v[76:77], v[86:87], v[78:79], -v[126:127]
	v_fmac_f64_e32 v[80:81], v[88:89], v[78:79]
	v_fma_f64 v[78:79], v[86:87], v[82:83], -v[128:129]
	v_fmac_f64_e32 v[84:85], v[88:89], v[82:83]
	v_add_f64_e32 v[66:67], v[40:41], v[90:91]
	v_add_f64_e32 v[70:71], v[92:93], v[42:43]
	;; [unrolled: 1-line block ×8, first 2 shown]
	s_wait_dscnt 0x1
	v_mul_f64_e32 v[100:101], v[4:5], v[52:53]
	v_mul_f64_e32 v[102:103], v[2:3], v[52:53]
	s_wait_dscnt 0x0
	v_mul_f64_e32 v[108:109], v[4:5], v[56:57]
	v_mul_f64_e32 v[112:113], v[2:3], v[56:57]
	;; [unrolled: 1-line block ×6, first 2 shown]
	ds_load_b128 v[22:25], v45 offset:64
	ds_load_b128 v[28:31], v44 offset:2048
	;; [unrolled: 1-line block ×4, first 2 shown]
	v_add_f64_e32 v[82:83], v[66:67], v[104:105]
	v_add_f64_e32 v[86:87], v[106:107], v[70:71]
	;; [unrolled: 1-line block ×8, first 2 shown]
	s_wait_dscnt 0x2
	v_mul_f64_e32 v[98:99], v[24:25], v[30:31]
	v_mul_f64_e32 v[104:105], v[22:23], v[30:31]
	s_wait_dscnt 0x1
	v_mul_f64_e32 v[106:107], v[24:25], v[38:39]
	v_mul_f64_e32 v[110:111], v[22:23], v[38:39]
	;; [unrolled: 3-line block ×3, first 2 shown]
	v_mul_f64_e32 v[30:31], v[42:43], v[38:39]
	v_mul_f64_e32 v[128:129], v[40:41], v[38:39]
	v_fma_f64 v[38:39], v[2:3], v[50:51], -v[100:101]
	v_fmac_f64_e32 v[102:103], v[4:5], v[50:51]
	v_fma_f64 v[100:101], v[2:3], v[54:55], -v[108:109]
	v_fmac_f64_e32 v[112:113], v[4:5], v[54:55]
	;; [unrolled: 2-line block ×4, first 2 shown]
	ds_load_b128 v[56:59], v45 offset:80
	ds_load_b128 v[60:63], v45 offset:2128
	;; [unrolled: 1-line block ×4, first 2 shown]
	v_add_f64_e32 v[54:55], v[82:83], v[118:119]
	v_add_f64_e32 v[82:83], v[120:121], v[86:87]
	;; [unrolled: 1-line block ×8, first 2 shown]
	v_fma_f64 v[98:99], v[22:23], v[28:29], -v[98:99]
	v_fmac_f64_e32 v[104:105], v[24:25], v[28:29]
	v_fma_f64 v[106:107], v[22:23], v[36:37], -v[106:107]
	s_wait_dscnt 0x1
	v_mul_f64_e32 v[90:91], v[58:59], v[66:67]
	v_mul_f64_e32 v[92:93], v[56:57], v[66:67]
	s_wait_dscnt 0x0
	v_mul_f64_e32 v[94:95], v[58:59], v[70:71]
	v_mul_f64_e32 v[96:97], v[56:57], v[70:71]
	;; [unrolled: 1-line block ×6, first 2 shown]
	v_fmac_f64_e32 v[110:111], v[24:25], v[36:37]
	v_fma_f64 v[122:123], v[40:41], v[28:29], -v[122:123]
	v_fmac_f64_e32 v[126:127], v[42:43], v[28:29]
	v_fma_f64 v[124:125], v[40:41], v[36:37], -v[30:31]
	v_fmac_f64_e32 v[128:129], v[42:43], v[36:37]
	ds_load_b128 v[2:5], v45 offset:96
	ds_load_b128 v[46:49], v44 offset:3072
	;; [unrolled: 1-line block ×4, first 2 shown]
	v_add_f64_e32 v[54:55], v[54:55], v[38:39]
	v_add_f64_e32 v[82:83], v[102:103], v[82:83]
	;; [unrolled: 1-line block ×8, first 2 shown]
	ds_load_b128 v[22:25], v45 offset:112
	ds_load_b128 v[28:31], v45 offset:2160
	;; [unrolled: 1-line block ×4, first 2 shown]
	s_wait_dscnt 0x0
	v_mul_f64_e32 v[100:101], v[4:5], v[48:49]
	v_mul_f64_e32 v[102:103], v[2:3], v[48:49]
	;; [unrolled: 1-line block ×8, first 2 shown]
	v_fma_f64 v[90:91], v[56:57], v[64:65], -v[90:91]
	v_fmac_f64_e32 v[92:93], v[58:59], v[64:65]
	v_fma_f64 v[56:57], v[56:57], v[68:69], -v[94:95]
	v_fmac_f64_e32 v[96:97], v[58:59], v[68:69]
	;; [unrolled: 2-line block ×4, first 2 shown]
	s_barrier_signal -1
	s_barrier_wait -1
	v_mul_f64_e32 v[94:95], v[22:23], v[42:43]
	v_add_f64_e32 v[54:55], v[54:55], v[98:99]
	v_add_f64_e32 v[62:63], v[104:105], v[82:83]
	v_add_f64_e32 v[64:65], v[86:87], v[106:107]
	v_add_f64_e32 v[68:69], v[110:111], v[88:89]
	v_add_f64_e32 v[76:77], v[76:77], v[122:123]
	v_add_f64_e32 v[80:81], v[126:127], v[80:81]
	v_add_f64_e32 v[78:79], v[78:79], v[124:125]
	v_add_f64_e32 v[82:83], v[128:129], v[84:85]
	v_mul_f64_e32 v[84:85], v[24:25], v[38:39]
	v_mul_f64_e32 v[86:87], v[22:23], v[38:39]
	;; [unrolled: 1-line block ×7, first 2 shown]
	v_fma_f64 v[42:43], v[2:3], v[46:47], -v[100:101]
	v_fmac_f64_e32 v[102:103], v[4:5], v[46:47]
	v_fma_f64 v[2:3], v[2:3], v[50:51], -v[108:109]
	v_fmac_f64_e32 v[112:113], v[4:5], v[50:51]
	;; [unrolled: 2-line block ×4, first 2 shown]
	v_fmac_f64_e32 v[94:95], v[24:25], v[40:41]
	v_add_f64_e32 v[50:51], v[54:55], v[90:91]
	v_add_f64_e32 v[54:55], v[92:93], v[62:63]
	;; [unrolled: 1-line block ×8, first 2 shown]
	v_fma_f64 v[68:69], v[22:23], v[36:37], -v[84:85]
	v_fmac_f64_e32 v[86:87], v[24:25], v[36:37]
	v_fma_f64 v[22:23], v[22:23], v[40:41], -v[88:89]
	v_fma_f64 v[24:25], v[28:29], v[36:37], -v[98:99]
	v_fmac_f64_e32 v[104:105], v[30:31], v[36:37]
	v_fma_f64 v[70:71], v[28:29], v[40:41], -v[38:39]
	v_fmac_f64_e32 v[106:107], v[30:31], v[40:41]
	v_add_f64_e32 v[28:29], v[50:51], v[42:43]
	v_add_f64_e32 v[30:31], v[102:103], v[54:55]
	;; [unrolled: 1-line block ×16, first 2 shown]
	s_cbranch_scc0 .LBB398_16
.LBB398_10:                             ;   Parent Loop BB398_7 Depth=1
                                        ; =>  This Inner Loop Header: Depth=2
	s_wait_xcnt 0x2
	v_add_nc_u32_e32 v1, s29, v8
	s_delay_alu instid0(VALU_DEP_1) | instskip(SKIP_3) | instid1(SALU_CYCLE_1)
	v_cmp_le_i32_e32 vcc_lo, s23, v1
	s_or_b32 s31, s28, vcc_lo
	s_wait_xcnt 0x0
	s_and_saveexec_b32 s34, s31
	s_xor_b32 s31, exec_lo, s34
; %bb.11:                               ;   in Loop: Header=BB398_10 Depth=2
	v_dual_mov_b32 v1, v0 :: v_dual_mov_b32 v2, v0
	v_mov_b32_e32 v3, v0
	ds_store_b128 v7, v[0:3]
; %bb.12:                               ;   in Loop: Header=BB398_10 Depth=2
	s_and_not1_saveexec_b32 s31, s31
	s_cbranch_execz .LBB398_14
; %bb.13:                               ;   in Loop: Header=BB398_10 Depth=2
	flat_load_b128 v[2:5], v[32:33]
	s_wait_loadcnt_dscnt 0x0
	ds_store_2addr_b64 v7, v[2:3], v[4:5] offset1:1
.LBB398_14:                             ;   in Loop: Header=BB398_10 Depth=2
	s_wait_xcnt 0x0
	s_or_b32 exec_lo, exec_lo, s31
	v_add_nc_u32_e32 v1, s29, v6
	v_mov_b64_e32 v[2:3], 0
	v_mov_b64_e32 v[4:5], 0
	s_delay_alu instid0(VALU_DEP_3) | instskip(SKIP_1) | instid1(SALU_CYCLE_1)
	v_cmp_gt_i32_e32 vcc_lo, s23, v1
	s_and_b32 s34, vcc_lo, s0
	s_and_saveexec_b32 s31, s34
	s_cbranch_execz .LBB398_9
; %bb.15:                               ;   in Loop: Header=BB398_10 Depth=2
	flat_load_b128 v[2:5], v[34:35] offset:-8
	s_wait_loadcnt_dscnt 0x0
	v_xor_b32_e32 v5, 0x80000000, v5
	s_branch .LBB398_9
.LBB398_16:                             ;   in Loop: Header=BB398_7 Depth=1
	s_wait_loadcnt 0x0
	v_add_nc_u64_e32 v[26:27], s[20:21], v[26:27]
	s_delay_alu instid0(VALU_DEP_1)
	v_lshl_add_u64 v[32:33], v[12:13], 4, v[26:27]
	s_wait_xcnt 0x0
	s_and_saveexec_b32 s29, s33
	s_cbranch_execz .LBB398_21
; %bb.17:                               ;   in Loop: Header=BB398_7 Depth=1
	v_mul_f64_e32 v[2:3], s[14:15], v[42:43]
	v_mul_f64_e32 v[4:5], s[12:13], v[42:43]
	v_lshl_add_u64 v[34:35], v[10:11], 4, v[32:33]
	s_and_b32 vcc_lo, exec_lo, s26
	s_mov_b32 s31, -1
	s_delay_alu instid0(VALU_DEP_3) | instskip(NEXT) | instid1(VALU_DEP_3)
	v_fma_f64 v[2:3], s[12:13], v[40:41], -v[2:3]
	v_fmac_f64_e32 v[4:5], s[14:15], v[40:41]
	s_cbranch_vccz .LBB398_19
; %bb.18:                               ;   in Loop: Header=BB398_7 Depth=1
	flat_load_b128 v[40:43], v[34:35]
	s_mov_b32 s31, 0
	s_wait_loadcnt_dscnt 0x0
	v_mul_f64_e32 v[46:47], s[6:7], v[42:43]
	v_mul_f64_e32 v[42:43], s[4:5], v[42:43]
	s_delay_alu instid0(VALU_DEP_2) | instskip(NEXT) | instid1(VALU_DEP_2)
	v_fma_f64 v[46:47], s[4:5], v[40:41], -v[46:47]
	v_fmac_f64_e32 v[42:43], s[6:7], v[40:41]
	s_delay_alu instid0(VALU_DEP_2) | instskip(NEXT) | instid1(VALU_DEP_2)
	v_add_f64_e32 v[40:41], v[2:3], v[46:47]
	v_add_f64_e32 v[42:43], v[4:5], v[42:43]
	flat_store_b128 v[34:35], v[40:43]
.LBB398_19:                             ;   in Loop: Header=BB398_7 Depth=1
	s_and_not1_b32 vcc_lo, exec_lo, s31
	s_cbranch_vccnz .LBB398_21
; %bb.20:                               ;   in Loop: Header=BB398_7 Depth=1
	flat_store_b128 v[34:35], v[2:5]
.LBB398_21:                             ;   in Loop: Header=BB398_7 Depth=1
	s_wait_xcnt 0x0
	s_or_b32 exec_lo, exec_lo, s29
	s_and_saveexec_b32 s29, s36
	s_cbranch_execz .LBB398_26
; %bb.22:                               ;   in Loop: Header=BB398_7 Depth=1
	v_mul_f64_e32 v[2:3], s[14:15], v[38:39]
	v_mul_f64_e32 v[4:5], s[12:13], v[38:39]
	v_lshl_add_u64 v[32:33], v[14:15], 4, v[32:33]
	s_and_not1_b32 vcc_lo, exec_lo, s26
	s_mov_b32 s31, -1
	s_delay_alu instid0(VALU_DEP_3) | instskip(NEXT) | instid1(VALU_DEP_3)
	v_fma_f64 v[2:3], s[12:13], v[36:37], -v[2:3]
	v_fmac_f64_e32 v[4:5], s[14:15], v[36:37]
	s_cbranch_vccnz .LBB398_24
; %bb.23:                               ;   in Loop: Header=BB398_7 Depth=1
	flat_load_b128 v[34:37], v[32:33]
	s_mov_b32 s31, 0
	s_wait_loadcnt_dscnt 0x0
	v_mul_f64_e32 v[38:39], s[6:7], v[36:37]
	v_mul_f64_e32 v[36:37], s[4:5], v[36:37]
	s_delay_alu instid0(VALU_DEP_2) | instskip(NEXT) | instid1(VALU_DEP_2)
	v_fma_f64 v[38:39], s[4:5], v[34:35], -v[38:39]
	v_fmac_f64_e32 v[36:37], s[6:7], v[34:35]
	s_delay_alu instid0(VALU_DEP_2) | instskip(NEXT) | instid1(VALU_DEP_2)
	v_add_f64_e32 v[34:35], v[2:3], v[38:39]
	v_add_f64_e32 v[36:37], v[4:5], v[36:37]
	flat_store_b128 v[32:33], v[34:37]
.LBB398_24:                             ;   in Loop: Header=BB398_7 Depth=1
	s_and_not1_b32 vcc_lo, exec_lo, s31
	s_cbranch_vccnz .LBB398_26
; %bb.25:                               ;   in Loop: Header=BB398_7 Depth=1
	flat_store_b128 v[32:33], v[2:5]
.LBB398_26:                             ;   in Loop: Header=BB398_7 Depth=1
	s_wait_xcnt 0x0
	s_or_b32 exec_lo, exec_lo, s29
	v_lshl_add_u64 v[26:27], v[16:17], 4, v[26:27]
	s_and_saveexec_b32 s29, s22
	s_cbranch_execz .LBB398_31
; %bb.27:                               ;   in Loop: Header=BB398_7 Depth=1
	v_mul_f64_e32 v[2:3], s[14:15], v[30:31]
	v_mul_f64_e32 v[4:5], s[12:13], v[30:31]
	s_and_not1_b32 vcc_lo, exec_lo, s26
	s_mov_b32 s31, -1
	s_delay_alu instid0(VALU_DEP_2) | instskip(NEXT) | instid1(VALU_DEP_2)
	v_fma_f64 v[2:3], s[12:13], v[28:29], -v[2:3]
	v_fmac_f64_e32 v[4:5], s[14:15], v[28:29]
	v_lshl_add_u64 v[28:29], v[10:11], 4, v[26:27]
	s_cbranch_vccnz .LBB398_29
; %bb.28:                               ;   in Loop: Header=BB398_7 Depth=1
	flat_load_b128 v[30:33], v[28:29]
	s_mov_b32 s31, 0
	s_wait_loadcnt_dscnt 0x0
	v_mul_f64_e32 v[34:35], s[6:7], v[32:33]
	v_mul_f64_e32 v[32:33], s[4:5], v[32:33]
	s_delay_alu instid0(VALU_DEP_2) | instskip(NEXT) | instid1(VALU_DEP_2)
	v_fma_f64 v[34:35], s[4:5], v[30:31], -v[34:35]
	v_fmac_f64_e32 v[32:33], s[6:7], v[30:31]
	s_delay_alu instid0(VALU_DEP_2) | instskip(NEXT) | instid1(VALU_DEP_2)
	v_add_f64_e32 v[30:31], v[2:3], v[34:35]
	v_add_f64_e32 v[32:33], v[4:5], v[32:33]
	flat_store_b128 v[28:29], v[30:33]
.LBB398_29:                             ;   in Loop: Header=BB398_7 Depth=1
	s_and_not1_b32 vcc_lo, exec_lo, s31
	s_cbranch_vccnz .LBB398_31
; %bb.30:                               ;   in Loop: Header=BB398_7 Depth=1
	flat_store_b128 v[28:29], v[2:5]
.LBB398_31:                             ;   in Loop: Header=BB398_7 Depth=1
	s_wait_xcnt 0x0
	s_or_b32 exec_lo, exec_lo, s29
	s_and_saveexec_b32 s29, s1
	s_cbranch_execz .LBB398_6
; %bb.32:                               ;   in Loop: Header=BB398_7 Depth=1
	s_delay_alu instid0(VALU_DEP_4) | instskip(SKIP_3) | instid1(VALU_DEP_2)
	v_mul_f64_e32 v[2:3], s[14:15], v[24:25]
	v_mul_f64_e32 v[4:5], s[12:13], v[24:25]
	s_and_not1_b32 vcc_lo, exec_lo, s26
	s_mov_b32 s31, -1
	v_fma_f64 v[2:3], s[12:13], v[22:23], -v[2:3]
	s_delay_alu instid0(VALU_DEP_2)
	v_fmac_f64_e32 v[4:5], s[14:15], v[22:23]
	v_lshl_add_u64 v[22:23], v[14:15], 4, v[26:27]
	s_cbranch_vccnz .LBB398_34
; %bb.33:                               ;   in Loop: Header=BB398_7 Depth=1
	flat_load_b128 v[24:27], v[22:23]
	s_mov_b32 s31, 0
	s_wait_loadcnt_dscnt 0x0
	v_mul_f64_e32 v[28:29], s[6:7], v[26:27]
	v_mul_f64_e32 v[26:27], s[4:5], v[26:27]
	s_delay_alu instid0(VALU_DEP_2) | instskip(NEXT) | instid1(VALU_DEP_2)
	v_fma_f64 v[28:29], s[4:5], v[24:25], -v[28:29]
	v_fmac_f64_e32 v[26:27], s[6:7], v[24:25]
	s_delay_alu instid0(VALU_DEP_2) | instskip(NEXT) | instid1(VALU_DEP_2)
	v_add_f64_e32 v[24:25], v[2:3], v[28:29]
	v_add_f64_e32 v[26:27], v[4:5], v[26:27]
	flat_store_b128 v[22:23], v[24:27]
.LBB398_34:                             ;   in Loop: Header=BB398_7 Depth=1
	s_and_not1_b32 vcc_lo, exec_lo, s31
	s_cbranch_vccnz .LBB398_6
; %bb.35:                               ;   in Loop: Header=BB398_7 Depth=1
	flat_store_b128 v[22:23], v[2:5]
	s_branch .LBB398_6
.LBB398_36:
.LBB398_37:
	s_sendmsg sendmsg(MSG_DEALLOC_VGPRS)
	s_endpgm
	.section	.rodata,"a",@progbits
	.p2align	6, 0x0
	.amdhsa_kernel _ZL29rocblas_internal_gemmt_kernelIiLi16ELi32ELi8ELc78ELc67ELc85ELb0ELb1E19rocblas_complex_numIdEPKS1_PKS3_PKPS1_EviT_T9_T10_S9_lSB_S9_lSA_T11_S9_li
		.amdhsa_group_segment_fixed_size 8192
		.amdhsa_private_segment_fixed_size 0
		.amdhsa_kernarg_size 100
		.amdhsa_user_sgpr_count 2
		.amdhsa_user_sgpr_dispatch_ptr 0
		.amdhsa_user_sgpr_queue_ptr 0
		.amdhsa_user_sgpr_kernarg_segment_ptr 1
		.amdhsa_user_sgpr_dispatch_id 0
		.amdhsa_user_sgpr_kernarg_preload_length 0
		.amdhsa_user_sgpr_kernarg_preload_offset 0
		.amdhsa_user_sgpr_private_segment_size 0
		.amdhsa_wavefront_size32 1
		.amdhsa_uses_dynamic_stack 0
		.amdhsa_enable_private_segment 0
		.amdhsa_system_sgpr_workgroup_id_x 1
		.amdhsa_system_sgpr_workgroup_id_y 1
		.amdhsa_system_sgpr_workgroup_id_z 1
		.amdhsa_system_sgpr_workgroup_info 0
		.amdhsa_system_vgpr_workitem_id 1
		.amdhsa_next_free_vgpr 132
		.amdhsa_next_free_sgpr 41
		.amdhsa_named_barrier_count 0
		.amdhsa_reserve_vcc 1
		.amdhsa_float_round_mode_32 0
		.amdhsa_float_round_mode_16_64 0
		.amdhsa_float_denorm_mode_32 3
		.amdhsa_float_denorm_mode_16_64 3
		.amdhsa_fp16_overflow 0
		.amdhsa_memory_ordered 1
		.amdhsa_forward_progress 1
		.amdhsa_inst_pref_size 24
		.amdhsa_round_robin_scheduling 0
		.amdhsa_exception_fp_ieee_invalid_op 0
		.amdhsa_exception_fp_denorm_src 0
		.amdhsa_exception_fp_ieee_div_zero 0
		.amdhsa_exception_fp_ieee_overflow 0
		.amdhsa_exception_fp_ieee_underflow 0
		.amdhsa_exception_fp_ieee_inexact 0
		.amdhsa_exception_int_div_zero 0
	.end_amdhsa_kernel
	.section	.text._ZL29rocblas_internal_gemmt_kernelIiLi16ELi32ELi8ELc78ELc67ELc85ELb0ELb1E19rocblas_complex_numIdEPKS1_PKS3_PKPS1_EviT_T9_T10_S9_lSB_S9_lSA_T11_S9_li,"axG",@progbits,_ZL29rocblas_internal_gemmt_kernelIiLi16ELi32ELi8ELc78ELc67ELc85ELb0ELb1E19rocblas_complex_numIdEPKS1_PKS3_PKPS1_EviT_T9_T10_S9_lSB_S9_lSA_T11_S9_li,comdat
.Lfunc_end398:
	.size	_ZL29rocblas_internal_gemmt_kernelIiLi16ELi32ELi8ELc78ELc67ELc85ELb0ELb1E19rocblas_complex_numIdEPKS1_PKS3_PKPS1_EviT_T9_T10_S9_lSB_S9_lSA_T11_S9_li, .Lfunc_end398-_ZL29rocblas_internal_gemmt_kernelIiLi16ELi32ELi8ELc78ELc67ELc85ELb0ELb1E19rocblas_complex_numIdEPKS1_PKS3_PKPS1_EviT_T9_T10_S9_lSB_S9_lSA_T11_S9_li
                                        ; -- End function
	.set _ZL29rocblas_internal_gemmt_kernelIiLi16ELi32ELi8ELc78ELc67ELc85ELb0ELb1E19rocblas_complex_numIdEPKS1_PKS3_PKPS1_EviT_T9_T10_S9_lSB_S9_lSA_T11_S9_li.num_vgpr, 132
	.set _ZL29rocblas_internal_gemmt_kernelIiLi16ELi32ELi8ELc78ELc67ELc85ELb0ELb1E19rocblas_complex_numIdEPKS1_PKS3_PKPS1_EviT_T9_T10_S9_lSB_S9_lSA_T11_S9_li.num_agpr, 0
	.set _ZL29rocblas_internal_gemmt_kernelIiLi16ELi32ELi8ELc78ELc67ELc85ELb0ELb1E19rocblas_complex_numIdEPKS1_PKS3_PKPS1_EviT_T9_T10_S9_lSB_S9_lSA_T11_S9_li.numbered_sgpr, 41
	.set _ZL29rocblas_internal_gemmt_kernelIiLi16ELi32ELi8ELc78ELc67ELc85ELb0ELb1E19rocblas_complex_numIdEPKS1_PKS3_PKPS1_EviT_T9_T10_S9_lSB_S9_lSA_T11_S9_li.num_named_barrier, 0
	.set _ZL29rocblas_internal_gemmt_kernelIiLi16ELi32ELi8ELc78ELc67ELc85ELb0ELb1E19rocblas_complex_numIdEPKS1_PKS3_PKPS1_EviT_T9_T10_S9_lSB_S9_lSA_T11_S9_li.private_seg_size, 0
	.set _ZL29rocblas_internal_gemmt_kernelIiLi16ELi32ELi8ELc78ELc67ELc85ELb0ELb1E19rocblas_complex_numIdEPKS1_PKS3_PKPS1_EviT_T9_T10_S9_lSB_S9_lSA_T11_S9_li.uses_vcc, 1
	.set _ZL29rocblas_internal_gemmt_kernelIiLi16ELi32ELi8ELc78ELc67ELc85ELb0ELb1E19rocblas_complex_numIdEPKS1_PKS3_PKPS1_EviT_T9_T10_S9_lSB_S9_lSA_T11_S9_li.uses_flat_scratch, 0
	.set _ZL29rocblas_internal_gemmt_kernelIiLi16ELi32ELi8ELc78ELc67ELc85ELb0ELb1E19rocblas_complex_numIdEPKS1_PKS3_PKPS1_EviT_T9_T10_S9_lSB_S9_lSA_T11_S9_li.has_dyn_sized_stack, 0
	.set _ZL29rocblas_internal_gemmt_kernelIiLi16ELi32ELi8ELc78ELc67ELc85ELb0ELb1E19rocblas_complex_numIdEPKS1_PKS3_PKPS1_EviT_T9_T10_S9_lSB_S9_lSA_T11_S9_li.has_recursion, 0
	.set _ZL29rocblas_internal_gemmt_kernelIiLi16ELi32ELi8ELc78ELc67ELc85ELb0ELb1E19rocblas_complex_numIdEPKS1_PKS3_PKPS1_EviT_T9_T10_S9_lSB_S9_lSA_T11_S9_li.has_indirect_call, 0
	.section	.AMDGPU.csdata,"",@progbits
; Kernel info:
; codeLenInByte = 2988
; TotalNumSgprs: 43
; NumVgprs: 132
; ScratchSize: 0
; MemoryBound: 1
; FloatMode: 240
; IeeeMode: 1
; LDSByteSize: 8192 bytes/workgroup (compile time only)
; SGPRBlocks: 0
; VGPRBlocks: 8
; NumSGPRsForWavesPerEU: 43
; NumVGPRsForWavesPerEU: 132
; NamedBarCnt: 0
; Occupancy: 7
; WaveLimiterHint : 1
; COMPUTE_PGM_RSRC2:SCRATCH_EN: 0
; COMPUTE_PGM_RSRC2:USER_SGPR: 2
; COMPUTE_PGM_RSRC2:TRAP_HANDLER: 0
; COMPUTE_PGM_RSRC2:TGID_X_EN: 1
; COMPUTE_PGM_RSRC2:TGID_Y_EN: 1
; COMPUTE_PGM_RSRC2:TGID_Z_EN: 1
; COMPUTE_PGM_RSRC2:TIDIG_COMP_CNT: 1
	.section	.text._ZL29rocblas_internal_gemmt_kernelIiLi16ELi32ELi8ELc84ELc78ELc85ELb0ELb0E19rocblas_complex_numIdEPKS1_PKS3_PKPS1_EviT_T9_T10_S9_lSB_S9_lSA_T11_S9_li,"axG",@progbits,_ZL29rocblas_internal_gemmt_kernelIiLi16ELi32ELi8ELc84ELc78ELc85ELb0ELb0E19rocblas_complex_numIdEPKS1_PKS3_PKPS1_EviT_T9_T10_S9_lSB_S9_lSA_T11_S9_li,comdat
	.globl	_ZL29rocblas_internal_gemmt_kernelIiLi16ELi32ELi8ELc84ELc78ELc85ELb0ELb0E19rocblas_complex_numIdEPKS1_PKS3_PKPS1_EviT_T9_T10_S9_lSB_S9_lSA_T11_S9_li ; -- Begin function _ZL29rocblas_internal_gemmt_kernelIiLi16ELi32ELi8ELc84ELc78ELc85ELb0ELb0E19rocblas_complex_numIdEPKS1_PKS3_PKPS1_EviT_T9_T10_S9_lSB_S9_lSA_T11_S9_li
	.p2align	8
	.type	_ZL29rocblas_internal_gemmt_kernelIiLi16ELi32ELi8ELc84ELc78ELc85ELb0ELb0E19rocblas_complex_numIdEPKS1_PKS3_PKPS1_EviT_T9_T10_S9_lSB_S9_lSA_T11_S9_li,@function
_ZL29rocblas_internal_gemmt_kernelIiLi16ELi32ELi8ELc84ELc78ELc85ELb0ELb0E19rocblas_complex_numIdEPKS1_PKS3_PKPS1_EviT_T9_T10_S9_lSB_S9_lSA_T11_S9_li: ; @_ZL29rocblas_internal_gemmt_kernelIiLi16ELi32ELi8ELc84ELc78ELc85ELb0ELb0E19rocblas_complex_numIdEPKS1_PKS3_PKPS1_EviT_T9_T10_S9_lSB_S9_lSA_T11_S9_li
; %bb.0:
	s_load_b128 s[20:23], s[0:1], 0x38
	s_wait_kmcnt 0x0
	s_load_b128 s[4:7], s[22:23], 0x0
	s_load_b128 s[8:11], s[0:1], 0x8
	s_wait_xcnt 0x0
	s_load_b64 s[22:23], s[0:1], 0x0
	s_wait_kmcnt 0x0
	v_cmp_eq_f64_e64 s2, s[4:5], 1.0
	v_cmp_eq_f64_e64 s33, s[6:7], 0
	s_load_b128 s[12:15], s[8:9], 0x0
	s_and_b32 s2, s2, s33
	s_delay_alu instid0(SALU_CYCLE_1)
	s_and_not1_b32 vcc_lo, exec_lo, s2
	s_mov_b32 s2, -1
	s_cbranch_vccnz .LBB399_3
; %bb.1:
	s_cmp_lg_u32 s23, 0
	s_cbranch_scc0 .LBB399_38
; %bb.2:
	s_wait_kmcnt 0x0
	v_cmp_neq_f64_e64 s2, s[12:13], 0
	v_cmp_neq_f64_e64 s3, s[14:15], 0
	s_or_b32 s2, s2, s3
.LBB399_3:
	s_delay_alu instid0(SALU_CYCLE_1)
	s_and_b32 vcc_lo, exec_lo, s2
	s_cbranch_vccz .LBB399_39
; %bb.4:
	s_load_b32 s27, s[0:1], 0x60
	s_bfe_u32 s2, ttmp6, 0x40014
	s_lshr_b32 s3, ttmp7, 16
	s_add_co_i32 s2, s2, 1
	s_wait_xcnt 0x0
	s_bfe_u32 s8, ttmp6, 0x40008
	s_mul_i32 s2, s3, s2
	s_getreg_b32 s34, hwreg(HW_REG_IB_STS2, 6, 4)
	s_add_co_i32 s8, s8, s2
	s_cmp_eq_u32 s34, 0
	s_mov_b32 s9, 0
	s_cselect_b32 s8, s3, s8
	s_wait_kmcnt 0x0
	s_cmp_ge_u32 s8, s27
	s_cbranch_scc1 .LBB399_39
; %bb.5:
	s_clause 0x2
	s_load_b32 s30, s[0:1], 0x18
	s_load_b32 s2, s[0:1], 0x30
	s_load_b96 s[24:26], s[0:1], 0x48
	v_and_b32_e32 v7, 0x3ff, v0
	v_bfe_u32 v11, v0, 10, 10
	s_clause 0x1
	s_load_b128 s[16:19], s[0:1], 0x20
	s_load_b64 s[28:29], s[0:1], 0x58
	s_wait_xcnt 0x0
	s_bfe_u32 s1, ttmp6, 0x4000c
	s_bfe_u32 s3, ttmp6, 0x40010
	s_and_b32 s38, ttmp7, 0xffff
	s_add_co_i32 s1, s1, 1
	s_add_co_i32 s39, s3, 1
	v_lshl_add_u32 v1, v11, 4, v7
	s_and_b32 s0, ttmp6, 15
	s_mul_i32 s1, ttmp9, s1
	s_mul_i32 s39, s38, s39
	s_bfe_u32 s40, ttmp6, 0x40004
	s_add_co_i32 s0, s0, s1
	s_add_co_i32 s40, s40, s39
	v_dual_lshrrev_b32 v38, 5, v1 :: v_dual_bitop2_b32 v6, 31, v1 bitop3:0x40
	s_wait_kmcnt 0x0
	s_ashr_i32 s31, s30, 31
	s_ashr_i32 s3, s2, 31
	;; [unrolled: 1-line block ×3, first 2 shown]
	s_cmp_eq_u32 s34, 0
	v_cmp_neq_f64_e64 s36, s[12:13], 0
	s_cselect_b32 s0, ttmp9, s0
	s_cselect_b32 s1, s38, s40
	s_lshl_b32 s38, s0, 5
	s_delay_alu instid0(SALU_CYCLE_1) | instskip(SKIP_3) | instid1(VALU_DEP_3)
	v_dual_lshrrev_b32 v8, 3, v1 :: v_dual_bitop2_b32 v2, s38, v6 bitop3:0x54
	s_lshl_b32 s0, s1, 5
	v_and_b32_e32 v39, 7, v0
	v_cmp_neq_f64_e64 s37, s[14:15], 0
	v_dual_add_nc_u32 v0, s0, v8 :: v_dual_ashrrev_i32 v3, 31, v2
	v_cmp_gt_i32_e32 vcc_lo, s22, v2
	v_cmp_neq_f64_e64 s39, s[4:5], 0
	s_mov_b32 s34, s26
	v_add_nc_u32_e32 v14, s0, v11
	v_mul_u64_e32 v[4:5], s[30:31], v[2:3]
	v_dual_lshlrev_b32 v3, 4, v6 :: v_dual_ashrrev_i32 v1, 31, v0
	s_delay_alu instid0(VALU_DEP_3) | instskip(SKIP_1) | instid1(VALU_DEP_3)
	v_dual_lshlrev_b32 v16, 4, v39 :: v_dual_add_nc_u32 v2, 16, v14
	v_dual_ashrrev_i32 v15, 31, v14 :: v_dual_add_nc_u32 v6, s38, v7
	v_mul_u64_e32 v[18:19], s[2:3], v[0:1]
	s_delay_alu instid0(VALU_DEP_4) | instskip(NEXT) | instid1(VALU_DEP_4)
	v_lshl_or_b32 v40, v38, 9, v3
	v_dual_ashrrev_i32 v3, 31, v2 :: v_dual_lshlrev_b32 v42, 4, v7
	v_lshl_or_b32 v1, v8, 7, v16
	v_mul_u64_e32 v[8:9], s[34:35], v[14:15]
	v_dual_add_nc_u32 v10, 16, v6 :: v_dual_ashrrev_i32 v7, 31, v6
	s_delay_alu instid0(VALU_DEP_4) | instskip(SKIP_2) | instid1(VALU_DEP_4)
	v_mul_u64_e32 v[12:13], s[34:35], v[2:3]
	v_cmp_gt_i32_e64 s1, s22, v14
	v_cmp_le_i32_e64 s2, v6, v14
	v_cmp_le_i32_e64 s3, v10, v14
	v_cmp_gt_i32_e64 s0, s22, v0
	v_dual_mov_b32 v0, 0 :: v_dual_add_nc_u32 v41, 0x1000, v1
	v_lshl_add_u32 v43, v11, 7, 0x1000
	v_ashrrev_i32_e32 v11, 31, v10
	s_or_b32 s36, s36, s37
	s_cmp_gt_i32 s23, 0
	v_mov_b32_e32 v17, v0
	s_cselect_b32 s37, -1, 0
	s_lshl_b64 s[16:17], s[16:17], 4
	s_and_b32 s30, s1, s2
	s_and_b32 s31, s1, s3
	v_cmp_gt_i32_e64 s1, s22, v2
	v_cmp_le_i32_e64 s2, v6, v2
	v_cmp_le_i32_e64 s3, v10, v2
	v_lshl_add_u64 v[2:3], v[4:5], 4, s[16:17]
	s_lshl_b64 s[16:17], s[20:21], 4
	v_dual_mov_b32 v5, v0 :: v_dual_lshlrev_b32 v4, 4, v38
	v_lshl_add_u64 v[18:19], v[18:19], 4, s[16:17]
	s_xor_b32 s26, s33, -1
	s_and_b32 s2, s1, s2
	s_or_b32 s26, s39, s26
	v_add_nc_u64_e32 v[14:15], v[2:3], v[4:5]
	v_add_nc_u64_e32 v[16:17], v[18:19], v[16:17]
	s_and_b32 s3, s1, s3
	s_and_b32 s16, s36, s37
	s_xor_b32 s17, vcc_lo, -1
	s_xor_b32 s20, s0, -1
	s_lshl_b64 s[0:1], s[28:29], 4
	s_branch .LBB399_7
.LBB399_6:                              ;   in Loop: Header=BB399_7 Depth=1
	s_wait_xcnt 0x0
	s_or_b32 exec_lo, exec_lo, s21
	s_add_co_i32 s8, s8, 0x10000
	s_delay_alu instid0(SALU_CYCLE_1)
	s_cmp_lt_u32 s8, s27
	s_cbranch_scc0 .LBB399_39
.LBB399_7:                              ; =>This Loop Header: Depth=1
                                        ;     Child Loop BB399_10 Depth 2
	v_mov_b32_e32 v1, s8
	v_mov_b64_e32 v[34:35], 0
	v_mov_b64_e32 v[36:37], 0
	v_mov_b64_e32 v[30:31], 0
	v_mov_b64_e32 v[32:33], 0
	global_load_b64 v[4:5], v1, s[24:25] scale_offset
	v_mov_b64_e32 v[22:23], 0
	v_mov_b64_e32 v[24:25], 0
	;; [unrolled: 1-line block ×4, first 2 shown]
	s_and_not1_b32 vcc_lo, exec_lo, s16
	s_cbranch_vccnz .LBB399_18
; %bb.8:                                ;   in Loop: Header=BB399_7 Depth=1
	s_lshl_b64 s[28:29], s[8:9], 3
	v_mov_b64_e32 v[20:21], 0
	s_add_nc_u64 s[34:35], s[10:11], s[28:29]
	s_add_nc_u64 s[28:29], s[18:19], s[28:29]
	s_clause 0x1
	global_load_b64 v[2:3], v0, s[34:35]
	global_load_b64 v[28:29], v0, s[28:29]
	v_mov_b64_e32 v[18:19], 0
	v_mov_b64_e32 v[24:25], 0
	;; [unrolled: 1-line block ×7, first 2 shown]
	s_mov_b32 s21, 0
	s_wait_loadcnt 0x1
	v_add_nc_u64_e32 v[26:27], v[2:3], v[14:15]
	s_wait_loadcnt 0x0
	v_add_nc_u64_e32 v[28:29], v[28:29], v[16:17]
	s_branch .LBB399_10
.LBB399_9:                              ;   in Loop: Header=BB399_10 Depth=2
	s_wait_xcnt 0x0
	s_or_b32 exec_lo, exec_lo, s22
	s_wait_dscnt 0x0
	s_barrier_signal -1
	s_barrier_wait -1
	ds_load_b128 v[44:47], v43
	ds_load_b128 v[48:51], v42
	ds_load_b128 v[52:55], v42 offset:256
	ds_load_b128 v[56:59], v43 offset:2048
	;; [unrolled: 1-line block ×10, first 2 shown]
	v_add_nc_u64_e32 v[26:27], 0x80, v[26:27]
	v_add_nc_u64_e32 v[28:29], 0x80, v[28:29]
	s_add_co_i32 s21, s21, 8
	s_delay_alu instid0(SALU_CYCLE_1)
	s_cmp_lt_i32 s21, s23
	s_wait_dscnt 0xa
	v_mul_f64_e32 v[2:3], v[46:47], v[50:51]
	v_mul_f64_e32 v[92:93], v[44:45], v[50:51]
	s_wait_dscnt 0x9
	v_mul_f64_e32 v[94:95], v[46:47], v[54:55]
	v_mul_f64_e32 v[96:97], v[44:45], v[54:55]
	s_wait_dscnt 0x8
	v_mul_f64_e32 v[98:99], v[58:59], v[50:51]
	v_mul_f64_e32 v[100:101], v[56:57], v[50:51]
	v_mul_f64_e32 v[50:51], v[58:59], v[54:55]
	v_mul_f64_e32 v[102:103], v[56:57], v[54:55]
	s_wait_dscnt 0x6
	v_mul_f64_e32 v[104:105], v[62:63], v[66:67]
	v_mul_f64_e32 v[106:107], v[60:61], v[66:67]
	s_wait_dscnt 0x5
	v_mul_f64_e32 v[108:109], v[62:63], v[70:71]
	v_mul_f64_e32 v[110:111], v[60:61], v[70:71]
	s_wait_dscnt 0x4
	v_mul_f64_e32 v[112:113], v[74:75], v[66:67]
	v_mul_f64_e32 v[66:67], v[72:73], v[66:67]
	v_mul_f64_e32 v[114:115], v[74:75], v[70:71]
	v_mul_f64_e32 v[70:71], v[72:73], v[70:71]
	;; [unrolled: 11-line block ×3, first 2 shown]
	v_fma_f64 v[2:3], v[44:45], v[48:49], -v[2:3]
	v_fmac_f64_e32 v[92:93], v[46:47], v[48:49]
	v_fma_f64 v[94:95], v[44:45], v[52:53], -v[94:95]
	v_fmac_f64_e32 v[96:97], v[46:47], v[52:53]
	;; [unrolled: 2-line block ×8, first 2 shown]
	ds_load_b128 v[44:47], v43 offset:48
	ds_load_b128 v[48:51], v43 offset:2096
	;; [unrolled: 1-line block ×4, first 2 shown]
	v_fma_f64 v[118:119], v[76:77], v[80:81], -v[118:119]
	v_fmac_f64_e32 v[120:121], v[78:79], v[80:81]
	v_fma_f64 v[76:77], v[76:77], v[84:85], -v[122:123]
	v_fmac_f64_e32 v[124:125], v[78:79], v[84:85]
	;; [unrolled: 2-line block ×4, first 2 shown]
	v_add_f64_e32 v[2:3], v[34:35], v[2:3]
	v_add_f64_e32 v[68:69], v[92:93], v[36:37]
	;; [unrolled: 1-line block ×8, first 2 shown]
	s_wait_dscnt 0x1
	v_mul_f64_e32 v[100:101], v[46:47], v[54:55]
	v_mul_f64_e32 v[102:103], v[44:45], v[54:55]
	s_wait_dscnt 0x0
	v_mul_f64_e32 v[108:109], v[46:47], v[58:59]
	v_mul_f64_e32 v[112:113], v[44:45], v[58:59]
	;; [unrolled: 1-line block ×6, first 2 shown]
	ds_load_b128 v[18:21], v43 offset:64
	ds_load_b128 v[22:25], v42 offset:2048
	;; [unrolled: 1-line block ×4, first 2 shown]
	v_add_f64_e32 v[2:3], v[2:3], v[104:105]
	v_add_f64_e32 v[84:85], v[106:107], v[68:69]
	v_add_f64_e32 v[88:89], v[72:73], v[60:61]
	v_add_f64_e32 v[74:75], v[110:111], v[74:75]
	v_add_f64_e32 v[90:91], v[92:93], v[62:63]
	v_add_f64_e32 v[92:93], v[66:67], v[94:95]
	v_add_f64_e32 v[94:95], v[96:97], v[64:65]
	v_add_f64_e32 v[96:97], v[70:71], v[98:99]
	s_wait_dscnt 0x2
	v_mul_f64_e32 v[98:99], v[20:21], v[24:25]
	v_mul_f64_e32 v[104:105], v[18:19], v[24:25]
	s_wait_dscnt 0x1
	v_mul_f64_e32 v[106:107], v[20:21], v[32:33]
	v_mul_f64_e32 v[110:111], v[18:19], v[32:33]
	;; [unrolled: 3-line block ×3, first 2 shown]
	v_mul_f64_e32 v[24:25], v[36:37], v[32:33]
	v_mul_f64_e32 v[128:129], v[34:35], v[32:33]
	v_fma_f64 v[32:33], v[44:45], v[52:53], -v[100:101]
	v_fmac_f64_e32 v[102:103], v[46:47], v[52:53]
	v_fma_f64 v[100:101], v[44:45], v[56:57], -v[108:109]
	v_fmac_f64_e32 v[112:113], v[46:47], v[56:57]
	;; [unrolled: 2-line block ×4, first 2 shown]
	ds_load_b128 v[58:61], v43 offset:80
	ds_load_b128 v[62:65], v43 offset:2128
	;; [unrolled: 1-line block ×4, first 2 shown]
	v_add_f64_e32 v[2:3], v[2:3], v[118:119]
	v_add_f64_e32 v[56:57], v[120:121], v[84:85]
	;; [unrolled: 1-line block ×8, first 2 shown]
	v_fma_f64 v[98:99], v[18:19], v[22:23], -v[98:99]
	v_fmac_f64_e32 v[104:105], v[20:21], v[22:23]
	v_fma_f64 v[106:107], v[18:19], v[30:31], -v[106:107]
	s_wait_dscnt 0x1
	v_mul_f64_e32 v[90:91], v[60:61], v[68:69]
	v_mul_f64_e32 v[92:93], v[58:59], v[68:69]
	s_wait_dscnt 0x0
	v_mul_f64_e32 v[94:95], v[60:61], v[72:73]
	v_mul_f64_e32 v[96:97], v[58:59], v[72:73]
	;; [unrolled: 1-line block ×6, first 2 shown]
	v_fmac_f64_e32 v[110:111], v[20:21], v[30:31]
	v_fma_f64 v[122:123], v[34:35], v[22:23], -v[122:123]
	v_fmac_f64_e32 v[126:127], v[36:37], v[22:23]
	v_fma_f64 v[124:125], v[34:35], v[30:31], -v[24:25]
	v_fmac_f64_e32 v[128:129], v[36:37], v[30:31]
	ds_load_b128 v[44:47], v43 offset:96
	ds_load_b128 v[48:51], v42 offset:3072
	;; [unrolled: 1-line block ×4, first 2 shown]
	v_add_f64_e32 v[2:3], v[2:3], v[32:33]
	v_add_f64_e32 v[56:57], v[102:103], v[56:57]
	;; [unrolled: 1-line block ×8, first 2 shown]
	ds_load_b128 v[18:21], v43 offset:112
	ds_load_b128 v[22:25], v43 offset:2160
	;; [unrolled: 1-line block ×4, first 2 shown]
	s_wait_dscnt 0x0
	v_mul_f64_e32 v[100:101], v[46:47], v[50:51]
	v_mul_f64_e32 v[102:103], v[44:45], v[50:51]
	;; [unrolled: 1-line block ×8, first 2 shown]
	v_fma_f64 v[90:91], v[58:59], v[66:67], -v[90:91]
	v_fmac_f64_e32 v[92:93], v[60:61], v[66:67]
	v_fma_f64 v[58:59], v[58:59], v[70:71], -v[94:95]
	v_fmac_f64_e32 v[96:97], v[60:61], v[70:71]
	;; [unrolled: 2-line block ×4, first 2 shown]
	s_barrier_signal -1
	s_barrier_wait -1
	v_mul_f64_e32 v[94:95], v[18:19], v[36:37]
	v_add_f64_e32 v[2:3], v[2:3], v[98:99]
	v_add_f64_e32 v[56:57], v[104:105], v[56:57]
	;; [unrolled: 1-line block ×8, first 2 shown]
	v_mul_f64_e32 v[84:85], v[20:21], v[32:33]
	v_mul_f64_e32 v[86:87], v[18:19], v[32:33]
	;; [unrolled: 1-line block ×7, first 2 shown]
	v_fma_f64 v[36:37], v[44:45], v[48:49], -v[100:101]
	v_fmac_f64_e32 v[102:103], v[46:47], v[48:49]
	v_fma_f64 v[44:45], v[44:45], v[52:53], -v[108:109]
	v_fmac_f64_e32 v[112:113], v[46:47], v[52:53]
	;; [unrolled: 2-line block ×4, first 2 shown]
	v_fmac_f64_e32 v[94:95], v[20:21], v[34:35]
	v_add_f64_e32 v[2:3], v[2:3], v[90:91]
	v_add_f64_e32 v[52:53], v[92:93], v[56:57]
	;; [unrolled: 1-line block ×8, first 2 shown]
	v_fma_f64 v[68:69], v[18:19], v[30:31], -v[84:85]
	v_fmac_f64_e32 v[86:87], v[20:21], v[30:31]
	v_fma_f64 v[18:19], v[18:19], v[34:35], -v[88:89]
	v_fma_f64 v[20:21], v[22:23], v[30:31], -v[98:99]
	v_fmac_f64_e32 v[104:105], v[24:25], v[30:31]
	v_fma_f64 v[70:71], v[22:23], v[34:35], -v[32:33]
	v_fmac_f64_e32 v[106:107], v[24:25], v[34:35]
	v_add_f64_e32 v[2:3], v[2:3], v[36:37]
	v_add_f64_e32 v[22:23], v[102:103], v[52:53]
	;; [unrolled: 1-line block ×16, first 2 shown]
	s_cbranch_scc0 .LBB399_18
.LBB399_10:                             ;   Parent Loop BB399_7 Depth=1
                                        ; =>  This Inner Loop Header: Depth=2
	s_wait_xcnt 0x2
	v_add_nc_u32_e32 v1, s21, v38
	s_delay_alu instid0(VALU_DEP_1) | instskip(SKIP_3) | instid1(SALU_CYCLE_1)
	v_cmp_le_i32_e32 vcc_lo, s23, v1
	s_or_b32 s22, s17, vcc_lo
	s_wait_xcnt 0x0
	s_and_saveexec_b32 s28, s22
	s_xor_b32 s22, exec_lo, s28
; %bb.11:                               ;   in Loop: Header=BB399_10 Depth=2
	v_dual_mov_b32 v1, v0 :: v_dual_mov_b32 v2, v0
	v_mov_b32_e32 v3, v0
	ds_store_b128 v40, v[0:3]
; %bb.12:                               ;   in Loop: Header=BB399_10 Depth=2
	s_and_not1_saveexec_b32 s22, s22
	s_cbranch_execz .LBB399_14
; %bb.13:                               ;   in Loop: Header=BB399_10 Depth=2
	flat_load_b128 v[44:47], v[26:27]
	s_wait_loadcnt_dscnt 0x0
	ds_store_2addr_b64 v40, v[44:45], v[46:47] offset1:1
.LBB399_14:                             ;   in Loop: Header=BB399_10 Depth=2
	s_wait_xcnt 0x0
	s_or_b32 exec_lo, exec_lo, s22
	v_add_nc_u32_e32 v1, s21, v39
	s_delay_alu instid0(VALU_DEP_1) | instskip(SKIP_1) | instid1(SALU_CYCLE_1)
	v_cmp_le_i32_e32 vcc_lo, s23, v1
	s_or_b32 s22, vcc_lo, s20
	s_and_saveexec_b32 s28, s22
	s_delay_alu instid0(SALU_CYCLE_1)
	s_xor_b32 s22, exec_lo, s28
; %bb.15:                               ;   in Loop: Header=BB399_10 Depth=2
	v_dual_mov_b32 v1, v0 :: v_dual_mov_b32 v2, v0
	v_mov_b32_e32 v3, v0
	ds_store_b128 v41, v[0:3]
; %bb.16:                               ;   in Loop: Header=BB399_10 Depth=2
	s_and_not1_saveexec_b32 s22, s22
	s_cbranch_execz .LBB399_9
; %bb.17:                               ;   in Loop: Header=BB399_10 Depth=2
	flat_load_b128 v[44:47], v[28:29]
	s_wait_loadcnt_dscnt 0x0
	ds_store_2addr_b64 v41, v[44:45], v[46:47] offset1:1
	s_branch .LBB399_9
.LBB399_18:                             ;   in Loop: Header=BB399_7 Depth=1
	s_wait_loadcnt 0x0
	v_add_nc_u64_e32 v[26:27], s[0:1], v[4:5]
	s_delay_alu instid0(VALU_DEP_1)
	v_lshl_add_u64 v[28:29], v[8:9], 4, v[26:27]
	s_wait_xcnt 0x0
	s_and_saveexec_b32 s21, s30
	s_cbranch_execz .LBB399_23
; %bb.19:                               ;   in Loop: Header=BB399_7 Depth=1
	v_mul_f64_e32 v[2:3], s[14:15], v[36:37]
	v_mul_f64_e32 v[4:5], s[12:13], v[36:37]
	s_and_b32 vcc_lo, exec_lo, s26
	s_mov_b32 s22, -1
	s_delay_alu instid0(VALU_DEP_2) | instskip(NEXT) | instid1(VALU_DEP_2)
	v_fma_f64 v[2:3], s[12:13], v[34:35], -v[2:3]
	v_fmac_f64_e32 v[4:5], s[14:15], v[34:35]
	v_lshl_add_u64 v[34:35], v[6:7], 4, v[28:29]
	s_cbranch_vccz .LBB399_21
; %bb.20:                               ;   in Loop: Header=BB399_7 Depth=1
	flat_load_b128 v[44:47], v[34:35]
	s_mov_b32 s22, 0
	s_wait_loadcnt_dscnt 0x0
	v_mul_f64_e32 v[36:37], s[6:7], v[46:47]
	v_mul_f64_e32 v[46:47], s[4:5], v[46:47]
	s_delay_alu instid0(VALU_DEP_2) | instskip(NEXT) | instid1(VALU_DEP_2)
	v_fma_f64 v[36:37], s[4:5], v[44:45], -v[36:37]
	v_fmac_f64_e32 v[46:47], s[6:7], v[44:45]
	s_delay_alu instid0(VALU_DEP_2) | instskip(NEXT) | instid1(VALU_DEP_2)
	v_add_f64_e32 v[44:45], v[2:3], v[36:37]
	v_add_f64_e32 v[46:47], v[4:5], v[46:47]
	flat_store_b128 v[34:35], v[44:47]
.LBB399_21:                             ;   in Loop: Header=BB399_7 Depth=1
	s_and_not1_b32 vcc_lo, exec_lo, s22
	s_cbranch_vccnz .LBB399_23
; %bb.22:                               ;   in Loop: Header=BB399_7 Depth=1
	flat_store_b128 v[34:35], v[2:5]
.LBB399_23:                             ;   in Loop: Header=BB399_7 Depth=1
	s_wait_xcnt 0x0
	s_or_b32 exec_lo, exec_lo, s21
	s_and_saveexec_b32 s21, s31
	s_cbranch_execz .LBB399_28
; %bb.24:                               ;   in Loop: Header=BB399_7 Depth=1
	v_mul_f64_e32 v[2:3], s[14:15], v[32:33]
	v_mul_f64_e32 v[4:5], s[12:13], v[32:33]
	v_lshl_add_u64 v[28:29], v[10:11], 4, v[28:29]
	s_and_not1_b32 vcc_lo, exec_lo, s26
	s_mov_b32 s22, -1
	s_delay_alu instid0(VALU_DEP_3) | instskip(NEXT) | instid1(VALU_DEP_3)
	v_fma_f64 v[2:3], s[12:13], v[30:31], -v[2:3]
	v_fmac_f64_e32 v[4:5], s[14:15], v[30:31]
	s_cbranch_vccnz .LBB399_26
; %bb.25:                               ;   in Loop: Header=BB399_7 Depth=1
	flat_load_b128 v[30:33], v[28:29]
	s_mov_b32 s22, 0
	s_wait_loadcnt_dscnt 0x0
	v_mul_f64_e32 v[34:35], s[6:7], v[32:33]
	v_mul_f64_e32 v[32:33], s[4:5], v[32:33]
	s_delay_alu instid0(VALU_DEP_2) | instskip(NEXT) | instid1(VALU_DEP_2)
	v_fma_f64 v[34:35], s[4:5], v[30:31], -v[34:35]
	v_fmac_f64_e32 v[32:33], s[6:7], v[30:31]
	s_delay_alu instid0(VALU_DEP_2) | instskip(NEXT) | instid1(VALU_DEP_2)
	v_add_f64_e32 v[30:31], v[2:3], v[34:35]
	v_add_f64_e32 v[32:33], v[4:5], v[32:33]
	flat_store_b128 v[28:29], v[30:33]
.LBB399_26:                             ;   in Loop: Header=BB399_7 Depth=1
	s_and_not1_b32 vcc_lo, exec_lo, s22
	s_cbranch_vccnz .LBB399_28
; %bb.27:                               ;   in Loop: Header=BB399_7 Depth=1
	flat_store_b128 v[28:29], v[2:5]
.LBB399_28:                             ;   in Loop: Header=BB399_7 Depth=1
	s_wait_xcnt 0x0
	s_or_b32 exec_lo, exec_lo, s21
	v_lshl_add_u64 v[26:27], v[12:13], 4, v[26:27]
	s_and_saveexec_b32 s21, s2
	s_cbranch_execz .LBB399_33
; %bb.29:                               ;   in Loop: Header=BB399_7 Depth=1
	v_mul_f64_e32 v[2:3], s[14:15], v[24:25]
	v_mul_f64_e32 v[4:5], s[12:13], v[24:25]
	s_and_not1_b32 vcc_lo, exec_lo, s26
	s_mov_b32 s22, -1
	s_delay_alu instid0(VALU_DEP_2) | instskip(NEXT) | instid1(VALU_DEP_2)
	v_fma_f64 v[2:3], s[12:13], v[22:23], -v[2:3]
	v_fmac_f64_e32 v[4:5], s[14:15], v[22:23]
	v_lshl_add_u64 v[22:23], v[6:7], 4, v[26:27]
	s_cbranch_vccnz .LBB399_31
; %bb.30:                               ;   in Loop: Header=BB399_7 Depth=1
	flat_load_b128 v[28:31], v[22:23]
	s_mov_b32 s22, 0
	s_wait_loadcnt_dscnt 0x0
	v_mul_f64_e32 v[24:25], s[6:7], v[30:31]
	v_mul_f64_e32 v[30:31], s[4:5], v[30:31]
	s_delay_alu instid0(VALU_DEP_2) | instskip(NEXT) | instid1(VALU_DEP_2)
	v_fma_f64 v[24:25], s[4:5], v[28:29], -v[24:25]
	v_fmac_f64_e32 v[30:31], s[6:7], v[28:29]
	s_delay_alu instid0(VALU_DEP_2) | instskip(NEXT) | instid1(VALU_DEP_2)
	v_add_f64_e32 v[28:29], v[2:3], v[24:25]
	v_add_f64_e32 v[30:31], v[4:5], v[30:31]
	flat_store_b128 v[22:23], v[28:31]
.LBB399_31:                             ;   in Loop: Header=BB399_7 Depth=1
	s_and_not1_b32 vcc_lo, exec_lo, s22
	s_cbranch_vccnz .LBB399_33
; %bb.32:                               ;   in Loop: Header=BB399_7 Depth=1
	flat_store_b128 v[22:23], v[2:5]
.LBB399_33:                             ;   in Loop: Header=BB399_7 Depth=1
	s_wait_xcnt 0x0
	s_or_b32 exec_lo, exec_lo, s21
	s_and_saveexec_b32 s21, s3
	s_cbranch_execz .LBB399_6
; %bb.34:                               ;   in Loop: Header=BB399_7 Depth=1
	s_delay_alu instid0(VALU_DEP_4) | instskip(SKIP_3) | instid1(VALU_DEP_2)
	v_mul_f64_e32 v[2:3], s[14:15], v[20:21]
	v_mul_f64_e32 v[4:5], s[12:13], v[20:21]
	s_and_not1_b32 vcc_lo, exec_lo, s26
	s_mov_b32 s22, -1
	v_fma_f64 v[2:3], s[12:13], v[18:19], -v[2:3]
	s_delay_alu instid0(VALU_DEP_2)
	v_fmac_f64_e32 v[4:5], s[14:15], v[18:19]
	v_lshl_add_u64 v[18:19], v[10:11], 4, v[26:27]
	s_cbranch_vccnz .LBB399_36
; %bb.35:                               ;   in Loop: Header=BB399_7 Depth=1
	flat_load_b128 v[20:23], v[18:19]
	s_mov_b32 s22, 0
	s_wait_loadcnt_dscnt 0x0
	v_mul_f64_e32 v[24:25], s[6:7], v[22:23]
	v_mul_f64_e32 v[22:23], s[4:5], v[22:23]
	s_delay_alu instid0(VALU_DEP_2) | instskip(NEXT) | instid1(VALU_DEP_2)
	v_fma_f64 v[24:25], s[4:5], v[20:21], -v[24:25]
	v_fmac_f64_e32 v[22:23], s[6:7], v[20:21]
	s_delay_alu instid0(VALU_DEP_2) | instskip(NEXT) | instid1(VALU_DEP_2)
	v_add_f64_e32 v[20:21], v[2:3], v[24:25]
	v_add_f64_e32 v[22:23], v[4:5], v[22:23]
	flat_store_b128 v[18:19], v[20:23]
.LBB399_36:                             ;   in Loop: Header=BB399_7 Depth=1
	s_and_not1_b32 vcc_lo, exec_lo, s22
	s_cbranch_vccnz .LBB399_6
; %bb.37:                               ;   in Loop: Header=BB399_7 Depth=1
	flat_store_b128 v[18:19], v[2:5]
	s_branch .LBB399_6
.LBB399_38:
.LBB399_39:
	s_sendmsg sendmsg(MSG_DEALLOC_VGPRS)
	s_endpgm
	.section	.rodata,"a",@progbits
	.p2align	6, 0x0
	.amdhsa_kernel _ZL29rocblas_internal_gemmt_kernelIiLi16ELi32ELi8ELc84ELc78ELc85ELb0ELb0E19rocblas_complex_numIdEPKS1_PKS3_PKPS1_EviT_T9_T10_S9_lSB_S9_lSA_T11_S9_li
		.amdhsa_group_segment_fixed_size 8192
		.amdhsa_private_segment_fixed_size 0
		.amdhsa_kernarg_size 100
		.amdhsa_user_sgpr_count 2
		.amdhsa_user_sgpr_dispatch_ptr 0
		.amdhsa_user_sgpr_queue_ptr 0
		.amdhsa_user_sgpr_kernarg_segment_ptr 1
		.amdhsa_user_sgpr_dispatch_id 0
		.amdhsa_user_sgpr_kernarg_preload_length 0
		.amdhsa_user_sgpr_kernarg_preload_offset 0
		.amdhsa_user_sgpr_private_segment_size 0
		.amdhsa_wavefront_size32 1
		.amdhsa_uses_dynamic_stack 0
		.amdhsa_enable_private_segment 0
		.amdhsa_system_sgpr_workgroup_id_x 1
		.amdhsa_system_sgpr_workgroup_id_y 1
		.amdhsa_system_sgpr_workgroup_id_z 1
		.amdhsa_system_sgpr_workgroup_info 0
		.amdhsa_system_vgpr_workitem_id 1
		.amdhsa_next_free_vgpr 132
		.amdhsa_next_free_sgpr 41
		.amdhsa_named_barrier_count 0
		.amdhsa_reserve_vcc 1
		.amdhsa_float_round_mode_32 0
		.amdhsa_float_round_mode_16_64 0
		.amdhsa_float_denorm_mode_32 3
		.amdhsa_float_denorm_mode_16_64 3
		.amdhsa_fp16_overflow 0
		.amdhsa_memory_ordered 1
		.amdhsa_forward_progress 1
		.amdhsa_inst_pref_size 24
		.amdhsa_round_robin_scheduling 0
		.amdhsa_exception_fp_ieee_invalid_op 0
		.amdhsa_exception_fp_denorm_src 0
		.amdhsa_exception_fp_ieee_div_zero 0
		.amdhsa_exception_fp_ieee_overflow 0
		.amdhsa_exception_fp_ieee_underflow 0
		.amdhsa_exception_fp_ieee_inexact 0
		.amdhsa_exception_int_div_zero 0
	.end_amdhsa_kernel
	.section	.text._ZL29rocblas_internal_gemmt_kernelIiLi16ELi32ELi8ELc84ELc78ELc85ELb0ELb0E19rocblas_complex_numIdEPKS1_PKS3_PKPS1_EviT_T9_T10_S9_lSB_S9_lSA_T11_S9_li,"axG",@progbits,_ZL29rocblas_internal_gemmt_kernelIiLi16ELi32ELi8ELc84ELc78ELc85ELb0ELb0E19rocblas_complex_numIdEPKS1_PKS3_PKPS1_EviT_T9_T10_S9_lSB_S9_lSA_T11_S9_li,comdat
.Lfunc_end399:
	.size	_ZL29rocblas_internal_gemmt_kernelIiLi16ELi32ELi8ELc84ELc78ELc85ELb0ELb0E19rocblas_complex_numIdEPKS1_PKS3_PKPS1_EviT_T9_T10_S9_lSB_S9_lSA_T11_S9_li, .Lfunc_end399-_ZL29rocblas_internal_gemmt_kernelIiLi16ELi32ELi8ELc84ELc78ELc85ELb0ELb0E19rocblas_complex_numIdEPKS1_PKS3_PKPS1_EviT_T9_T10_S9_lSB_S9_lSA_T11_S9_li
                                        ; -- End function
	.set _ZL29rocblas_internal_gemmt_kernelIiLi16ELi32ELi8ELc84ELc78ELc85ELb0ELb0E19rocblas_complex_numIdEPKS1_PKS3_PKPS1_EviT_T9_T10_S9_lSB_S9_lSA_T11_S9_li.num_vgpr, 132
	.set _ZL29rocblas_internal_gemmt_kernelIiLi16ELi32ELi8ELc84ELc78ELc85ELb0ELb0E19rocblas_complex_numIdEPKS1_PKS3_PKPS1_EviT_T9_T10_S9_lSB_S9_lSA_T11_S9_li.num_agpr, 0
	.set _ZL29rocblas_internal_gemmt_kernelIiLi16ELi32ELi8ELc84ELc78ELc85ELb0ELb0E19rocblas_complex_numIdEPKS1_PKS3_PKPS1_EviT_T9_T10_S9_lSB_S9_lSA_T11_S9_li.numbered_sgpr, 41
	.set _ZL29rocblas_internal_gemmt_kernelIiLi16ELi32ELi8ELc84ELc78ELc85ELb0ELb0E19rocblas_complex_numIdEPKS1_PKS3_PKPS1_EviT_T9_T10_S9_lSB_S9_lSA_T11_S9_li.num_named_barrier, 0
	.set _ZL29rocblas_internal_gemmt_kernelIiLi16ELi32ELi8ELc84ELc78ELc85ELb0ELb0E19rocblas_complex_numIdEPKS1_PKS3_PKPS1_EviT_T9_T10_S9_lSB_S9_lSA_T11_S9_li.private_seg_size, 0
	.set _ZL29rocblas_internal_gemmt_kernelIiLi16ELi32ELi8ELc84ELc78ELc85ELb0ELb0E19rocblas_complex_numIdEPKS1_PKS3_PKPS1_EviT_T9_T10_S9_lSB_S9_lSA_T11_S9_li.uses_vcc, 1
	.set _ZL29rocblas_internal_gemmt_kernelIiLi16ELi32ELi8ELc84ELc78ELc85ELb0ELb0E19rocblas_complex_numIdEPKS1_PKS3_PKPS1_EviT_T9_T10_S9_lSB_S9_lSA_T11_S9_li.uses_flat_scratch, 0
	.set _ZL29rocblas_internal_gemmt_kernelIiLi16ELi32ELi8ELc84ELc78ELc85ELb0ELb0E19rocblas_complex_numIdEPKS1_PKS3_PKPS1_EviT_T9_T10_S9_lSB_S9_lSA_T11_S9_li.has_dyn_sized_stack, 0
	.set _ZL29rocblas_internal_gemmt_kernelIiLi16ELi32ELi8ELc84ELc78ELc85ELb0ELb0E19rocblas_complex_numIdEPKS1_PKS3_PKPS1_EviT_T9_T10_S9_lSB_S9_lSA_T11_S9_li.has_recursion, 0
	.set _ZL29rocblas_internal_gemmt_kernelIiLi16ELi32ELi8ELc84ELc78ELc85ELb0ELb0E19rocblas_complex_numIdEPKS1_PKS3_PKPS1_EviT_T9_T10_S9_lSB_S9_lSA_T11_S9_li.has_indirect_call, 0
	.section	.AMDGPU.csdata,"",@progbits
; Kernel info:
; codeLenInByte = 3012
; TotalNumSgprs: 43
; NumVgprs: 132
; ScratchSize: 0
; MemoryBound: 0
; FloatMode: 240
; IeeeMode: 1
; LDSByteSize: 8192 bytes/workgroup (compile time only)
; SGPRBlocks: 0
; VGPRBlocks: 8
; NumSGPRsForWavesPerEU: 43
; NumVGPRsForWavesPerEU: 132
; NamedBarCnt: 0
; Occupancy: 7
; WaveLimiterHint : 1
; COMPUTE_PGM_RSRC2:SCRATCH_EN: 0
; COMPUTE_PGM_RSRC2:USER_SGPR: 2
; COMPUTE_PGM_RSRC2:TRAP_HANDLER: 0
; COMPUTE_PGM_RSRC2:TGID_X_EN: 1
; COMPUTE_PGM_RSRC2:TGID_Y_EN: 1
; COMPUTE_PGM_RSRC2:TGID_Z_EN: 1
; COMPUTE_PGM_RSRC2:TIDIG_COMP_CNT: 1
	.section	.text._ZL29rocblas_internal_gemmt_kernelIiLi16ELi32ELi8ELc84ELc84ELc85ELb0ELb0E19rocblas_complex_numIdEPKS1_PKS3_PKPS1_EviT_T9_T10_S9_lSB_S9_lSA_T11_S9_li,"axG",@progbits,_ZL29rocblas_internal_gemmt_kernelIiLi16ELi32ELi8ELc84ELc84ELc85ELb0ELb0E19rocblas_complex_numIdEPKS1_PKS3_PKPS1_EviT_T9_T10_S9_lSB_S9_lSA_T11_S9_li,comdat
	.globl	_ZL29rocblas_internal_gemmt_kernelIiLi16ELi32ELi8ELc84ELc84ELc85ELb0ELb0E19rocblas_complex_numIdEPKS1_PKS3_PKPS1_EviT_T9_T10_S9_lSB_S9_lSA_T11_S9_li ; -- Begin function _ZL29rocblas_internal_gemmt_kernelIiLi16ELi32ELi8ELc84ELc84ELc85ELb0ELb0E19rocblas_complex_numIdEPKS1_PKS3_PKPS1_EviT_T9_T10_S9_lSB_S9_lSA_T11_S9_li
	.p2align	8
	.type	_ZL29rocblas_internal_gemmt_kernelIiLi16ELi32ELi8ELc84ELc84ELc85ELb0ELb0E19rocblas_complex_numIdEPKS1_PKS3_PKPS1_EviT_T9_T10_S9_lSB_S9_lSA_T11_S9_li,@function
_ZL29rocblas_internal_gemmt_kernelIiLi16ELi32ELi8ELc84ELc84ELc85ELb0ELb0E19rocblas_complex_numIdEPKS1_PKS3_PKPS1_EviT_T9_T10_S9_lSB_S9_lSA_T11_S9_li: ; @_ZL29rocblas_internal_gemmt_kernelIiLi16ELi32ELi8ELc84ELc84ELc85ELb0ELb0E19rocblas_complex_numIdEPKS1_PKS3_PKPS1_EviT_T9_T10_S9_lSB_S9_lSA_T11_S9_li
; %bb.0:
	s_load_b128 s[20:23], s[0:1], 0x38
	s_wait_kmcnt 0x0
	s_load_b128 s[4:7], s[22:23], 0x0
	s_load_b128 s[8:11], s[0:1], 0x8
	s_wait_xcnt 0x0
	s_load_b64 s[22:23], s[0:1], 0x0
	s_wait_kmcnt 0x0
	v_cmp_eq_f64_e64 s2, s[4:5], 1.0
	v_cmp_eq_f64_e64 s33, s[6:7], 0
	s_load_b128 s[12:15], s[8:9], 0x0
	s_and_b32 s2, s2, s33
	s_delay_alu instid0(SALU_CYCLE_1)
	s_and_not1_b32 vcc_lo, exec_lo, s2
	s_mov_b32 s2, -1
	s_cbranch_vccnz .LBB400_3
; %bb.1:
	s_cmp_lg_u32 s23, 0
	s_cbranch_scc0 .LBB400_38
; %bb.2:
	s_wait_kmcnt 0x0
	v_cmp_neq_f64_e64 s2, s[12:13], 0
	v_cmp_neq_f64_e64 s3, s[14:15], 0
	s_or_b32 s2, s2, s3
.LBB400_3:
	s_delay_alu instid0(SALU_CYCLE_1)
	s_and_b32 vcc_lo, exec_lo, s2
	s_cbranch_vccz .LBB400_39
; %bb.4:
	s_load_b32 s27, s[0:1], 0x60
	s_bfe_u32 s2, ttmp6, 0x40014
	s_lshr_b32 s3, ttmp7, 16
	s_add_co_i32 s2, s2, 1
	s_wait_xcnt 0x0
	s_bfe_u32 s8, ttmp6, 0x40008
	s_mul_i32 s2, s3, s2
	s_getreg_b32 s34, hwreg(HW_REG_IB_STS2, 6, 4)
	s_add_co_i32 s8, s8, s2
	s_cmp_eq_u32 s34, 0
	s_mov_b32 s9, 0
	s_cselect_b32 s8, s3, s8
	s_wait_kmcnt 0x0
	s_cmp_ge_u32 s8, s27
	s_cbranch_scc1 .LBB400_39
; %bb.5:
	s_clause 0x2
	s_load_b32 s2, s[0:1], 0x18
	s_load_b32 s28, s[0:1], 0x30
	s_load_b96 s[24:26], s[0:1], 0x48
	v_and_b32_e32 v1, 0x3ff, v0
	v_bfe_u32 v9, v0, 10, 10
	s_clause 0x1
	s_load_b128 s[16:19], s[0:1], 0x20
	s_load_b64 s[30:31], s[0:1], 0x58
	s_wait_xcnt 0x0
	s_bfe_u32 s1, ttmp6, 0x4000c
	s_bfe_u32 s40, ttmp6, 0x40010
	s_and_b32 s39, ttmp7, 0xffff
	s_add_co_i32 s1, s1, 1
	s_add_co_i32 s40, s40, 1
	v_and_b32_e32 v6, 7, v0
	v_lshl_add_u32 v0, v9, 4, v1
	s_and_b32 s0, ttmp6, 15
	s_mul_i32 s1, ttmp9, s1
	v_cmp_neq_f64_e64 s35, s[12:13], 0
	s_add_co_i32 s0, s0, s1
	v_dual_lshrrev_b32 v8, 3, v0 :: v_dual_bitop2_b32 v5, 31, v0 bitop3:0x40
	s_wait_kmcnt 0x0
	s_ashr_i32 s3, s2, 31
	s_ashr_i32 s29, s28, 31
	;; [unrolled: 1-line block ×3, first 2 shown]
	s_mov_b32 s36, s26
	s_mul_i32 s26, s39, s40
	s_bfe_u32 s40, ttmp6, 0x40004
	v_lshrrev_b32_e32 v40, 5, v0
	s_add_co_i32 s40, s40, s26
	s_cmp_eq_u32 s34, 0
	v_cmp_neq_f64_e64 s38, s[14:15], 0
	s_cselect_b32 s0, ttmp9, s0
	s_cselect_b32 s1, s39, s40
	s_lshl_b32 s26, s0, 5
	s_delay_alu instid0(SALU_CYCLE_1) | instskip(SKIP_2) | instid1(VALU_DEP_2)
	v_dual_mov_b32 v0, 0 :: v_dual_bitop2_b32 v2, s26, v5 bitop3:0x54
	s_lshl_b32 s0, s1, 5
	v_cmp_neq_f64_e64 s34, s[4:5], 0
	v_dual_mov_b32 v7, v0 :: v_dual_add_nc_u32 v18, s0, v9
	s_delay_alu instid0(VALU_DEP_3) | instskip(SKIP_3) | instid1(VALU_DEP_4)
	v_dual_ashrrev_i32 v3, 31, v2 :: v_dual_add_nc_u32 v4, s0, v8
	v_cmp_gt_i32_e32 vcc_lo, s22, v2
	v_lshl_add_u32 v43, v9, 7, 0x1000
	v_lshlrev_b32_e32 v42, 4, v1
	v_mul_u64_e32 v[16:17], s[2:3], v[2:3]
	v_dual_lshlrev_b32 v3, 4, v5 :: v_dual_lshlrev_b32 v5, 4, v6
	v_mul_u64_e32 v[20:21], s[28:29], v[6:7]
	v_dual_add_nc_u32 v2, 16, v18 :: v_dual_ashrrev_i32 v19, 31, v18
	s_delay_alu instid0(VALU_DEP_3) | instskip(NEXT) | instid1(VALU_DEP_4)
	v_lshl_or_b32 v7, v40, 9, v3
	v_lshl_or_b32 v5, v8, 7, v5
	s_delay_alu instid0(VALU_DEP_3) | instskip(NEXT) | instid1(VALU_DEP_4)
	v_dual_add_nc_u32 v8, s26, v1 :: v_dual_ashrrev_i32 v3, 31, v2
	v_mul_u64_e32 v[10:11], s[36:37], v[18:19]
	v_cmp_gt_i32_e64 s1, s22, v18
	s_delay_alu instid0(VALU_DEP_4) | instskip(NEXT) | instid1(VALU_DEP_4)
	v_add_nc_u32_e32 v41, 0x1000, v5
	v_dual_add_nc_u32 v12, 16, v8 :: v_dual_ashrrev_i32 v9, 31, v8
	v_mul_u64_e32 v[14:15], s[36:37], v[2:3]
	v_cmp_le_i32_e64 s2, v8, v18
	s_or_b32 s35, s35, s38
	v_cmp_le_i32_e64 s3, v12, v18
	s_cmp_gt_i32 s23, 0
	v_ashrrev_i32_e32 v5, 31, v4
	s_cselect_b32 s38, -1, 0
	s_xor_b32 s26, s33, -1
	s_lshl_b64 s[16:17], s[16:17], 4
	s_or_b32 s26, s34, s26
	s_and_b32 s33, s1, s2
	s_and_b32 s34, s1, s3
	v_cmp_gt_i32_e64 s1, s22, v2
	v_cmp_le_i32_e64 s2, v8, v2
	v_cmp_le_i32_e64 s3, v12, v2
	v_cmp_gt_i32_e64 s0, s22, v4
	v_ashrrev_i32_e32 v13, 31, v12
	v_lshl_add_u64 v[2:3], v[16:17], 4, s[16:17]
	v_dual_mov_b32 v17, v0 :: v_dual_lshlrev_b32 v16, 4, v40
	s_lshl_b64 s[16:17], s[20:21], 4
	s_and_b32 s20, s35, s38
	v_lshl_add_u64 v[18:19], v[20:21], 4, s[16:17]
	s_and_b32 s16, s1, s2
	v_add_nc_u64_e32 v[16:17], v[2:3], v[16:17]
	s_and_b32 s17, s1, s3
	s_lshl_b64 s[2:3], s[28:29], 7
	v_lshl_add_u64 v[18:19], v[4:5], 4, v[18:19]
	s_xor_b32 s21, vcc_lo, -1
	s_xor_b32 s22, s0, -1
	s_lshl_b64 s[0:1], s[30:31], 4
	s_branch .LBB400_7
.LBB400_6:                              ;   in Loop: Header=BB400_7 Depth=1
	s_wait_xcnt 0x0
	s_or_b32 exec_lo, exec_lo, s28
	s_add_co_i32 s8, s8, 0x10000
	s_delay_alu instid0(SALU_CYCLE_1)
	s_cmp_lt_u32 s8, s27
	s_cbranch_scc0 .LBB400_39
.LBB400_7:                              ; =>This Loop Header: Depth=1
                                        ;     Child Loop BB400_10 Depth 2
	v_mov_b32_e32 v1, s8
	v_mov_b64_e32 v[36:37], 0
	v_mov_b64_e32 v[38:39], 0
	;; [unrolled: 1-line block ×4, first 2 shown]
	global_load_b64 v[4:5], v1, s[24:25] scale_offset
	v_mov_b64_e32 v[24:25], 0
	v_mov_b64_e32 v[26:27], 0
	;; [unrolled: 1-line block ×4, first 2 shown]
	s_and_not1_b32 vcc_lo, exec_lo, s20
	s_cbranch_vccnz .LBB400_18
; %bb.8:                                ;   in Loop: Header=BB400_7 Depth=1
	s_lshl_b64 s[28:29], s[8:9], 3
	v_mov_b64_e32 v[22:23], 0
	s_add_nc_u64 s[30:31], s[10:11], s[28:29]
	s_add_nc_u64 s[28:29], s[18:19], s[28:29]
	s_clause 0x1
	global_load_b64 v[2:3], v0, s[30:31]
	global_load_b64 v[30:31], v0, s[28:29]
	v_mov_b64_e32 v[20:21], 0
	v_mov_b64_e32 v[26:27], 0
	v_mov_b64_e32 v[24:25], 0
	v_mov_b64_e32 v[34:35], 0
	v_mov_b64_e32 v[32:33], 0
	v_mov_b64_e32 v[38:39], 0
	v_mov_b64_e32 v[36:37], 0
	s_wait_xcnt 0x0
	s_mov_b32 s28, 0
	s_wait_loadcnt 0x1
	v_add_nc_u64_e32 v[28:29], v[2:3], v[16:17]
	s_wait_loadcnt 0x0
	v_add_nc_u64_e32 v[30:31], v[30:31], v[18:19]
	s_branch .LBB400_10
.LBB400_9:                              ;   in Loop: Header=BB400_10 Depth=2
	s_wait_xcnt 0x0
	s_or_b32 exec_lo, exec_lo, s29
	s_wait_dscnt 0x0
	s_barrier_signal -1
	s_barrier_wait -1
	ds_load_b128 v[44:47], v43
	ds_load_b128 v[48:51], v42
	ds_load_b128 v[52:55], v42 offset:256
	ds_load_b128 v[56:59], v43 offset:2048
	;; [unrolled: 1-line block ×10, first 2 shown]
	v_add_nc_u64_e32 v[28:29], 0x80, v[28:29]
	v_add_nc_u64_e32 v[30:31], s[2:3], v[30:31]
	s_add_co_i32 s28, s28, 8
	s_delay_alu instid0(SALU_CYCLE_1)
	s_cmp_lt_i32 s28, s23
	s_wait_dscnt 0xa
	v_mul_f64_e32 v[2:3], v[46:47], v[50:51]
	v_mul_f64_e32 v[92:93], v[44:45], v[50:51]
	s_wait_dscnt 0x9
	v_mul_f64_e32 v[94:95], v[46:47], v[54:55]
	v_mul_f64_e32 v[96:97], v[44:45], v[54:55]
	s_wait_dscnt 0x8
	v_mul_f64_e32 v[98:99], v[58:59], v[50:51]
	v_mul_f64_e32 v[100:101], v[56:57], v[50:51]
	v_mul_f64_e32 v[50:51], v[58:59], v[54:55]
	v_mul_f64_e32 v[102:103], v[56:57], v[54:55]
	s_wait_dscnt 0x6
	v_mul_f64_e32 v[104:105], v[62:63], v[66:67]
	v_mul_f64_e32 v[106:107], v[60:61], v[66:67]
	s_wait_dscnt 0x5
	v_mul_f64_e32 v[108:109], v[62:63], v[70:71]
	v_mul_f64_e32 v[110:111], v[60:61], v[70:71]
	s_wait_dscnt 0x4
	v_mul_f64_e32 v[112:113], v[74:75], v[66:67]
	v_mul_f64_e32 v[66:67], v[72:73], v[66:67]
	v_mul_f64_e32 v[114:115], v[74:75], v[70:71]
	v_mul_f64_e32 v[70:71], v[72:73], v[70:71]
	;; [unrolled: 11-line block ×3, first 2 shown]
	v_fma_f64 v[2:3], v[44:45], v[48:49], -v[2:3]
	v_fmac_f64_e32 v[92:93], v[46:47], v[48:49]
	v_fma_f64 v[94:95], v[44:45], v[52:53], -v[94:95]
	v_fmac_f64_e32 v[96:97], v[46:47], v[52:53]
	;; [unrolled: 2-line block ×8, first 2 shown]
	ds_load_b128 v[44:47], v43 offset:48
	ds_load_b128 v[48:51], v43 offset:2096
	;; [unrolled: 1-line block ×4, first 2 shown]
	v_fma_f64 v[118:119], v[76:77], v[80:81], -v[118:119]
	v_fmac_f64_e32 v[120:121], v[78:79], v[80:81]
	v_fma_f64 v[76:77], v[76:77], v[84:85], -v[122:123]
	v_fmac_f64_e32 v[124:125], v[78:79], v[84:85]
	;; [unrolled: 2-line block ×4, first 2 shown]
	v_add_f64_e32 v[2:3], v[36:37], v[2:3]
	v_add_f64_e32 v[68:69], v[92:93], v[38:39]
	;; [unrolled: 1-line block ×8, first 2 shown]
	s_wait_dscnt 0x1
	v_mul_f64_e32 v[100:101], v[46:47], v[54:55]
	v_mul_f64_e32 v[102:103], v[44:45], v[54:55]
	s_wait_dscnt 0x0
	v_mul_f64_e32 v[108:109], v[46:47], v[58:59]
	v_mul_f64_e32 v[112:113], v[44:45], v[58:59]
	;; [unrolled: 1-line block ×6, first 2 shown]
	ds_load_b128 v[20:23], v43 offset:64
	ds_load_b128 v[24:27], v42 offset:2048
	;; [unrolled: 1-line block ×4, first 2 shown]
	v_add_f64_e32 v[2:3], v[2:3], v[104:105]
	v_add_f64_e32 v[84:85], v[106:107], v[68:69]
	;; [unrolled: 1-line block ×8, first 2 shown]
	s_wait_dscnt 0x2
	v_mul_f64_e32 v[98:99], v[22:23], v[26:27]
	v_mul_f64_e32 v[104:105], v[20:21], v[26:27]
	s_wait_dscnt 0x1
	v_mul_f64_e32 v[106:107], v[22:23], v[34:35]
	v_mul_f64_e32 v[110:111], v[20:21], v[34:35]
	;; [unrolled: 3-line block ×3, first 2 shown]
	v_mul_f64_e32 v[26:27], v[38:39], v[34:35]
	v_mul_f64_e32 v[128:129], v[36:37], v[34:35]
	v_fma_f64 v[34:35], v[44:45], v[52:53], -v[100:101]
	v_fmac_f64_e32 v[102:103], v[46:47], v[52:53]
	v_fma_f64 v[100:101], v[44:45], v[56:57], -v[108:109]
	v_fmac_f64_e32 v[112:113], v[46:47], v[56:57]
	;; [unrolled: 2-line block ×4, first 2 shown]
	ds_load_b128 v[58:61], v43 offset:80
	ds_load_b128 v[62:65], v43 offset:2128
	;; [unrolled: 1-line block ×4, first 2 shown]
	v_add_f64_e32 v[2:3], v[2:3], v[118:119]
	v_add_f64_e32 v[56:57], v[120:121], v[84:85]
	;; [unrolled: 1-line block ×8, first 2 shown]
	v_fma_f64 v[98:99], v[20:21], v[24:25], -v[98:99]
	v_fmac_f64_e32 v[104:105], v[22:23], v[24:25]
	v_fma_f64 v[106:107], v[20:21], v[32:33], -v[106:107]
	s_wait_dscnt 0x1
	v_mul_f64_e32 v[90:91], v[60:61], v[68:69]
	v_mul_f64_e32 v[92:93], v[58:59], v[68:69]
	s_wait_dscnt 0x0
	v_mul_f64_e32 v[94:95], v[60:61], v[72:73]
	v_mul_f64_e32 v[96:97], v[58:59], v[72:73]
	;; [unrolled: 1-line block ×6, first 2 shown]
	v_fmac_f64_e32 v[110:111], v[22:23], v[32:33]
	v_fma_f64 v[122:123], v[36:37], v[24:25], -v[122:123]
	v_fmac_f64_e32 v[126:127], v[38:39], v[24:25]
	v_fma_f64 v[124:125], v[36:37], v[32:33], -v[26:27]
	v_fmac_f64_e32 v[128:129], v[38:39], v[32:33]
	ds_load_b128 v[44:47], v43 offset:96
	ds_load_b128 v[48:51], v42 offset:3072
	ds_load_b128 v[52:55], v42 offset:3328
	ds_load_b128 v[74:77], v43 offset:2144
	v_add_f64_e32 v[2:3], v[2:3], v[34:35]
	v_add_f64_e32 v[56:57], v[102:103], v[56:57]
	;; [unrolled: 1-line block ×8, first 2 shown]
	ds_load_b128 v[20:23], v43 offset:112
	ds_load_b128 v[24:27], v43 offset:2160
	;; [unrolled: 1-line block ×4, first 2 shown]
	s_wait_dscnt 0x0
	v_mul_f64_e32 v[100:101], v[46:47], v[50:51]
	v_mul_f64_e32 v[102:103], v[44:45], v[50:51]
	;; [unrolled: 1-line block ×8, first 2 shown]
	v_fma_f64 v[90:91], v[58:59], v[66:67], -v[90:91]
	v_fmac_f64_e32 v[92:93], v[60:61], v[66:67]
	v_fma_f64 v[58:59], v[58:59], v[70:71], -v[94:95]
	v_fmac_f64_e32 v[96:97], v[60:61], v[70:71]
	;; [unrolled: 2-line block ×4, first 2 shown]
	s_barrier_signal -1
	s_barrier_wait -1
	v_mul_f64_e32 v[94:95], v[20:21], v[38:39]
	v_add_f64_e32 v[2:3], v[2:3], v[98:99]
	v_add_f64_e32 v[56:57], v[104:105], v[56:57]
	;; [unrolled: 1-line block ×8, first 2 shown]
	v_mul_f64_e32 v[84:85], v[22:23], v[34:35]
	v_mul_f64_e32 v[86:87], v[20:21], v[34:35]
	;; [unrolled: 1-line block ×7, first 2 shown]
	v_fma_f64 v[38:39], v[44:45], v[48:49], -v[100:101]
	v_fmac_f64_e32 v[102:103], v[46:47], v[48:49]
	v_fma_f64 v[44:45], v[44:45], v[52:53], -v[108:109]
	v_fmac_f64_e32 v[112:113], v[46:47], v[52:53]
	;; [unrolled: 2-line block ×4, first 2 shown]
	v_fmac_f64_e32 v[94:95], v[22:23], v[36:37]
	v_add_f64_e32 v[2:3], v[2:3], v[90:91]
	v_add_f64_e32 v[52:53], v[92:93], v[56:57]
	;; [unrolled: 1-line block ×8, first 2 shown]
	v_fma_f64 v[68:69], v[20:21], v[32:33], -v[84:85]
	v_fmac_f64_e32 v[86:87], v[22:23], v[32:33]
	v_fma_f64 v[20:21], v[20:21], v[36:37], -v[88:89]
	v_fma_f64 v[22:23], v[24:25], v[32:33], -v[98:99]
	v_fmac_f64_e32 v[104:105], v[26:27], v[32:33]
	v_fma_f64 v[70:71], v[24:25], v[36:37], -v[34:35]
	v_fmac_f64_e32 v[106:107], v[26:27], v[36:37]
	v_add_f64_e32 v[2:3], v[2:3], v[38:39]
	v_add_f64_e32 v[24:25], v[102:103], v[52:53]
	v_add_f64_e32 v[26:27], v[56:57], v[44:45]
	v_add_f64_e32 v[34:35], v[112:113], v[58:59]
	v_add_f64_e32 v[44:45], v[60:61], v[46:47]
	v_add_f64_e32 v[46:47], v[50:51], v[64:65]
	v_add_f64_e32 v[48:49], v[62:63], v[48:49]
	v_add_f64_e32 v[50:51], v[54:55], v[66:67]
	v_add_f64_e32 v[36:37], v[2:3], v[68:69]
	v_add_f64_e32 v[38:39], v[86:87], v[24:25]
	v_add_f64_e32 v[32:33], v[26:27], v[20:21]
	v_add_f64_e32 v[34:35], v[94:95], v[34:35]
	v_add_f64_e32 v[24:25], v[44:45], v[22:23]
	v_add_f64_e32 v[26:27], v[104:105], v[46:47]
	v_add_f64_e32 v[20:21], v[48:49], v[70:71]
	v_add_f64_e32 v[22:23], v[106:107], v[50:51]
	s_cbranch_scc0 .LBB400_18
.LBB400_10:                             ;   Parent Loop BB400_7 Depth=1
                                        ; =>  This Inner Loop Header: Depth=2
	v_add_nc_u32_e32 v1, s28, v40
	s_delay_alu instid0(VALU_DEP_1) | instskip(SKIP_1) | instid1(SALU_CYCLE_1)
	v_cmp_le_i32_e32 vcc_lo, s23, v1
	s_or_b32 s29, s21, vcc_lo
	s_and_saveexec_b32 s30, s29
	s_delay_alu instid0(SALU_CYCLE_1)
	s_xor_b32 s29, exec_lo, s30
; %bb.11:                               ;   in Loop: Header=BB400_10 Depth=2
	v_dual_mov_b32 v1, v0 :: v_dual_mov_b32 v2, v0
	v_mov_b32_e32 v3, v0
	ds_store_b128 v7, v[0:3]
; %bb.12:                               ;   in Loop: Header=BB400_10 Depth=2
	s_and_not1_saveexec_b32 s29, s29
	s_cbranch_execz .LBB400_14
; %bb.13:                               ;   in Loop: Header=BB400_10 Depth=2
	flat_load_b128 v[44:47], v[28:29]
	s_wait_loadcnt_dscnt 0x0
	ds_store_2addr_b64 v7, v[44:45], v[46:47] offset1:1
.LBB400_14:                             ;   in Loop: Header=BB400_10 Depth=2
	s_wait_xcnt 0x0
	s_or_b32 exec_lo, exec_lo, s29
	v_add_nc_u32_e32 v1, s28, v6
	s_delay_alu instid0(VALU_DEP_1) | instskip(SKIP_1) | instid1(SALU_CYCLE_1)
	v_cmp_le_i32_e32 vcc_lo, s23, v1
	s_or_b32 s29, vcc_lo, s22
	s_and_saveexec_b32 s30, s29
	s_delay_alu instid0(SALU_CYCLE_1)
	s_xor_b32 s29, exec_lo, s30
; %bb.15:                               ;   in Loop: Header=BB400_10 Depth=2
	v_dual_mov_b32 v1, v0 :: v_dual_mov_b32 v2, v0
	v_mov_b32_e32 v3, v0
	ds_store_b128 v41, v[0:3]
; %bb.16:                               ;   in Loop: Header=BB400_10 Depth=2
	s_and_not1_saveexec_b32 s29, s29
	s_cbranch_execz .LBB400_9
; %bb.17:                               ;   in Loop: Header=BB400_10 Depth=2
	flat_load_b128 v[44:47], v[30:31]
	s_wait_loadcnt_dscnt 0x0
	ds_store_2addr_b64 v41, v[44:45], v[46:47] offset1:1
	s_branch .LBB400_9
.LBB400_18:                             ;   in Loop: Header=BB400_7 Depth=1
	s_wait_loadcnt 0x0
	v_add_nc_u64_e32 v[28:29], s[0:1], v[4:5]
	s_delay_alu instid0(VALU_DEP_1)
	v_lshl_add_u64 v[30:31], v[10:11], 4, v[28:29]
	s_wait_xcnt 0x0
	s_and_saveexec_b32 s28, s33
	s_cbranch_execz .LBB400_23
; %bb.19:                               ;   in Loop: Header=BB400_7 Depth=1
	v_mul_f64_e32 v[2:3], s[14:15], v[38:39]
	v_mul_f64_e32 v[4:5], s[12:13], v[38:39]
	s_and_b32 vcc_lo, exec_lo, s26
	s_mov_b32 s29, -1
	s_delay_alu instid0(VALU_DEP_2) | instskip(NEXT) | instid1(VALU_DEP_2)
	v_fma_f64 v[2:3], s[12:13], v[36:37], -v[2:3]
	v_fmac_f64_e32 v[4:5], s[14:15], v[36:37]
	v_lshl_add_u64 v[36:37], v[8:9], 4, v[30:31]
	s_cbranch_vccz .LBB400_21
; %bb.20:                               ;   in Loop: Header=BB400_7 Depth=1
	flat_load_b128 v[44:47], v[36:37]
	s_mov_b32 s29, 0
	s_wait_loadcnt_dscnt 0x0
	v_mul_f64_e32 v[38:39], s[6:7], v[46:47]
	v_mul_f64_e32 v[46:47], s[4:5], v[46:47]
	s_delay_alu instid0(VALU_DEP_2) | instskip(NEXT) | instid1(VALU_DEP_2)
	v_fma_f64 v[38:39], s[4:5], v[44:45], -v[38:39]
	v_fmac_f64_e32 v[46:47], s[6:7], v[44:45]
	s_delay_alu instid0(VALU_DEP_2) | instskip(NEXT) | instid1(VALU_DEP_2)
	v_add_f64_e32 v[44:45], v[2:3], v[38:39]
	v_add_f64_e32 v[46:47], v[4:5], v[46:47]
	flat_store_b128 v[36:37], v[44:47]
.LBB400_21:                             ;   in Loop: Header=BB400_7 Depth=1
	s_and_not1_b32 vcc_lo, exec_lo, s29
	s_cbranch_vccnz .LBB400_23
; %bb.22:                               ;   in Loop: Header=BB400_7 Depth=1
	flat_store_b128 v[36:37], v[2:5]
.LBB400_23:                             ;   in Loop: Header=BB400_7 Depth=1
	s_wait_xcnt 0x0
	s_or_b32 exec_lo, exec_lo, s28
	s_and_saveexec_b32 s28, s34
	s_cbranch_execz .LBB400_28
; %bb.24:                               ;   in Loop: Header=BB400_7 Depth=1
	v_mul_f64_e32 v[2:3], s[14:15], v[34:35]
	v_mul_f64_e32 v[4:5], s[12:13], v[34:35]
	v_lshl_add_u64 v[30:31], v[12:13], 4, v[30:31]
	s_and_not1_b32 vcc_lo, exec_lo, s26
	s_mov_b32 s29, -1
	s_delay_alu instid0(VALU_DEP_3) | instskip(NEXT) | instid1(VALU_DEP_3)
	v_fma_f64 v[2:3], s[12:13], v[32:33], -v[2:3]
	v_fmac_f64_e32 v[4:5], s[14:15], v[32:33]
	s_cbranch_vccnz .LBB400_26
; %bb.25:                               ;   in Loop: Header=BB400_7 Depth=1
	flat_load_b128 v[32:35], v[30:31]
	s_mov_b32 s29, 0
	s_wait_loadcnt_dscnt 0x0
	v_mul_f64_e32 v[36:37], s[6:7], v[34:35]
	v_mul_f64_e32 v[34:35], s[4:5], v[34:35]
	s_delay_alu instid0(VALU_DEP_2) | instskip(NEXT) | instid1(VALU_DEP_2)
	v_fma_f64 v[36:37], s[4:5], v[32:33], -v[36:37]
	v_fmac_f64_e32 v[34:35], s[6:7], v[32:33]
	s_delay_alu instid0(VALU_DEP_2) | instskip(NEXT) | instid1(VALU_DEP_2)
	v_add_f64_e32 v[32:33], v[2:3], v[36:37]
	v_add_f64_e32 v[34:35], v[4:5], v[34:35]
	flat_store_b128 v[30:31], v[32:35]
.LBB400_26:                             ;   in Loop: Header=BB400_7 Depth=1
	s_and_not1_b32 vcc_lo, exec_lo, s29
	s_cbranch_vccnz .LBB400_28
; %bb.27:                               ;   in Loop: Header=BB400_7 Depth=1
	flat_store_b128 v[30:31], v[2:5]
.LBB400_28:                             ;   in Loop: Header=BB400_7 Depth=1
	s_wait_xcnt 0x0
	s_or_b32 exec_lo, exec_lo, s28
	v_lshl_add_u64 v[28:29], v[14:15], 4, v[28:29]
	s_and_saveexec_b32 s28, s16
	s_cbranch_execz .LBB400_33
; %bb.29:                               ;   in Loop: Header=BB400_7 Depth=1
	v_mul_f64_e32 v[2:3], s[14:15], v[26:27]
	v_mul_f64_e32 v[4:5], s[12:13], v[26:27]
	s_and_not1_b32 vcc_lo, exec_lo, s26
	s_mov_b32 s29, -1
	s_delay_alu instid0(VALU_DEP_2) | instskip(NEXT) | instid1(VALU_DEP_2)
	v_fma_f64 v[2:3], s[12:13], v[24:25], -v[2:3]
	v_fmac_f64_e32 v[4:5], s[14:15], v[24:25]
	v_lshl_add_u64 v[24:25], v[8:9], 4, v[28:29]
	s_cbranch_vccnz .LBB400_31
; %bb.30:                               ;   in Loop: Header=BB400_7 Depth=1
	flat_load_b128 v[30:33], v[24:25]
	s_mov_b32 s29, 0
	s_wait_loadcnt_dscnt 0x0
	v_mul_f64_e32 v[26:27], s[6:7], v[32:33]
	v_mul_f64_e32 v[32:33], s[4:5], v[32:33]
	s_delay_alu instid0(VALU_DEP_2) | instskip(NEXT) | instid1(VALU_DEP_2)
	v_fma_f64 v[26:27], s[4:5], v[30:31], -v[26:27]
	v_fmac_f64_e32 v[32:33], s[6:7], v[30:31]
	s_delay_alu instid0(VALU_DEP_2) | instskip(NEXT) | instid1(VALU_DEP_2)
	v_add_f64_e32 v[30:31], v[2:3], v[26:27]
	v_add_f64_e32 v[32:33], v[4:5], v[32:33]
	flat_store_b128 v[24:25], v[30:33]
.LBB400_31:                             ;   in Loop: Header=BB400_7 Depth=1
	s_and_not1_b32 vcc_lo, exec_lo, s29
	s_cbranch_vccnz .LBB400_33
; %bb.32:                               ;   in Loop: Header=BB400_7 Depth=1
	flat_store_b128 v[24:25], v[2:5]
.LBB400_33:                             ;   in Loop: Header=BB400_7 Depth=1
	s_wait_xcnt 0x0
	s_or_b32 exec_lo, exec_lo, s28
	s_and_saveexec_b32 s28, s17
	s_cbranch_execz .LBB400_6
; %bb.34:                               ;   in Loop: Header=BB400_7 Depth=1
	s_delay_alu instid0(VALU_DEP_4) | instskip(SKIP_3) | instid1(VALU_DEP_2)
	v_mul_f64_e32 v[2:3], s[14:15], v[22:23]
	v_mul_f64_e32 v[4:5], s[12:13], v[22:23]
	s_and_not1_b32 vcc_lo, exec_lo, s26
	s_mov_b32 s29, -1
	v_fma_f64 v[2:3], s[12:13], v[20:21], -v[2:3]
	s_delay_alu instid0(VALU_DEP_2)
	v_fmac_f64_e32 v[4:5], s[14:15], v[20:21]
	v_lshl_add_u64 v[20:21], v[12:13], 4, v[28:29]
	s_cbranch_vccnz .LBB400_36
; %bb.35:                               ;   in Loop: Header=BB400_7 Depth=1
	flat_load_b128 v[22:25], v[20:21]
	s_mov_b32 s29, 0
	s_wait_loadcnt_dscnt 0x0
	v_mul_f64_e32 v[26:27], s[6:7], v[24:25]
	v_mul_f64_e32 v[24:25], s[4:5], v[24:25]
	s_delay_alu instid0(VALU_DEP_2) | instskip(NEXT) | instid1(VALU_DEP_2)
	v_fma_f64 v[26:27], s[4:5], v[22:23], -v[26:27]
	v_fmac_f64_e32 v[24:25], s[6:7], v[22:23]
	s_delay_alu instid0(VALU_DEP_2) | instskip(NEXT) | instid1(VALU_DEP_2)
	v_add_f64_e32 v[22:23], v[2:3], v[26:27]
	v_add_f64_e32 v[24:25], v[4:5], v[24:25]
	flat_store_b128 v[20:21], v[22:25]
.LBB400_36:                             ;   in Loop: Header=BB400_7 Depth=1
	s_and_not1_b32 vcc_lo, exec_lo, s29
	s_cbranch_vccnz .LBB400_6
; %bb.37:                               ;   in Loop: Header=BB400_7 Depth=1
	flat_store_b128 v[20:21], v[2:5]
	s_branch .LBB400_6
.LBB400_38:
.LBB400_39:
	s_sendmsg sendmsg(MSG_DEALLOC_VGPRS)
	s_endpgm
	.section	.rodata,"a",@progbits
	.p2align	6, 0x0
	.amdhsa_kernel _ZL29rocblas_internal_gemmt_kernelIiLi16ELi32ELi8ELc84ELc84ELc85ELb0ELb0E19rocblas_complex_numIdEPKS1_PKS3_PKPS1_EviT_T9_T10_S9_lSB_S9_lSA_T11_S9_li
		.amdhsa_group_segment_fixed_size 8192
		.amdhsa_private_segment_fixed_size 0
		.amdhsa_kernarg_size 100
		.amdhsa_user_sgpr_count 2
		.amdhsa_user_sgpr_dispatch_ptr 0
		.amdhsa_user_sgpr_queue_ptr 0
		.amdhsa_user_sgpr_kernarg_segment_ptr 1
		.amdhsa_user_sgpr_dispatch_id 0
		.amdhsa_user_sgpr_kernarg_preload_length 0
		.amdhsa_user_sgpr_kernarg_preload_offset 0
		.amdhsa_user_sgpr_private_segment_size 0
		.amdhsa_wavefront_size32 1
		.amdhsa_uses_dynamic_stack 0
		.amdhsa_enable_private_segment 0
		.amdhsa_system_sgpr_workgroup_id_x 1
		.amdhsa_system_sgpr_workgroup_id_y 1
		.amdhsa_system_sgpr_workgroup_id_z 1
		.amdhsa_system_sgpr_workgroup_info 0
		.amdhsa_system_vgpr_workitem_id 1
		.amdhsa_next_free_vgpr 132
		.amdhsa_next_free_sgpr 41
		.amdhsa_named_barrier_count 0
		.amdhsa_reserve_vcc 1
		.amdhsa_float_round_mode_32 0
		.amdhsa_float_round_mode_16_64 0
		.amdhsa_float_denorm_mode_32 3
		.amdhsa_float_denorm_mode_16_64 3
		.amdhsa_fp16_overflow 0
		.amdhsa_memory_ordered 1
		.amdhsa_forward_progress 1
		.amdhsa_inst_pref_size 24
		.amdhsa_round_robin_scheduling 0
		.amdhsa_exception_fp_ieee_invalid_op 0
		.amdhsa_exception_fp_denorm_src 0
		.amdhsa_exception_fp_ieee_div_zero 0
		.amdhsa_exception_fp_ieee_overflow 0
		.amdhsa_exception_fp_ieee_underflow 0
		.amdhsa_exception_fp_ieee_inexact 0
		.amdhsa_exception_int_div_zero 0
	.end_amdhsa_kernel
	.section	.text._ZL29rocblas_internal_gemmt_kernelIiLi16ELi32ELi8ELc84ELc84ELc85ELb0ELb0E19rocblas_complex_numIdEPKS1_PKS3_PKPS1_EviT_T9_T10_S9_lSB_S9_lSA_T11_S9_li,"axG",@progbits,_ZL29rocblas_internal_gemmt_kernelIiLi16ELi32ELi8ELc84ELc84ELc85ELb0ELb0E19rocblas_complex_numIdEPKS1_PKS3_PKPS1_EviT_T9_T10_S9_lSB_S9_lSA_T11_S9_li,comdat
.Lfunc_end400:
	.size	_ZL29rocblas_internal_gemmt_kernelIiLi16ELi32ELi8ELc84ELc84ELc85ELb0ELb0E19rocblas_complex_numIdEPKS1_PKS3_PKPS1_EviT_T9_T10_S9_lSB_S9_lSA_T11_S9_li, .Lfunc_end400-_ZL29rocblas_internal_gemmt_kernelIiLi16ELi32ELi8ELc84ELc84ELc85ELb0ELb0E19rocblas_complex_numIdEPKS1_PKS3_PKPS1_EviT_T9_T10_S9_lSB_S9_lSA_T11_S9_li
                                        ; -- End function
	.set _ZL29rocblas_internal_gemmt_kernelIiLi16ELi32ELi8ELc84ELc84ELc85ELb0ELb0E19rocblas_complex_numIdEPKS1_PKS3_PKPS1_EviT_T9_T10_S9_lSB_S9_lSA_T11_S9_li.num_vgpr, 132
	.set _ZL29rocblas_internal_gemmt_kernelIiLi16ELi32ELi8ELc84ELc84ELc85ELb0ELb0E19rocblas_complex_numIdEPKS1_PKS3_PKPS1_EviT_T9_T10_S9_lSB_S9_lSA_T11_S9_li.num_agpr, 0
	.set _ZL29rocblas_internal_gemmt_kernelIiLi16ELi32ELi8ELc84ELc84ELc85ELb0ELb0E19rocblas_complex_numIdEPKS1_PKS3_PKPS1_EviT_T9_T10_S9_lSB_S9_lSA_T11_S9_li.numbered_sgpr, 41
	.set _ZL29rocblas_internal_gemmt_kernelIiLi16ELi32ELi8ELc84ELc84ELc85ELb0ELb0E19rocblas_complex_numIdEPKS1_PKS3_PKPS1_EviT_T9_T10_S9_lSB_S9_lSA_T11_S9_li.num_named_barrier, 0
	.set _ZL29rocblas_internal_gemmt_kernelIiLi16ELi32ELi8ELc84ELc84ELc85ELb0ELb0E19rocblas_complex_numIdEPKS1_PKS3_PKPS1_EviT_T9_T10_S9_lSB_S9_lSA_T11_S9_li.private_seg_size, 0
	.set _ZL29rocblas_internal_gemmt_kernelIiLi16ELi32ELi8ELc84ELc84ELc85ELb0ELb0E19rocblas_complex_numIdEPKS1_PKS3_PKPS1_EviT_T9_T10_S9_lSB_S9_lSA_T11_S9_li.uses_vcc, 1
	.set _ZL29rocblas_internal_gemmt_kernelIiLi16ELi32ELi8ELc84ELc84ELc85ELb0ELb0E19rocblas_complex_numIdEPKS1_PKS3_PKPS1_EviT_T9_T10_S9_lSB_S9_lSA_T11_S9_li.uses_flat_scratch, 0
	.set _ZL29rocblas_internal_gemmt_kernelIiLi16ELi32ELi8ELc84ELc84ELc85ELb0ELb0E19rocblas_complex_numIdEPKS1_PKS3_PKPS1_EviT_T9_T10_S9_lSB_S9_lSA_T11_S9_li.has_dyn_sized_stack, 0
	.set _ZL29rocblas_internal_gemmt_kernelIiLi16ELi32ELi8ELc84ELc84ELc85ELb0ELb0E19rocblas_complex_numIdEPKS1_PKS3_PKPS1_EviT_T9_T10_S9_lSB_S9_lSA_T11_S9_li.has_recursion, 0
	.set _ZL29rocblas_internal_gemmt_kernelIiLi16ELi32ELi8ELc84ELc84ELc85ELb0ELb0E19rocblas_complex_numIdEPKS1_PKS3_PKPS1_EviT_T9_T10_S9_lSB_S9_lSA_T11_S9_li.has_indirect_call, 0
	.section	.AMDGPU.csdata,"",@progbits
; Kernel info:
; codeLenInByte = 3016
; TotalNumSgprs: 43
; NumVgprs: 132
; ScratchSize: 0
; MemoryBound: 0
; FloatMode: 240
; IeeeMode: 1
; LDSByteSize: 8192 bytes/workgroup (compile time only)
; SGPRBlocks: 0
; VGPRBlocks: 8
; NumSGPRsForWavesPerEU: 43
; NumVGPRsForWavesPerEU: 132
; NamedBarCnt: 0
; Occupancy: 7
; WaveLimiterHint : 1
; COMPUTE_PGM_RSRC2:SCRATCH_EN: 0
; COMPUTE_PGM_RSRC2:USER_SGPR: 2
; COMPUTE_PGM_RSRC2:TRAP_HANDLER: 0
; COMPUTE_PGM_RSRC2:TGID_X_EN: 1
; COMPUTE_PGM_RSRC2:TGID_Y_EN: 1
; COMPUTE_PGM_RSRC2:TGID_Z_EN: 1
; COMPUTE_PGM_RSRC2:TIDIG_COMP_CNT: 1
	.section	.text._ZL29rocblas_internal_gemmt_kernelIiLi16ELi32ELi8ELc84ELc67ELc85ELb0ELb1E19rocblas_complex_numIdEPKS1_PKS3_PKPS1_EviT_T9_T10_S9_lSB_S9_lSA_T11_S9_li,"axG",@progbits,_ZL29rocblas_internal_gemmt_kernelIiLi16ELi32ELi8ELc84ELc67ELc85ELb0ELb1E19rocblas_complex_numIdEPKS1_PKS3_PKPS1_EviT_T9_T10_S9_lSB_S9_lSA_T11_S9_li,comdat
	.globl	_ZL29rocblas_internal_gemmt_kernelIiLi16ELi32ELi8ELc84ELc67ELc85ELb0ELb1E19rocblas_complex_numIdEPKS1_PKS3_PKPS1_EviT_T9_T10_S9_lSB_S9_lSA_T11_S9_li ; -- Begin function _ZL29rocblas_internal_gemmt_kernelIiLi16ELi32ELi8ELc84ELc67ELc85ELb0ELb1E19rocblas_complex_numIdEPKS1_PKS3_PKPS1_EviT_T9_T10_S9_lSB_S9_lSA_T11_S9_li
	.p2align	8
	.type	_ZL29rocblas_internal_gemmt_kernelIiLi16ELi32ELi8ELc84ELc67ELc85ELb0ELb1E19rocblas_complex_numIdEPKS1_PKS3_PKPS1_EviT_T9_T10_S9_lSB_S9_lSA_T11_S9_li,@function
_ZL29rocblas_internal_gemmt_kernelIiLi16ELi32ELi8ELc84ELc67ELc85ELb0ELb1E19rocblas_complex_numIdEPKS1_PKS3_PKPS1_EviT_T9_T10_S9_lSB_S9_lSA_T11_S9_li: ; @_ZL29rocblas_internal_gemmt_kernelIiLi16ELi32ELi8ELc84ELc67ELc85ELb0ELb1E19rocblas_complex_numIdEPKS1_PKS3_PKPS1_EviT_T9_T10_S9_lSB_S9_lSA_T11_S9_li
; %bb.0:
	s_load_b128 s[20:23], s[0:1], 0x38
	s_wait_kmcnt 0x0
	s_load_b128 s[4:7], s[22:23], 0x0
	s_load_b128 s[8:11], s[0:1], 0x8
	s_wait_xcnt 0x0
	s_load_b64 s[22:23], s[0:1], 0x0
	s_wait_kmcnt 0x0
	v_cmp_eq_f64_e64 s2, s[4:5], 1.0
	v_cmp_eq_f64_e64 s33, s[6:7], 0
	s_load_b128 s[12:15], s[8:9], 0x0
	s_and_b32 s2, s2, s33
	s_delay_alu instid0(SALU_CYCLE_1)
	s_and_not1_b32 vcc_lo, exec_lo, s2
	s_mov_b32 s2, -1
	s_cbranch_vccnz .LBB401_3
; %bb.1:
	s_cmp_lg_u32 s23, 0
	s_cbranch_scc0 .LBB401_36
; %bb.2:
	s_wait_kmcnt 0x0
	v_cmp_neq_f64_e64 s2, s[12:13], 0
	v_cmp_neq_f64_e64 s3, s[14:15], 0
	s_or_b32 s2, s2, s3
.LBB401_3:
	s_delay_alu instid0(SALU_CYCLE_1)
	s_and_b32 vcc_lo, exec_lo, s2
	s_cbranch_vccz .LBB401_37
; %bb.4:
	s_load_b32 s27, s[0:1], 0x60
	s_bfe_u32 s2, ttmp6, 0x40014
	s_lshr_b32 s3, ttmp7, 16
	s_add_co_i32 s2, s2, 1
	s_wait_xcnt 0x0
	s_bfe_u32 s8, ttmp6, 0x40008
	s_mul_i32 s2, s3, s2
	s_getreg_b32 s34, hwreg(HW_REG_IB_STS2, 6, 4)
	s_add_co_i32 s8, s8, s2
	s_cmp_eq_u32 s34, 0
	s_mov_b32 s9, 0
	s_cselect_b32 s8, s3, s8
	s_wait_kmcnt 0x0
	s_cmp_ge_u32 s8, s27
	s_cbranch_scc1 .LBB401_37
; %bb.5:
	s_clause 0x3
	s_load_b32 s2, s[0:1], 0x18
	s_load_b32 s28, s[0:1], 0x30
	s_load_b96 s[24:26], s[0:1], 0x48
	s_load_b128 s[16:19], s[0:1], 0x20
	v_and_b32_e32 v1, 0x3ff, v0
	v_bfe_u32 v9, v0, 10, 10
	s_load_b64 s[30:31], s[0:1], 0x58
	s_wait_xcnt 0x0
	s_bfe_u32 s1, ttmp6, 0x4000c
	s_bfe_u32 s3, ttmp6, 0x40010
	s_and_b32 s38, ttmp7, 0xffff
	s_add_co_i32 s1, s1, 1
	s_add_co_i32 s39, s3, 1
	v_and_b32_e32 v6, 7, v0
	v_lshl_add_u32 v0, v9, 4, v1
	s_and_b32 s0, ttmp6, 15
	s_mul_i32 s1, ttmp9, s1
	s_mul_i32 s39, s38, s39
	s_bfe_u32 s40, ttmp6, 0x40004
	s_add_co_i32 s0, s0, s1
	s_add_co_i32 s40, s40, s39
	s_wait_kmcnt 0x0
	s_ashr_i32 s3, s2, 31
	s_ashr_i32 s29, s28, 31
	;; [unrolled: 1-line block ×3, first 2 shown]
	s_cmp_eq_u32 s34, 0
	v_dual_lshrrev_b32 v8, 3, v0 :: v_dual_bitop2_b32 v5, 31, v0 bitop3:0x40
	s_cselect_b32 s0, ttmp9, s0
	s_cselect_b32 s1, s38, s40
	s_lshl_b32 s38, s0, 5
	s_delay_alu instid0(VALU_DEP_1) | instid1(SALU_CYCLE_1)
	v_dual_lshrrev_b32 v42, 5, v0 :: v_dual_bitop2_b32 v2, s38, v5 bitop3:0x54
	v_mov_b32_e32 v0, 0
	s_lshl_b32 s0, s1, 5
	v_cmp_neq_f64_e64 s36, s[12:13], 0
	v_cmp_neq_f64_e64 s37, s[14:15], 0
	s_delay_alu instid0(VALU_DEP_3) | instskip(SKIP_3) | instid1(VALU_DEP_4)
	v_dual_mov_b32 v7, v0 :: v_dual_add_nc_u32 v4, s0, v8
	v_dual_ashrrev_i32 v3, 31, v2 :: v_dual_lshlrev_b32 v5, 4, v5
	v_add_nc_u32_e32 v18, s0, v9
	v_cmp_gt_i32_e32 vcc_lo, s22, v2
	v_mul_u64_e32 v[16:17], s[28:29], v[6:7]
	s_delay_alu instid0(VALU_DEP_4) | instskip(SKIP_4) | instid1(VALU_DEP_4)
	v_mul_u64_e32 v[20:21], s[2:3], v[2:3]
	v_lshlrev_b32_e32 v3, 4, v6
	v_dual_add_nc_u32 v2, 16, v18 :: v_dual_ashrrev_i32 v19, 31, v18
	v_lshl_or_b32 v7, v42, 9, v5
	v_cmp_neq_f64_e64 s39, s[4:5], 0
	v_lshl_or_b32 v5, v8, 7, v3
	s_delay_alu instid0(VALU_DEP_4) | instskip(SKIP_3) | instid1(VALU_DEP_3)
	v_dual_add_nc_u32 v8, s38, v1 :: v_dual_ashrrev_i32 v3, 31, v2
	s_mov_b32 s34, s26
	v_cmp_gt_i32_e64 s1, s22, v18
	v_mul_u64_e32 v[10:11], s[34:35], v[18:19]
	v_add_nc_u32_e32 v12, 16, v8
	v_mul_u64_e32 v[14:15], s[34:35], v[2:3]
	v_cmp_le_i32_e64 s2, v8, v18
	v_lshl_add_u32 v45, v9, 7, 0x1000
	v_ashrrev_i32_e32 v9, 31, v8
	v_cmp_le_i32_e64 s3, v12, v18
	v_add_nc_u32_e32 v43, 0x1000, v5
	v_dual_ashrrev_i32 v5, 31, v4 :: v_dual_lshlrev_b32 v44, 4, v1
	v_dual_mov_b32 v19, v0 :: v_dual_lshlrev_b32 v18, 4, v42
	v_cmp_gt_i32_e64 s0, s22, v4
	s_or_b32 s36, s36, s37
	s_cmp_gt_i32 s23, 0
	v_ashrrev_i32_e32 v13, 31, v12
	s_cselect_b32 s37, -1, 0
	s_lshl_b64 s[20:21], s[20:21], 4
	s_lshl_b64 s[16:17], s[16:17], 4
	s_xor_b32 s26, s33, -1
	v_lshl_add_u64 v[16:17], v[16:17], 4, s[20:21]
	s_and_b32 s33, s1, s2
	s_and_b32 s34, s1, s3
	v_cmp_gt_i32_e64 s1, s22, v2
	v_cmp_le_i32_e64 s2, v8, v2
	v_cmp_le_i32_e64 s3, v12, v2
	v_lshl_add_u64 v[2:3], v[20:21], 4, s[16:17]
	v_lshl_add_u64 v[16:17], v[4:5], 4, v[16:17]
	s_or_b32 s26, s39, s26
	s_and_b32 s20, s1, s2
	s_and_b32 s1, s1, s3
	v_add_nc_u64_e32 v[18:19], v[2:3], v[18:19]
	v_or_b32_e32 v16, 8, v16
	s_and_b32 s21, s36, s37
	s_lshl_b64 s[2:3], s[28:29], 7
	s_xor_b32 s22, vcc_lo, -1
	s_lshl_b64 s[16:17], s[30:31], 4
	s_branch .LBB401_7
.LBB401_6:                              ;   in Loop: Header=BB401_7 Depth=1
	s_wait_xcnt 0x0
	s_or_b32 exec_lo, exec_lo, s28
	s_add_co_i32 s8, s8, 0x10000
	s_delay_alu instid0(SALU_CYCLE_1)
	s_cmp_lt_u32 s8, s27
	s_cbranch_scc0 .LBB401_37
.LBB401_7:                              ; =>This Loop Header: Depth=1
                                        ;     Child Loop BB401_10 Depth 2
	v_mov_b32_e32 v1, s8
	v_mov_b64_e32 v[38:39], 0
	v_mov_b64_e32 v[40:41], 0
	;; [unrolled: 1-line block ×4, first 2 shown]
	global_load_b64 v[24:25], v1, s[24:25] scale_offset
	v_mov_b64_e32 v[26:27], 0
	v_mov_b64_e32 v[28:29], 0
	;; [unrolled: 1-line block ×4, first 2 shown]
	s_and_not1_b32 vcc_lo, exec_lo, s21
	s_cbranch_vccnz .LBB401_16
; %bb.8:                                ;   in Loop: Header=BB401_7 Depth=1
	s_lshl_b64 s[28:29], s[8:9], 3
	v_mov_b64_e32 v[22:23], 0
	s_add_nc_u64 s[30:31], s[10:11], s[28:29]
	s_add_nc_u64 s[28:29], s[18:19], s[28:29]
	s_clause 0x1
	global_load_b64 v[2:3], v0, s[30:31]
	global_load_b64 v[4:5], v0, s[28:29]
	v_mov_b64_e32 v[20:21], 0
	v_mov_b64_e32 v[28:29], 0
	;; [unrolled: 1-line block ×7, first 2 shown]
	s_wait_xcnt 0x0
	s_mov_b32 s28, 0
	s_wait_loadcnt 0x1
	v_add_nc_u64_e32 v[30:31], v[2:3], v[18:19]
	s_wait_loadcnt 0x0
	v_add_nc_u64_e32 v[32:33], v[4:5], v[16:17]
	s_branch .LBB401_10
.LBB401_9:                              ;   in Loop: Header=BB401_10 Depth=2
	s_wait_xcnt 0x0
	s_or_b32 exec_lo, exec_lo, s29
	ds_store_b128 v43, v[2:5]
	s_wait_dscnt 0x0
	s_barrier_signal -1
	s_barrier_wait -1
	ds_load_b128 v[2:5], v45
	ds_load_b128 v[46:49], v44
	ds_load_b128 v[50:53], v44 offset:256
	ds_load_b128 v[54:57], v45 offset:2048
	;; [unrolled: 1-line block ×10, first 2 shown]
	v_add_nc_u64_e32 v[30:31], 0x80, v[30:31]
	v_add_nc_u64_e32 v[32:33], s[2:3], v[32:33]
	s_add_co_i32 s28, s28, 8
	s_delay_alu instid0(SALU_CYCLE_1)
	s_cmp_lt_i32 s28, s23
	s_wait_dscnt 0xa
	v_mul_f64_e32 v[90:91], v[4:5], v[48:49]
	v_mul_f64_e32 v[92:93], v[2:3], v[48:49]
	s_wait_dscnt 0x9
	v_mul_f64_e32 v[94:95], v[4:5], v[52:53]
	v_mul_f64_e32 v[96:97], v[2:3], v[52:53]
	s_wait_dscnt 0x8
	v_mul_f64_e32 v[98:99], v[56:57], v[48:49]
	v_mul_f64_e32 v[100:101], v[54:55], v[48:49]
	v_mul_f64_e32 v[48:49], v[56:57], v[52:53]
	v_mul_f64_e32 v[102:103], v[54:55], v[52:53]
	s_wait_dscnt 0x6
	v_mul_f64_e32 v[104:105], v[60:61], v[64:65]
	v_mul_f64_e32 v[106:107], v[58:59], v[64:65]
	s_wait_dscnt 0x5
	v_mul_f64_e32 v[108:109], v[60:61], v[68:69]
	v_mul_f64_e32 v[110:111], v[58:59], v[68:69]
	s_wait_dscnt 0x4
	v_mul_f64_e32 v[112:113], v[72:73], v[64:65]
	v_mul_f64_e32 v[64:65], v[70:71], v[64:65]
	v_mul_f64_e32 v[114:115], v[72:73], v[68:69]
	v_mul_f64_e32 v[68:69], v[70:71], v[68:69]
	;; [unrolled: 11-line block ×3, first 2 shown]
	v_fma_f64 v[90:91], v[2:3], v[46:47], -v[90:91]
	v_fmac_f64_e32 v[92:93], v[4:5], v[46:47]
	v_fma_f64 v[94:95], v[2:3], v[50:51], -v[94:95]
	v_fmac_f64_e32 v[96:97], v[4:5], v[50:51]
	v_fma_f64 v[98:99], v[54:55], v[46:47], -v[98:99]
	v_fmac_f64_e32 v[100:101], v[56:57], v[46:47]
	v_fma_f64 v[116:117], v[54:55], v[50:51], -v[48:49]
	v_fmac_f64_e32 v[102:103], v[56:57], v[50:51]
	v_fma_f64 v[104:105], v[58:59], v[62:63], -v[104:105]
	v_fmac_f64_e32 v[106:107], v[60:61], v[62:63]
	v_fma_f64 v[58:59], v[58:59], v[66:67], -v[108:109]
	v_fmac_f64_e32 v[110:111], v[60:61], v[66:67]
	v_fma_f64 v[60:61], v[70:71], v[62:63], -v[112:113]
	v_fmac_f64_e32 v[64:65], v[72:73], v[62:63]
	v_fma_f64 v[62:63], v[70:71], v[66:67], -v[114:115]
	v_fmac_f64_e32 v[68:69], v[72:73], v[66:67]
	ds_load_b128 v[2:5], v45 offset:48
	ds_load_b128 v[46:49], v45 offset:2096
	;; [unrolled: 1-line block ×4, first 2 shown]
	v_fma_f64 v[118:119], v[74:75], v[78:79], -v[118:119]
	v_fmac_f64_e32 v[120:121], v[76:77], v[78:79]
	v_fma_f64 v[74:75], v[74:75], v[82:83], -v[122:123]
	v_fmac_f64_e32 v[124:125], v[76:77], v[82:83]
	;; [unrolled: 2-line block ×4, first 2 shown]
	v_add_f64_e32 v[66:67], v[38:39], v[90:91]
	v_add_f64_e32 v[70:71], v[92:93], v[40:41]
	v_add_f64_e32 v[72:73], v[34:35], v[94:95]
	v_add_f64_e32 v[90:91], v[96:97], v[36:37]
	v_add_f64_e32 v[92:93], v[26:27], v[98:99]
	v_add_f64_e32 v[94:95], v[100:101], v[28:29]
	v_add_f64_e32 v[96:97], v[20:21], v[116:117]
	v_add_f64_e32 v[98:99], v[102:103], v[22:23]
	s_wait_dscnt 0x1
	v_mul_f64_e32 v[100:101], v[4:5], v[52:53]
	v_mul_f64_e32 v[102:103], v[2:3], v[52:53]
	s_wait_dscnt 0x0
	v_mul_f64_e32 v[108:109], v[4:5], v[56:57]
	v_mul_f64_e32 v[112:113], v[2:3], v[56:57]
	;; [unrolled: 1-line block ×6, first 2 shown]
	ds_load_b128 v[20:23], v45 offset:64
	ds_load_b128 v[26:29], v44 offset:2048
	;; [unrolled: 1-line block ×4, first 2 shown]
	v_add_f64_e32 v[82:83], v[66:67], v[104:105]
	v_add_f64_e32 v[86:87], v[106:107], v[70:71]
	;; [unrolled: 1-line block ×8, first 2 shown]
	s_wait_dscnt 0x2
	v_mul_f64_e32 v[98:99], v[22:23], v[28:29]
	v_mul_f64_e32 v[104:105], v[20:21], v[28:29]
	s_wait_dscnt 0x1
	v_mul_f64_e32 v[106:107], v[22:23], v[36:37]
	v_mul_f64_e32 v[110:111], v[20:21], v[36:37]
	;; [unrolled: 3-line block ×3, first 2 shown]
	v_mul_f64_e32 v[28:29], v[40:41], v[36:37]
	v_mul_f64_e32 v[128:129], v[38:39], v[36:37]
	v_fma_f64 v[36:37], v[2:3], v[50:51], -v[100:101]
	v_fmac_f64_e32 v[102:103], v[4:5], v[50:51]
	v_fma_f64 v[100:101], v[2:3], v[54:55], -v[108:109]
	v_fmac_f64_e32 v[112:113], v[4:5], v[54:55]
	;; [unrolled: 2-line block ×4, first 2 shown]
	ds_load_b128 v[56:59], v45 offset:80
	ds_load_b128 v[60:63], v45 offset:2128
	;; [unrolled: 1-line block ×4, first 2 shown]
	v_add_f64_e32 v[54:55], v[82:83], v[118:119]
	v_add_f64_e32 v[82:83], v[120:121], v[86:87]
	;; [unrolled: 1-line block ×8, first 2 shown]
	v_fma_f64 v[98:99], v[20:21], v[26:27], -v[98:99]
	v_fmac_f64_e32 v[104:105], v[22:23], v[26:27]
	v_fma_f64 v[106:107], v[20:21], v[34:35], -v[106:107]
	s_wait_dscnt 0x1
	v_mul_f64_e32 v[90:91], v[58:59], v[66:67]
	v_mul_f64_e32 v[92:93], v[56:57], v[66:67]
	s_wait_dscnt 0x0
	v_mul_f64_e32 v[94:95], v[58:59], v[70:71]
	v_mul_f64_e32 v[96:97], v[56:57], v[70:71]
	;; [unrolled: 1-line block ×6, first 2 shown]
	v_fmac_f64_e32 v[110:111], v[22:23], v[34:35]
	v_fma_f64 v[122:123], v[38:39], v[26:27], -v[122:123]
	v_fmac_f64_e32 v[126:127], v[40:41], v[26:27]
	v_fma_f64 v[124:125], v[38:39], v[34:35], -v[28:29]
	v_fmac_f64_e32 v[128:129], v[40:41], v[34:35]
	ds_load_b128 v[2:5], v45 offset:96
	ds_load_b128 v[46:49], v44 offset:3072
	;; [unrolled: 1-line block ×4, first 2 shown]
	v_add_f64_e32 v[54:55], v[54:55], v[36:37]
	v_add_f64_e32 v[82:83], v[102:103], v[82:83]
	;; [unrolled: 1-line block ×8, first 2 shown]
	ds_load_b128 v[20:23], v45 offset:112
	ds_load_b128 v[26:29], v45 offset:2160
	;; [unrolled: 1-line block ×4, first 2 shown]
	s_wait_dscnt 0x0
	v_mul_f64_e32 v[100:101], v[4:5], v[48:49]
	v_mul_f64_e32 v[102:103], v[2:3], v[48:49]
	;; [unrolled: 1-line block ×8, first 2 shown]
	v_fma_f64 v[90:91], v[56:57], v[64:65], -v[90:91]
	v_fmac_f64_e32 v[92:93], v[58:59], v[64:65]
	v_fma_f64 v[56:57], v[56:57], v[68:69], -v[94:95]
	v_fmac_f64_e32 v[96:97], v[58:59], v[68:69]
	;; [unrolled: 2-line block ×4, first 2 shown]
	s_barrier_signal -1
	s_barrier_wait -1
	v_mul_f64_e32 v[94:95], v[20:21], v[40:41]
	v_add_f64_e32 v[54:55], v[54:55], v[98:99]
	v_add_f64_e32 v[62:63], v[104:105], v[82:83]
	;; [unrolled: 1-line block ×8, first 2 shown]
	v_mul_f64_e32 v[84:85], v[22:23], v[36:37]
	v_mul_f64_e32 v[86:87], v[20:21], v[36:37]
	;; [unrolled: 1-line block ×7, first 2 shown]
	v_fma_f64 v[40:41], v[2:3], v[46:47], -v[100:101]
	v_fmac_f64_e32 v[102:103], v[4:5], v[46:47]
	v_fma_f64 v[2:3], v[2:3], v[50:51], -v[108:109]
	v_fmac_f64_e32 v[112:113], v[4:5], v[50:51]
	v_fma_f64 v[4:5], v[72:73], v[46:47], -v[114:115]
	v_fmac_f64_e32 v[48:49], v[74:75], v[46:47]
	v_fma_f64 v[46:47], v[72:73], v[50:51], -v[116:117]
	v_fmac_f64_e32 v[52:53], v[74:75], v[50:51]
	v_fmac_f64_e32 v[94:95], v[22:23], v[38:39]
	v_add_f64_e32 v[50:51], v[54:55], v[90:91]
	v_add_f64_e32 v[54:55], v[92:93], v[62:63]
	;; [unrolled: 1-line block ×8, first 2 shown]
	v_fma_f64 v[68:69], v[20:21], v[34:35], -v[84:85]
	v_fmac_f64_e32 v[86:87], v[22:23], v[34:35]
	v_fma_f64 v[20:21], v[20:21], v[38:39], -v[88:89]
	v_fma_f64 v[22:23], v[26:27], v[34:35], -v[98:99]
	v_fmac_f64_e32 v[104:105], v[28:29], v[34:35]
	v_fma_f64 v[70:71], v[26:27], v[38:39], -v[36:37]
	v_fmac_f64_e32 v[106:107], v[28:29], v[38:39]
	v_add_f64_e32 v[26:27], v[50:51], v[40:41]
	v_add_f64_e32 v[28:29], v[102:103], v[54:55]
	;; [unrolled: 1-line block ×16, first 2 shown]
	s_cbranch_scc0 .LBB401_16
.LBB401_10:                             ;   Parent Loop BB401_7 Depth=1
                                        ; =>  This Inner Loop Header: Depth=2
	v_add_nc_u32_e32 v1, s28, v42
	s_delay_alu instid0(VALU_DEP_1) | instskip(SKIP_1) | instid1(SALU_CYCLE_1)
	v_cmp_le_i32_e32 vcc_lo, s23, v1
	s_or_b32 s29, s22, vcc_lo
	s_and_saveexec_b32 s30, s29
	s_delay_alu instid0(SALU_CYCLE_1)
	s_xor_b32 s29, exec_lo, s30
; %bb.11:                               ;   in Loop: Header=BB401_10 Depth=2
	v_dual_mov_b32 v1, v0 :: v_dual_mov_b32 v2, v0
	v_mov_b32_e32 v3, v0
	ds_store_b128 v7, v[0:3]
; %bb.12:                               ;   in Loop: Header=BB401_10 Depth=2
	s_and_not1_saveexec_b32 s29, s29
	s_cbranch_execz .LBB401_14
; %bb.13:                               ;   in Loop: Header=BB401_10 Depth=2
	flat_load_b128 v[2:5], v[30:31]
	s_wait_loadcnt_dscnt 0x0
	ds_store_2addr_b64 v7, v[2:3], v[4:5] offset1:1
.LBB401_14:                             ;   in Loop: Header=BB401_10 Depth=2
	s_wait_xcnt 0x0
	s_or_b32 exec_lo, exec_lo, s29
	v_add_nc_u32_e32 v1, s28, v6
	v_mov_b64_e32 v[2:3], 0
	v_mov_b64_e32 v[4:5], 0
	s_delay_alu instid0(VALU_DEP_3) | instskip(SKIP_1) | instid1(SALU_CYCLE_1)
	v_cmp_gt_i32_e32 vcc_lo, s23, v1
	s_and_b32 s30, vcc_lo, s0
	s_and_saveexec_b32 s29, s30
	s_cbranch_execz .LBB401_9
; %bb.15:                               ;   in Loop: Header=BB401_10 Depth=2
	flat_load_b128 v[2:5], v[32:33] offset:-8
	s_wait_loadcnt_dscnt 0x0
	v_xor_b32_e32 v5, 0x80000000, v5
	s_branch .LBB401_9
.LBB401_16:                             ;   in Loop: Header=BB401_7 Depth=1
	s_wait_loadcnt 0x0
	v_add_nc_u64_e32 v[24:25], s[16:17], v[24:25]
	s_delay_alu instid0(VALU_DEP_1)
	v_lshl_add_u64 v[30:31], v[10:11], 4, v[24:25]
	s_wait_xcnt 0x0
	s_and_saveexec_b32 s28, s33
	s_cbranch_execz .LBB401_21
; %bb.17:                               ;   in Loop: Header=BB401_7 Depth=1
	v_mul_f64_e32 v[2:3], s[14:15], v[40:41]
	v_mul_f64_e32 v[4:5], s[12:13], v[40:41]
	v_lshl_add_u64 v[32:33], v[8:9], 4, v[30:31]
	s_and_b32 vcc_lo, exec_lo, s26
	s_mov_b32 s29, -1
	s_delay_alu instid0(VALU_DEP_3) | instskip(NEXT) | instid1(VALU_DEP_3)
	v_fma_f64 v[2:3], s[12:13], v[38:39], -v[2:3]
	v_fmac_f64_e32 v[4:5], s[14:15], v[38:39]
	s_cbranch_vccz .LBB401_19
; %bb.18:                               ;   in Loop: Header=BB401_7 Depth=1
	flat_load_b128 v[38:41], v[32:33]
	s_mov_b32 s29, 0
	s_wait_loadcnt_dscnt 0x0
	v_mul_f64_e32 v[46:47], s[6:7], v[40:41]
	v_mul_f64_e32 v[40:41], s[4:5], v[40:41]
	s_delay_alu instid0(VALU_DEP_2) | instskip(NEXT) | instid1(VALU_DEP_2)
	v_fma_f64 v[46:47], s[4:5], v[38:39], -v[46:47]
	v_fmac_f64_e32 v[40:41], s[6:7], v[38:39]
	s_delay_alu instid0(VALU_DEP_2) | instskip(NEXT) | instid1(VALU_DEP_2)
	v_add_f64_e32 v[38:39], v[2:3], v[46:47]
	v_add_f64_e32 v[40:41], v[4:5], v[40:41]
	flat_store_b128 v[32:33], v[38:41]
.LBB401_19:                             ;   in Loop: Header=BB401_7 Depth=1
	s_and_not1_b32 vcc_lo, exec_lo, s29
	s_cbranch_vccnz .LBB401_21
; %bb.20:                               ;   in Loop: Header=BB401_7 Depth=1
	flat_store_b128 v[32:33], v[2:5]
.LBB401_21:                             ;   in Loop: Header=BB401_7 Depth=1
	s_wait_xcnt 0x0
	s_or_b32 exec_lo, exec_lo, s28
	s_and_saveexec_b32 s28, s34
	s_cbranch_execz .LBB401_26
; %bb.22:                               ;   in Loop: Header=BB401_7 Depth=1
	v_mul_f64_e32 v[2:3], s[14:15], v[36:37]
	v_mul_f64_e32 v[4:5], s[12:13], v[36:37]
	v_lshl_add_u64 v[30:31], v[12:13], 4, v[30:31]
	s_and_not1_b32 vcc_lo, exec_lo, s26
	s_mov_b32 s29, -1
	s_delay_alu instid0(VALU_DEP_3) | instskip(NEXT) | instid1(VALU_DEP_3)
	v_fma_f64 v[2:3], s[12:13], v[34:35], -v[2:3]
	v_fmac_f64_e32 v[4:5], s[14:15], v[34:35]
	s_cbranch_vccnz .LBB401_24
; %bb.23:                               ;   in Loop: Header=BB401_7 Depth=1
	flat_load_b128 v[32:35], v[30:31]
	s_mov_b32 s29, 0
	s_wait_loadcnt_dscnt 0x0
	v_mul_f64_e32 v[36:37], s[6:7], v[34:35]
	v_mul_f64_e32 v[34:35], s[4:5], v[34:35]
	s_delay_alu instid0(VALU_DEP_2) | instskip(NEXT) | instid1(VALU_DEP_2)
	v_fma_f64 v[36:37], s[4:5], v[32:33], -v[36:37]
	v_fmac_f64_e32 v[34:35], s[6:7], v[32:33]
	s_delay_alu instid0(VALU_DEP_2) | instskip(NEXT) | instid1(VALU_DEP_2)
	v_add_f64_e32 v[32:33], v[2:3], v[36:37]
	v_add_f64_e32 v[34:35], v[4:5], v[34:35]
	flat_store_b128 v[30:31], v[32:35]
.LBB401_24:                             ;   in Loop: Header=BB401_7 Depth=1
	s_and_not1_b32 vcc_lo, exec_lo, s29
	s_cbranch_vccnz .LBB401_26
; %bb.25:                               ;   in Loop: Header=BB401_7 Depth=1
	flat_store_b128 v[30:31], v[2:5]
.LBB401_26:                             ;   in Loop: Header=BB401_7 Depth=1
	s_wait_xcnt 0x0
	s_or_b32 exec_lo, exec_lo, s28
	v_lshl_add_u64 v[24:25], v[14:15], 4, v[24:25]
	s_and_saveexec_b32 s28, s20
	s_cbranch_execz .LBB401_31
; %bb.27:                               ;   in Loop: Header=BB401_7 Depth=1
	v_mul_f64_e32 v[2:3], s[14:15], v[28:29]
	v_mul_f64_e32 v[4:5], s[12:13], v[28:29]
	s_and_not1_b32 vcc_lo, exec_lo, s26
	s_mov_b32 s29, -1
	s_delay_alu instid0(VALU_DEP_2) | instskip(NEXT) | instid1(VALU_DEP_2)
	v_fma_f64 v[2:3], s[12:13], v[26:27], -v[2:3]
	v_fmac_f64_e32 v[4:5], s[14:15], v[26:27]
	v_lshl_add_u64 v[26:27], v[8:9], 4, v[24:25]
	s_cbranch_vccnz .LBB401_29
; %bb.28:                               ;   in Loop: Header=BB401_7 Depth=1
	flat_load_b128 v[28:31], v[26:27]
	s_mov_b32 s29, 0
	s_wait_loadcnt_dscnt 0x0
	v_mul_f64_e32 v[32:33], s[6:7], v[30:31]
	v_mul_f64_e32 v[30:31], s[4:5], v[30:31]
	s_delay_alu instid0(VALU_DEP_2) | instskip(NEXT) | instid1(VALU_DEP_2)
	v_fma_f64 v[32:33], s[4:5], v[28:29], -v[32:33]
	v_fmac_f64_e32 v[30:31], s[6:7], v[28:29]
	s_delay_alu instid0(VALU_DEP_2) | instskip(NEXT) | instid1(VALU_DEP_2)
	v_add_f64_e32 v[28:29], v[2:3], v[32:33]
	v_add_f64_e32 v[30:31], v[4:5], v[30:31]
	flat_store_b128 v[26:27], v[28:31]
.LBB401_29:                             ;   in Loop: Header=BB401_7 Depth=1
	s_and_not1_b32 vcc_lo, exec_lo, s29
	s_cbranch_vccnz .LBB401_31
; %bb.30:                               ;   in Loop: Header=BB401_7 Depth=1
	flat_store_b128 v[26:27], v[2:5]
.LBB401_31:                             ;   in Loop: Header=BB401_7 Depth=1
	s_wait_xcnt 0x0
	s_or_b32 exec_lo, exec_lo, s28
	s_and_saveexec_b32 s28, s1
	s_cbranch_execz .LBB401_6
; %bb.32:                               ;   in Loop: Header=BB401_7 Depth=1
	s_delay_alu instid0(VALU_DEP_4) | instskip(SKIP_3) | instid1(VALU_DEP_2)
	v_mul_f64_e32 v[2:3], s[14:15], v[22:23]
	v_mul_f64_e32 v[4:5], s[12:13], v[22:23]
	s_and_not1_b32 vcc_lo, exec_lo, s26
	s_mov_b32 s29, -1
	v_fma_f64 v[2:3], s[12:13], v[20:21], -v[2:3]
	s_delay_alu instid0(VALU_DEP_2)
	v_fmac_f64_e32 v[4:5], s[14:15], v[20:21]
	v_lshl_add_u64 v[20:21], v[12:13], 4, v[24:25]
	s_cbranch_vccnz .LBB401_34
; %bb.33:                               ;   in Loop: Header=BB401_7 Depth=1
	flat_load_b128 v[22:25], v[20:21]
	s_mov_b32 s29, 0
	s_wait_loadcnt_dscnt 0x0
	v_mul_f64_e32 v[26:27], s[6:7], v[24:25]
	v_mul_f64_e32 v[24:25], s[4:5], v[24:25]
	s_delay_alu instid0(VALU_DEP_2) | instskip(NEXT) | instid1(VALU_DEP_2)
	v_fma_f64 v[26:27], s[4:5], v[22:23], -v[26:27]
	v_fmac_f64_e32 v[24:25], s[6:7], v[22:23]
	s_delay_alu instid0(VALU_DEP_2) | instskip(NEXT) | instid1(VALU_DEP_2)
	v_add_f64_e32 v[22:23], v[2:3], v[26:27]
	v_add_f64_e32 v[24:25], v[4:5], v[24:25]
	flat_store_b128 v[20:21], v[22:25]
.LBB401_34:                             ;   in Loop: Header=BB401_7 Depth=1
	s_and_not1_b32 vcc_lo, exec_lo, s29
	s_cbranch_vccnz .LBB401_6
; %bb.35:                               ;   in Loop: Header=BB401_7 Depth=1
	flat_store_b128 v[20:21], v[2:5]
	s_branch .LBB401_6
.LBB401_36:
.LBB401_37:
	s_sendmsg sendmsg(MSG_DEALLOC_VGPRS)
	s_endpgm
	.section	.rodata,"a",@progbits
	.p2align	6, 0x0
	.amdhsa_kernel _ZL29rocblas_internal_gemmt_kernelIiLi16ELi32ELi8ELc84ELc67ELc85ELb0ELb1E19rocblas_complex_numIdEPKS1_PKS3_PKPS1_EviT_T9_T10_S9_lSB_S9_lSA_T11_S9_li
		.amdhsa_group_segment_fixed_size 8192
		.amdhsa_private_segment_fixed_size 0
		.amdhsa_kernarg_size 100
		.amdhsa_user_sgpr_count 2
		.amdhsa_user_sgpr_dispatch_ptr 0
		.amdhsa_user_sgpr_queue_ptr 0
		.amdhsa_user_sgpr_kernarg_segment_ptr 1
		.amdhsa_user_sgpr_dispatch_id 0
		.amdhsa_user_sgpr_kernarg_preload_length 0
		.amdhsa_user_sgpr_kernarg_preload_offset 0
		.amdhsa_user_sgpr_private_segment_size 0
		.amdhsa_wavefront_size32 1
		.amdhsa_uses_dynamic_stack 0
		.amdhsa_enable_private_segment 0
		.amdhsa_system_sgpr_workgroup_id_x 1
		.amdhsa_system_sgpr_workgroup_id_y 1
		.amdhsa_system_sgpr_workgroup_id_z 1
		.amdhsa_system_sgpr_workgroup_info 0
		.amdhsa_system_vgpr_workitem_id 1
		.amdhsa_next_free_vgpr 132
		.amdhsa_next_free_sgpr 41
		.amdhsa_named_barrier_count 0
		.amdhsa_reserve_vcc 1
		.amdhsa_float_round_mode_32 0
		.amdhsa_float_round_mode_16_64 0
		.amdhsa_float_denorm_mode_32 3
		.amdhsa_float_denorm_mode_16_64 3
		.amdhsa_fp16_overflow 0
		.amdhsa_memory_ordered 1
		.amdhsa_forward_progress 1
		.amdhsa_inst_pref_size 24
		.amdhsa_round_robin_scheduling 0
		.amdhsa_exception_fp_ieee_invalid_op 0
		.amdhsa_exception_fp_denorm_src 0
		.amdhsa_exception_fp_ieee_div_zero 0
		.amdhsa_exception_fp_ieee_overflow 0
		.amdhsa_exception_fp_ieee_underflow 0
		.amdhsa_exception_fp_ieee_inexact 0
		.amdhsa_exception_int_div_zero 0
	.end_amdhsa_kernel
	.section	.text._ZL29rocblas_internal_gemmt_kernelIiLi16ELi32ELi8ELc84ELc67ELc85ELb0ELb1E19rocblas_complex_numIdEPKS1_PKS3_PKPS1_EviT_T9_T10_S9_lSB_S9_lSA_T11_S9_li,"axG",@progbits,_ZL29rocblas_internal_gemmt_kernelIiLi16ELi32ELi8ELc84ELc67ELc85ELb0ELb1E19rocblas_complex_numIdEPKS1_PKS3_PKPS1_EviT_T9_T10_S9_lSB_S9_lSA_T11_S9_li,comdat
.Lfunc_end401:
	.size	_ZL29rocblas_internal_gemmt_kernelIiLi16ELi32ELi8ELc84ELc67ELc85ELb0ELb1E19rocblas_complex_numIdEPKS1_PKS3_PKPS1_EviT_T9_T10_S9_lSB_S9_lSA_T11_S9_li, .Lfunc_end401-_ZL29rocblas_internal_gemmt_kernelIiLi16ELi32ELi8ELc84ELc67ELc85ELb0ELb1E19rocblas_complex_numIdEPKS1_PKS3_PKPS1_EviT_T9_T10_S9_lSB_S9_lSA_T11_S9_li
                                        ; -- End function
	.set _ZL29rocblas_internal_gemmt_kernelIiLi16ELi32ELi8ELc84ELc67ELc85ELb0ELb1E19rocblas_complex_numIdEPKS1_PKS3_PKPS1_EviT_T9_T10_S9_lSB_S9_lSA_T11_S9_li.num_vgpr, 132
	.set _ZL29rocblas_internal_gemmt_kernelIiLi16ELi32ELi8ELc84ELc67ELc85ELb0ELb1E19rocblas_complex_numIdEPKS1_PKS3_PKPS1_EviT_T9_T10_S9_lSB_S9_lSA_T11_S9_li.num_agpr, 0
	.set _ZL29rocblas_internal_gemmt_kernelIiLi16ELi32ELi8ELc84ELc67ELc85ELb0ELb1E19rocblas_complex_numIdEPKS1_PKS3_PKPS1_EviT_T9_T10_S9_lSB_S9_lSA_T11_S9_li.numbered_sgpr, 41
	.set _ZL29rocblas_internal_gemmt_kernelIiLi16ELi32ELi8ELc84ELc67ELc85ELb0ELb1E19rocblas_complex_numIdEPKS1_PKS3_PKPS1_EviT_T9_T10_S9_lSB_S9_lSA_T11_S9_li.num_named_barrier, 0
	.set _ZL29rocblas_internal_gemmt_kernelIiLi16ELi32ELi8ELc84ELc67ELc85ELb0ELb1E19rocblas_complex_numIdEPKS1_PKS3_PKPS1_EviT_T9_T10_S9_lSB_S9_lSA_T11_S9_li.private_seg_size, 0
	.set _ZL29rocblas_internal_gemmt_kernelIiLi16ELi32ELi8ELc84ELc67ELc85ELb0ELb1E19rocblas_complex_numIdEPKS1_PKS3_PKPS1_EviT_T9_T10_S9_lSB_S9_lSA_T11_S9_li.uses_vcc, 1
	.set _ZL29rocblas_internal_gemmt_kernelIiLi16ELi32ELi8ELc84ELc67ELc85ELb0ELb1E19rocblas_complex_numIdEPKS1_PKS3_PKPS1_EviT_T9_T10_S9_lSB_S9_lSA_T11_S9_li.uses_flat_scratch, 0
	.set _ZL29rocblas_internal_gemmt_kernelIiLi16ELi32ELi8ELc84ELc67ELc85ELb0ELb1E19rocblas_complex_numIdEPKS1_PKS3_PKPS1_EviT_T9_T10_S9_lSB_S9_lSA_T11_S9_li.has_dyn_sized_stack, 0
	.set _ZL29rocblas_internal_gemmt_kernelIiLi16ELi32ELi8ELc84ELc67ELc85ELb0ELb1E19rocblas_complex_numIdEPKS1_PKS3_PKPS1_EviT_T9_T10_S9_lSB_S9_lSA_T11_S9_li.has_recursion, 0
	.set _ZL29rocblas_internal_gemmt_kernelIiLi16ELi32ELi8ELc84ELc67ELc85ELb0ELb1E19rocblas_complex_numIdEPKS1_PKS3_PKPS1_EviT_T9_T10_S9_lSB_S9_lSA_T11_S9_li.has_indirect_call, 0
	.section	.AMDGPU.csdata,"",@progbits
; Kernel info:
; codeLenInByte = 2988
; TotalNumSgprs: 43
; NumVgprs: 132
; ScratchSize: 0
; MemoryBound: 1
; FloatMode: 240
; IeeeMode: 1
; LDSByteSize: 8192 bytes/workgroup (compile time only)
; SGPRBlocks: 0
; VGPRBlocks: 8
; NumSGPRsForWavesPerEU: 43
; NumVGPRsForWavesPerEU: 132
; NamedBarCnt: 0
; Occupancy: 7
; WaveLimiterHint : 1
; COMPUTE_PGM_RSRC2:SCRATCH_EN: 0
; COMPUTE_PGM_RSRC2:USER_SGPR: 2
; COMPUTE_PGM_RSRC2:TRAP_HANDLER: 0
; COMPUTE_PGM_RSRC2:TGID_X_EN: 1
; COMPUTE_PGM_RSRC2:TGID_Y_EN: 1
; COMPUTE_PGM_RSRC2:TGID_Z_EN: 1
; COMPUTE_PGM_RSRC2:TIDIG_COMP_CNT: 1
	.section	.text._ZL29rocblas_internal_gemmt_kernelIiLi16ELi32ELi8ELc67ELc78ELc85ELb1ELb0E19rocblas_complex_numIdEPKS1_PKS3_PKPS1_EviT_T9_T10_S9_lSB_S9_lSA_T11_S9_li,"axG",@progbits,_ZL29rocblas_internal_gemmt_kernelIiLi16ELi32ELi8ELc67ELc78ELc85ELb1ELb0E19rocblas_complex_numIdEPKS1_PKS3_PKPS1_EviT_T9_T10_S9_lSB_S9_lSA_T11_S9_li,comdat
	.globl	_ZL29rocblas_internal_gemmt_kernelIiLi16ELi32ELi8ELc67ELc78ELc85ELb1ELb0E19rocblas_complex_numIdEPKS1_PKS3_PKPS1_EviT_T9_T10_S9_lSB_S9_lSA_T11_S9_li ; -- Begin function _ZL29rocblas_internal_gemmt_kernelIiLi16ELi32ELi8ELc67ELc78ELc85ELb1ELb0E19rocblas_complex_numIdEPKS1_PKS3_PKPS1_EviT_T9_T10_S9_lSB_S9_lSA_T11_S9_li
	.p2align	8
	.type	_ZL29rocblas_internal_gemmt_kernelIiLi16ELi32ELi8ELc67ELc78ELc85ELb1ELb0E19rocblas_complex_numIdEPKS1_PKS3_PKPS1_EviT_T9_T10_S9_lSB_S9_lSA_T11_S9_li,@function
_ZL29rocblas_internal_gemmt_kernelIiLi16ELi32ELi8ELc67ELc78ELc85ELb1ELb0E19rocblas_complex_numIdEPKS1_PKS3_PKPS1_EviT_T9_T10_S9_lSB_S9_lSA_T11_S9_li: ; @_ZL29rocblas_internal_gemmt_kernelIiLi16ELi32ELi8ELc67ELc78ELc85ELb1ELb0E19rocblas_complex_numIdEPKS1_PKS3_PKPS1_EviT_T9_T10_S9_lSB_S9_lSA_T11_S9_li
; %bb.0:
	s_load_b128 s[20:23], s[0:1], 0x38
	s_wait_kmcnt 0x0
	s_load_b128 s[8:11], s[22:23], 0x0
	s_load_b128 s[4:7], s[0:1], 0x8
	s_wait_xcnt 0x0
	s_load_b64 s[22:23], s[0:1], 0x0
	s_wait_kmcnt 0x0
	v_cmp_eq_f64_e64 s2, s[8:9], 1.0
	v_cmp_eq_f64_e64 s33, s[10:11], 0
	s_load_b128 s[12:15], s[4:5], 0x0
	s_and_b32 s2, s2, s33
	s_delay_alu instid0(SALU_CYCLE_1)
	s_and_not1_b32 vcc_lo, exec_lo, s2
	s_mov_b32 s2, -1
	s_cbranch_vccnz .LBB402_3
; %bb.1:
	s_cmp_lg_u32 s23, 0
	s_cbranch_scc0 .LBB402_36
; %bb.2:
	s_wait_kmcnt 0x0
	v_cmp_neq_f64_e64 s2, s[12:13], 0
	v_cmp_neq_f64_e64 s3, s[14:15], 0
	s_or_b32 s2, s2, s3
.LBB402_3:
	s_delay_alu instid0(SALU_CYCLE_1)
	s_and_b32 vcc_lo, exec_lo, s2
	s_cbranch_vccz .LBB402_37
; %bb.4:
	s_load_b32 s27, s[0:1], 0x60
	s_bfe_u32 s2, ttmp6, 0x40014
	s_lshr_b32 s3, ttmp7, 16
	s_add_co_i32 s2, s2, 1
	s_wait_xcnt 0x0
	s_bfe_u32 s4, ttmp6, 0x40008
	s_mul_i32 s2, s3, s2
	s_getreg_b32 s34, hwreg(HW_REG_IB_STS2, 6, 4)
	s_add_co_i32 s4, s4, s2
	s_cmp_eq_u32 s34, 0
	s_mov_b32 s29, 0
	s_cselect_b32 s28, s3, s4
	s_wait_kmcnt 0x0
	s_cmp_ge_u32 s28, s27
	s_cbranch_scc1 .LBB402_37
; %bb.5:
	s_clause 0x3
	s_load_b32 s4, s[0:1], 0x18
	s_load_b32 s2, s[0:1], 0x30
	s_load_b96 s[24:26], s[0:1], 0x48
	s_load_b128 s[16:19], s[0:1], 0x20
	v_and_b32_e32 v1, 0x3ff, v0
	v_bfe_u32 v6, v0, 10, 10
	s_load_b64 s[30:31], s[0:1], 0x58
	s_wait_xcnt 0x0
	s_bfe_u32 s1, ttmp6, 0x4000c
	s_bfe_u32 s3, ttmp6, 0x40010
	s_and_b32 s36, ttmp7, 0xffff
	s_add_co_i32 s1, s1, 1
	s_add_co_i32 s3, s3, 1
	v_lshl_add_u32 v7, v6, 4, v1
	s_and_b32 s0, ttmp6, 15
	s_bfe_u32 s37, ttmp6, 0x40004
	s_mul_i32 s1, ttmp9, s1
	s_mul_i32 s38, s36, s3
	s_add_co_i32 s0, s0, s1
	s_add_co_i32 s37, s37, s38
	v_dual_lshrrev_b32 v9, 3, v7 :: v_dual_bitop2_b32 v8, 31, v7 bitop3:0x40
	s_wait_kmcnt 0x0
	s_ashr_i32 s5, s4, 31
	s_ashr_i32 s3, s2, 31
	;; [unrolled: 1-line block ×3, first 2 shown]
	s_cmp_eq_u32 s34, 0
	v_cmp_neq_f64_e64 s1, s[12:13], 0
	s_cselect_b32 s0, ttmp9, s0
	s_cselect_b32 s34, s36, s37
	s_lshl_b32 s0, s0, 5
	s_lshl_b32 s34, s34, 5
	v_or_b32_e32 v2, s0, v8
	v_cmp_neq_f64_e64 s38, s[14:15], 0
	v_dual_mov_b32 v0, 0 :: v_dual_bitop2_b32 v40, 7, v0 bitop3:0x40
	s_delay_alu instid0(VALU_DEP_3) | instskip(NEXT) | instid1(VALU_DEP_2)
	v_dual_lshrrev_b32 v43, 5, v7 :: v_dual_ashrrev_i32 v3, 31, v2
	v_dual_add_nc_u32 v4, s34, v9 :: v_dual_lshlrev_b32 v16, 4, v40
	v_lshlrev_b32_e32 v41, 4, v1
	v_lshl_add_u32 v42, v6, 7, 0x1000
	s_delay_alu instid0(VALU_DEP_4) | instskip(NEXT) | instid1(VALU_DEP_4)
	v_mul_u64_e32 v[14:15], s[4:5], v[2:3]
	v_ashrrev_i32_e32 v5, 31, v4
	v_dual_lshlrev_b32 v3, 4, v8 :: v_dual_add_nc_u32 v18, s34, v6
	v_lshlrev_b32_e32 v22, 4, v43
	v_lshl_or_b32 v6, v9, 7, v16
	s_delay_alu instid0(VALU_DEP_4)
	v_mul_u64_e32 v[20:21], s[2:3], v[4:5]
	v_cmp_neq_f64_e64 s36, s[8:9], 0
	v_add_nc_u32_e32 v24, 16, v18
	s_mov_b32 s34, s26
	v_add_nc_u32_e32 v45, 0x1000, v6
	v_dual_add_nc_u32 v6, s0, v1 :: v_dual_ashrrev_i32 v19, 31, v18
	s_delay_alu instid0(VALU_DEP_3) | instskip(SKIP_2) | instid1(VALU_DEP_4)
	v_ashrrev_i32_e32 v25, 31, v24
	v_lshl_or_b32 v44, v43, 9, v3
	v_cmp_gt_i32_e64 s0, s22, v2
	v_cmp_le_i32_e64 s2, v6, v18
	v_mul_u64_e32 v[8:9], s[34:35], v[18:19]
	v_mul_u64_e32 v[10:11], s[34:35], v[24:25]
	v_dual_mov_b32 v23, v0 :: v_dual_add_nc_u32 v12, 16, v6
	v_dual_ashrrev_i32 v7, 31, v6 :: v_dual_mov_b32 v17, v0
	s_or_b32 s26, s1, s38
	s_cmp_gt_i32 s23, 0
	v_cmp_gt_i32_e64 s1, s22, v18
	s_cselect_b32 s37, -1, 0
	s_lshl_b64 s[34:35], s[16:17], 4
	s_lshl_b64 s[20:21], s[20:21], 4
	s_xor_b32 s3, s33, -1
	s_and_b32 s16, s1, s2
	v_cmp_le_i32_e64 s2, v12, v18
	v_lshl_add_u64 v[2:3], v[14:15], 4, s[34:35]
	v_cmp_gt_i32_e32 vcc_lo, s22, v4
	v_cmp_le_i32_e64 s4, v6, v24
	s_and_b32 s17, s1, s2
	v_add_nc_u64_e32 v[14:15], v[2:3], v[22:23]
	v_lshl_add_u64 v[2:3], v[20:21], 4, s[20:21]
	s_or_b32 s5, s36, s3
	v_cmp_gt_i32_e64 s3, s22, v24
	v_cmp_le_i32_e64 s1, v12, v24
	v_ashrrev_i32_e32 v13, 31, v12
	v_add_nc_u64_e32 v[16:17], v[2:3], v[16:17]
	v_or_b32_e32 v14, 8, v14
	s_and_b32 s4, s3, s4
	s_and_b32 s20, s26, s37
	;; [unrolled: 1-line block ×3, first 2 shown]
	s_xor_b32 s21, vcc_lo, -1
	s_lshl_b64 s[2:3], s[30:31], 4
	s_branch .LBB402_7
.LBB402_6:                              ;   in Loop: Header=BB402_7 Depth=1
	s_wait_xcnt 0x0
	s_or_b32 exec_lo, exec_lo, s22
	s_add_co_i32 s28, s28, 0x10000
	s_delay_alu instid0(SALU_CYCLE_1)
	s_cmp_lt_u32 s28, s27
	s_cbranch_scc0 .LBB402_37
.LBB402_7:                              ; =>This Loop Header: Depth=1
                                        ;     Child Loop BB402_10 Depth 2
	v_mov_b32_e32 v1, s28
	v_mov_b64_e32 v[36:37], 0
	v_mov_b64_e32 v[38:39], 0
	;; [unrolled: 1-line block ×4, first 2 shown]
	global_load_b64 v[22:23], v1, s[24:25] scale_offset
	v_mov_b64_e32 v[24:25], 0
	v_mov_b64_e32 v[26:27], 0
	;; [unrolled: 1-line block ×4, first 2 shown]
	s_and_not1_b32 vcc_lo, exec_lo, s20
	s_cbranch_vccnz .LBB402_16
; %bb.8:                                ;   in Loop: Header=BB402_7 Depth=1
	s_lshl_b64 s[30:31], s[28:29], 3
	v_mov_b64_e32 v[20:21], 0
	s_add_nc_u64 s[34:35], s[6:7], s[30:31]
	s_add_nc_u64 s[30:31], s[18:19], s[30:31]
	s_clause 0x1
	global_load_b64 v[2:3], v0, s[34:35]
	global_load_b64 v[4:5], v0, s[30:31]
	v_mov_b64_e32 v[18:19], 0
	v_mov_b64_e32 v[26:27], 0
	;; [unrolled: 1-line block ×7, first 2 shown]
	s_mov_b32 s22, 0
	s_wait_loadcnt 0x1
	v_add_nc_u64_e32 v[28:29], v[2:3], v[14:15]
	s_wait_loadcnt 0x0
	v_add_nc_u64_e32 v[30:31], v[4:5], v[16:17]
	s_branch .LBB402_10
.LBB402_9:                              ;   in Loop: Header=BB402_10 Depth=2
	s_wait_xcnt 0x0
	s_or_b32 exec_lo, exec_lo, s26
	s_wait_dscnt 0x0
	s_barrier_signal -1
	s_barrier_wait -1
	ds_load_b128 v[2:5], v42
	ds_load_b128 v[46:49], v41
	ds_load_b128 v[50:53], v41 offset:256
	ds_load_b128 v[54:57], v42 offset:2048
	;; [unrolled: 1-line block ×10, first 2 shown]
	v_add_nc_u64_e32 v[28:29], 0x80, v[28:29]
	v_add_nc_u64_e32 v[30:31], 0x80, v[30:31]
	s_add_co_i32 s22, s22, 8
	s_delay_alu instid0(SALU_CYCLE_1)
	s_cmp_lt_i32 s22, s23
	s_wait_dscnt 0xa
	v_mul_f64_e32 v[90:91], v[4:5], v[48:49]
	v_mul_f64_e32 v[92:93], v[2:3], v[48:49]
	s_wait_dscnt 0x9
	v_mul_f64_e32 v[94:95], v[4:5], v[52:53]
	v_mul_f64_e32 v[96:97], v[2:3], v[52:53]
	s_wait_dscnt 0x8
	v_mul_f64_e32 v[98:99], v[56:57], v[48:49]
	v_mul_f64_e32 v[100:101], v[54:55], v[48:49]
	v_mul_f64_e32 v[48:49], v[56:57], v[52:53]
	v_mul_f64_e32 v[102:103], v[54:55], v[52:53]
	s_wait_dscnt 0x6
	v_mul_f64_e32 v[104:105], v[60:61], v[64:65]
	v_mul_f64_e32 v[106:107], v[58:59], v[64:65]
	s_wait_dscnt 0x5
	v_mul_f64_e32 v[108:109], v[60:61], v[68:69]
	v_mul_f64_e32 v[110:111], v[58:59], v[68:69]
	s_wait_dscnt 0x4
	v_mul_f64_e32 v[112:113], v[72:73], v[64:65]
	v_mul_f64_e32 v[64:65], v[70:71], v[64:65]
	v_mul_f64_e32 v[114:115], v[72:73], v[68:69]
	v_mul_f64_e32 v[68:69], v[70:71], v[68:69]
	;; [unrolled: 11-line block ×3, first 2 shown]
	v_fma_f64 v[90:91], v[2:3], v[46:47], -v[90:91]
	v_fmac_f64_e32 v[92:93], v[4:5], v[46:47]
	v_fma_f64 v[94:95], v[2:3], v[50:51], -v[94:95]
	v_fmac_f64_e32 v[96:97], v[4:5], v[50:51]
	;; [unrolled: 2-line block ×8, first 2 shown]
	ds_load_b128 v[2:5], v42 offset:48
	ds_load_b128 v[46:49], v42 offset:2096
	;; [unrolled: 1-line block ×4, first 2 shown]
	v_fma_f64 v[118:119], v[74:75], v[78:79], -v[118:119]
	v_fmac_f64_e32 v[120:121], v[76:77], v[78:79]
	v_fma_f64 v[74:75], v[74:75], v[82:83], -v[122:123]
	v_fmac_f64_e32 v[124:125], v[76:77], v[82:83]
	;; [unrolled: 2-line block ×4, first 2 shown]
	v_add_f64_e32 v[66:67], v[36:37], v[90:91]
	v_add_f64_e32 v[70:71], v[92:93], v[38:39]
	;; [unrolled: 1-line block ×8, first 2 shown]
	s_wait_dscnt 0x1
	v_mul_f64_e32 v[100:101], v[4:5], v[52:53]
	v_mul_f64_e32 v[102:103], v[2:3], v[52:53]
	s_wait_dscnt 0x0
	v_mul_f64_e32 v[108:109], v[4:5], v[56:57]
	v_mul_f64_e32 v[112:113], v[2:3], v[56:57]
	;; [unrolled: 1-line block ×6, first 2 shown]
	ds_load_b128 v[18:21], v42 offset:64
	ds_load_b128 v[24:27], v41 offset:2048
	;; [unrolled: 1-line block ×4, first 2 shown]
	v_add_f64_e32 v[82:83], v[66:67], v[104:105]
	v_add_f64_e32 v[86:87], v[106:107], v[70:71]
	v_add_f64_e32 v[72:73], v[72:73], v[58:59]
	v_add_f64_e32 v[88:89], v[110:111], v[90:91]
	v_add_f64_e32 v[90:91], v[92:93], v[60:61]
	v_add_f64_e32 v[92:93], v[64:65], v[94:95]
	v_add_f64_e32 v[94:95], v[96:97], v[62:63]
	v_add_f64_e32 v[96:97], v[68:69], v[98:99]
	s_wait_dscnt 0x2
	v_mul_f64_e32 v[98:99], v[20:21], v[26:27]
	v_mul_f64_e32 v[104:105], v[18:19], v[26:27]
	s_wait_dscnt 0x1
	v_mul_f64_e32 v[106:107], v[20:21], v[34:35]
	v_mul_f64_e32 v[110:111], v[18:19], v[34:35]
	;; [unrolled: 3-line block ×3, first 2 shown]
	v_mul_f64_e32 v[26:27], v[38:39], v[34:35]
	v_mul_f64_e32 v[128:129], v[36:37], v[34:35]
	v_fma_f64 v[34:35], v[2:3], v[50:51], -v[100:101]
	v_fmac_f64_e32 v[102:103], v[4:5], v[50:51]
	v_fma_f64 v[100:101], v[2:3], v[54:55], -v[108:109]
	v_fmac_f64_e32 v[112:113], v[4:5], v[54:55]
	;; [unrolled: 2-line block ×4, first 2 shown]
	ds_load_b128 v[56:59], v42 offset:80
	ds_load_b128 v[60:63], v42 offset:2128
	;; [unrolled: 1-line block ×4, first 2 shown]
	v_add_f64_e32 v[54:55], v[82:83], v[118:119]
	v_add_f64_e32 v[82:83], v[120:121], v[86:87]
	;; [unrolled: 1-line block ×8, first 2 shown]
	v_fma_f64 v[98:99], v[18:19], v[24:25], -v[98:99]
	v_fmac_f64_e32 v[104:105], v[20:21], v[24:25]
	v_fma_f64 v[106:107], v[18:19], v[32:33], -v[106:107]
	s_wait_dscnt 0x1
	v_mul_f64_e32 v[90:91], v[58:59], v[66:67]
	v_mul_f64_e32 v[92:93], v[56:57], v[66:67]
	s_wait_dscnt 0x0
	v_mul_f64_e32 v[94:95], v[58:59], v[70:71]
	v_mul_f64_e32 v[96:97], v[56:57], v[70:71]
	;; [unrolled: 1-line block ×6, first 2 shown]
	v_fmac_f64_e32 v[110:111], v[20:21], v[32:33]
	v_fma_f64 v[122:123], v[36:37], v[24:25], -v[122:123]
	v_fmac_f64_e32 v[126:127], v[38:39], v[24:25]
	v_fma_f64 v[124:125], v[36:37], v[32:33], -v[26:27]
	v_fmac_f64_e32 v[128:129], v[38:39], v[32:33]
	ds_load_b128 v[2:5], v42 offset:96
	ds_load_b128 v[46:49], v41 offset:3072
	;; [unrolled: 1-line block ×4, first 2 shown]
	v_add_f64_e32 v[54:55], v[54:55], v[34:35]
	v_add_f64_e32 v[82:83], v[102:103], v[82:83]
	;; [unrolled: 1-line block ×8, first 2 shown]
	ds_load_b128 v[18:21], v42 offset:112
	ds_load_b128 v[24:27], v42 offset:2160
	;; [unrolled: 1-line block ×4, first 2 shown]
	s_wait_dscnt 0x0
	v_mul_f64_e32 v[100:101], v[4:5], v[48:49]
	v_mul_f64_e32 v[102:103], v[2:3], v[48:49]
	;; [unrolled: 1-line block ×8, first 2 shown]
	v_fma_f64 v[90:91], v[56:57], v[64:65], -v[90:91]
	v_fmac_f64_e32 v[92:93], v[58:59], v[64:65]
	v_fma_f64 v[56:57], v[56:57], v[68:69], -v[94:95]
	v_fmac_f64_e32 v[96:97], v[58:59], v[68:69]
	;; [unrolled: 2-line block ×4, first 2 shown]
	s_barrier_signal -1
	s_barrier_wait -1
	v_mul_f64_e32 v[94:95], v[18:19], v[38:39]
	v_add_f64_e32 v[54:55], v[54:55], v[98:99]
	v_add_f64_e32 v[62:63], v[104:105], v[82:83]
	;; [unrolled: 1-line block ×8, first 2 shown]
	v_mul_f64_e32 v[84:85], v[20:21], v[34:35]
	v_mul_f64_e32 v[86:87], v[18:19], v[34:35]
	;; [unrolled: 1-line block ×7, first 2 shown]
	v_fma_f64 v[38:39], v[2:3], v[46:47], -v[100:101]
	v_fmac_f64_e32 v[102:103], v[4:5], v[46:47]
	v_fma_f64 v[2:3], v[2:3], v[50:51], -v[108:109]
	v_fmac_f64_e32 v[112:113], v[4:5], v[50:51]
	;; [unrolled: 2-line block ×4, first 2 shown]
	v_fmac_f64_e32 v[94:95], v[20:21], v[36:37]
	v_add_f64_e32 v[50:51], v[54:55], v[90:91]
	v_add_f64_e32 v[54:55], v[92:93], v[62:63]
	;; [unrolled: 1-line block ×8, first 2 shown]
	v_fma_f64 v[68:69], v[18:19], v[32:33], -v[84:85]
	v_fmac_f64_e32 v[86:87], v[20:21], v[32:33]
	v_fma_f64 v[18:19], v[18:19], v[36:37], -v[88:89]
	v_fma_f64 v[20:21], v[24:25], v[32:33], -v[98:99]
	v_fmac_f64_e32 v[104:105], v[26:27], v[32:33]
	v_fma_f64 v[70:71], v[24:25], v[36:37], -v[34:35]
	v_fmac_f64_e32 v[106:107], v[26:27], v[36:37]
	v_add_f64_e32 v[24:25], v[50:51], v[38:39]
	v_add_f64_e32 v[26:27], v[102:103], v[54:55]
	;; [unrolled: 1-line block ×16, first 2 shown]
	s_cbranch_scc0 .LBB402_16
.LBB402_10:                             ;   Parent Loop BB402_7 Depth=1
                                        ; =>  This Inner Loop Header: Depth=2
	s_wait_xcnt 0x2
	v_add_nc_u32_e32 v1, s22, v43
	v_mov_b64_e32 v[2:3], 0
	v_mov_b64_e32 v[4:5], 0
	s_delay_alu instid0(VALU_DEP_3) | instskip(SKIP_2) | instid1(SALU_CYCLE_1)
	v_cmp_gt_i32_e32 vcc_lo, s23, v1
	s_wait_xcnt 0x0
	s_and_b32 s30, s0, vcc_lo
	s_and_saveexec_b32 s26, s30
	s_cbranch_execz .LBB402_12
; %bb.11:                               ;   in Loop: Header=BB402_10 Depth=2
	flat_load_b128 v[2:5], v[28:29] offset:-8
	s_wait_loadcnt_dscnt 0x0
	v_xor_b32_e32 v5, 0x80000000, v5
.LBB402_12:                             ;   in Loop: Header=BB402_10 Depth=2
	s_wait_xcnt 0x0
	s_or_b32 exec_lo, exec_lo, s26
	v_add_nc_u32_e32 v1, s22, v40
	ds_store_b128 v44, v[2:5]
	v_cmp_le_i32_e32 vcc_lo, s23, v1
	s_or_b32 s26, vcc_lo, s21
	s_delay_alu instid0(SALU_CYCLE_1) | instskip(NEXT) | instid1(SALU_CYCLE_1)
	s_and_saveexec_b32 s30, s26
	s_xor_b32 s26, exec_lo, s30
; %bb.13:                               ;   in Loop: Header=BB402_10 Depth=2
	v_dual_mov_b32 v1, v0 :: v_dual_mov_b32 v2, v0
	v_mov_b32_e32 v3, v0
	ds_store_b128 v45, v[0:3]
; %bb.14:                               ;   in Loop: Header=BB402_10 Depth=2
	s_and_not1_saveexec_b32 s26, s26
	s_cbranch_execz .LBB402_9
; %bb.15:                               ;   in Loop: Header=BB402_10 Depth=2
	flat_load_b128 v[2:5], v[30:31]
	s_wait_loadcnt_dscnt 0x0
	ds_store_2addr_b64 v45, v[2:3], v[4:5] offset1:1
	s_branch .LBB402_9
.LBB402_16:                             ;   in Loop: Header=BB402_7 Depth=1
	s_wait_loadcnt 0x0
	v_add_nc_u64_e32 v[22:23], s[2:3], v[22:23]
	s_delay_alu instid0(VALU_DEP_1)
	v_lshl_add_u64 v[28:29], v[8:9], 4, v[22:23]
	s_wait_xcnt 0x0
	s_and_saveexec_b32 s22, s16
	s_cbranch_execz .LBB402_21
; %bb.17:                               ;   in Loop: Header=BB402_7 Depth=1
	v_mul_f64_e32 v[2:3], s[14:15], v[38:39]
	v_mul_f64_e32 v[4:5], s[12:13], v[38:39]
	v_lshl_add_u64 v[30:31], v[6:7], 4, v[28:29]
	s_and_b32 vcc_lo, exec_lo, s5
	s_mov_b32 s26, -1
	s_delay_alu instid0(VALU_DEP_3) | instskip(NEXT) | instid1(VALU_DEP_3)
	v_fma_f64 v[2:3], s[12:13], v[36:37], -v[2:3]
	v_fmac_f64_e32 v[4:5], s[14:15], v[36:37]
	s_cbranch_vccz .LBB402_19
; %bb.18:                               ;   in Loop: Header=BB402_7 Depth=1
	flat_load_b128 v[36:39], v[30:31]
	s_mov_b32 s26, 0
	s_wait_loadcnt_dscnt 0x0
	v_mul_f64_e32 v[46:47], s[10:11], v[38:39]
	v_mul_f64_e32 v[38:39], s[8:9], v[38:39]
	s_delay_alu instid0(VALU_DEP_2) | instskip(NEXT) | instid1(VALU_DEP_2)
	v_fma_f64 v[46:47], s[8:9], v[36:37], -v[46:47]
	v_fmac_f64_e32 v[38:39], s[10:11], v[36:37]
	s_delay_alu instid0(VALU_DEP_2) | instskip(NEXT) | instid1(VALU_DEP_2)
	v_add_f64_e32 v[36:37], v[2:3], v[46:47]
	v_add_f64_e32 v[38:39], v[4:5], v[38:39]
	flat_store_b128 v[30:31], v[36:39]
.LBB402_19:                             ;   in Loop: Header=BB402_7 Depth=1
	s_and_not1_b32 vcc_lo, exec_lo, s26
	s_cbranch_vccnz .LBB402_21
; %bb.20:                               ;   in Loop: Header=BB402_7 Depth=1
	flat_store_b128 v[30:31], v[2:5]
.LBB402_21:                             ;   in Loop: Header=BB402_7 Depth=1
	s_wait_xcnt 0x0
	s_or_b32 exec_lo, exec_lo, s22
	s_and_saveexec_b32 s22, s17
	s_cbranch_execz .LBB402_26
; %bb.22:                               ;   in Loop: Header=BB402_7 Depth=1
	v_mul_f64_e32 v[2:3], s[14:15], v[34:35]
	v_mul_f64_e32 v[4:5], s[12:13], v[34:35]
	v_lshl_add_u64 v[28:29], v[12:13], 4, v[28:29]
	s_and_not1_b32 vcc_lo, exec_lo, s5
	s_mov_b32 s26, -1
	s_delay_alu instid0(VALU_DEP_3) | instskip(NEXT) | instid1(VALU_DEP_3)
	v_fma_f64 v[2:3], s[12:13], v[32:33], -v[2:3]
	v_fmac_f64_e32 v[4:5], s[14:15], v[32:33]
	s_cbranch_vccnz .LBB402_24
; %bb.23:                               ;   in Loop: Header=BB402_7 Depth=1
	flat_load_b128 v[30:33], v[28:29]
	s_mov_b32 s26, 0
	s_wait_loadcnt_dscnt 0x0
	v_mul_f64_e32 v[34:35], s[10:11], v[32:33]
	v_mul_f64_e32 v[32:33], s[8:9], v[32:33]
	s_delay_alu instid0(VALU_DEP_2) | instskip(NEXT) | instid1(VALU_DEP_2)
	v_fma_f64 v[34:35], s[8:9], v[30:31], -v[34:35]
	v_fmac_f64_e32 v[32:33], s[10:11], v[30:31]
	s_delay_alu instid0(VALU_DEP_2) | instskip(NEXT) | instid1(VALU_DEP_2)
	v_add_f64_e32 v[30:31], v[2:3], v[34:35]
	v_add_f64_e32 v[32:33], v[4:5], v[32:33]
	flat_store_b128 v[28:29], v[30:33]
.LBB402_24:                             ;   in Loop: Header=BB402_7 Depth=1
	s_and_not1_b32 vcc_lo, exec_lo, s26
	s_cbranch_vccnz .LBB402_26
; %bb.25:                               ;   in Loop: Header=BB402_7 Depth=1
	flat_store_b128 v[28:29], v[2:5]
.LBB402_26:                             ;   in Loop: Header=BB402_7 Depth=1
	s_wait_xcnt 0x0
	s_or_b32 exec_lo, exec_lo, s22
	v_lshl_add_u64 v[22:23], v[10:11], 4, v[22:23]
	s_and_saveexec_b32 s22, s4
	s_cbranch_execz .LBB402_31
; %bb.27:                               ;   in Loop: Header=BB402_7 Depth=1
	v_mul_f64_e32 v[2:3], s[14:15], v[26:27]
	v_mul_f64_e32 v[4:5], s[12:13], v[26:27]
	s_and_not1_b32 vcc_lo, exec_lo, s5
	s_mov_b32 s26, -1
	s_delay_alu instid0(VALU_DEP_2) | instskip(NEXT) | instid1(VALU_DEP_2)
	v_fma_f64 v[2:3], s[12:13], v[24:25], -v[2:3]
	v_fmac_f64_e32 v[4:5], s[14:15], v[24:25]
	v_lshl_add_u64 v[24:25], v[6:7], 4, v[22:23]
	s_cbranch_vccnz .LBB402_29
; %bb.28:                               ;   in Loop: Header=BB402_7 Depth=1
	flat_load_b128 v[26:29], v[24:25]
	s_mov_b32 s26, 0
	s_wait_loadcnt_dscnt 0x0
	v_mul_f64_e32 v[30:31], s[10:11], v[28:29]
	v_mul_f64_e32 v[28:29], s[8:9], v[28:29]
	s_delay_alu instid0(VALU_DEP_2) | instskip(NEXT) | instid1(VALU_DEP_2)
	v_fma_f64 v[30:31], s[8:9], v[26:27], -v[30:31]
	v_fmac_f64_e32 v[28:29], s[10:11], v[26:27]
	s_delay_alu instid0(VALU_DEP_2) | instskip(NEXT) | instid1(VALU_DEP_2)
	v_add_f64_e32 v[26:27], v[2:3], v[30:31]
	v_add_f64_e32 v[28:29], v[4:5], v[28:29]
	flat_store_b128 v[24:25], v[26:29]
.LBB402_29:                             ;   in Loop: Header=BB402_7 Depth=1
	s_and_not1_b32 vcc_lo, exec_lo, s26
	s_cbranch_vccnz .LBB402_31
; %bb.30:                               ;   in Loop: Header=BB402_7 Depth=1
	flat_store_b128 v[24:25], v[2:5]
.LBB402_31:                             ;   in Loop: Header=BB402_7 Depth=1
	s_wait_xcnt 0x0
	s_or_b32 exec_lo, exec_lo, s22
	s_and_saveexec_b32 s22, s1
	s_cbranch_execz .LBB402_6
; %bb.32:                               ;   in Loop: Header=BB402_7 Depth=1
	s_delay_alu instid0(VALU_DEP_4) | instskip(SKIP_3) | instid1(VALU_DEP_2)
	v_mul_f64_e32 v[2:3], s[14:15], v[20:21]
	v_mul_f64_e32 v[4:5], s[12:13], v[20:21]
	s_and_not1_b32 vcc_lo, exec_lo, s5
	s_mov_b32 s26, -1
	v_fma_f64 v[2:3], s[12:13], v[18:19], -v[2:3]
	s_delay_alu instid0(VALU_DEP_2)
	v_fmac_f64_e32 v[4:5], s[14:15], v[18:19]
	v_lshl_add_u64 v[18:19], v[12:13], 4, v[22:23]
	s_cbranch_vccnz .LBB402_34
; %bb.33:                               ;   in Loop: Header=BB402_7 Depth=1
	flat_load_b128 v[20:23], v[18:19]
	s_mov_b32 s26, 0
	s_wait_loadcnt_dscnt 0x0
	v_mul_f64_e32 v[24:25], s[10:11], v[22:23]
	v_mul_f64_e32 v[22:23], s[8:9], v[22:23]
	s_delay_alu instid0(VALU_DEP_2) | instskip(NEXT) | instid1(VALU_DEP_2)
	v_fma_f64 v[24:25], s[8:9], v[20:21], -v[24:25]
	v_fmac_f64_e32 v[22:23], s[10:11], v[20:21]
	s_delay_alu instid0(VALU_DEP_2) | instskip(NEXT) | instid1(VALU_DEP_2)
	v_add_f64_e32 v[20:21], v[2:3], v[24:25]
	v_add_f64_e32 v[22:23], v[4:5], v[22:23]
	flat_store_b128 v[18:19], v[20:23]
.LBB402_34:                             ;   in Loop: Header=BB402_7 Depth=1
	s_and_not1_b32 vcc_lo, exec_lo, s26
	s_cbranch_vccnz .LBB402_6
; %bb.35:                               ;   in Loop: Header=BB402_7 Depth=1
	flat_store_b128 v[18:19], v[2:5]
	s_branch .LBB402_6
.LBB402_36:
.LBB402_37:
	s_sendmsg sendmsg(MSG_DEALLOC_VGPRS)
	s_endpgm
	.section	.rodata,"a",@progbits
	.p2align	6, 0x0
	.amdhsa_kernel _ZL29rocblas_internal_gemmt_kernelIiLi16ELi32ELi8ELc67ELc78ELc85ELb1ELb0E19rocblas_complex_numIdEPKS1_PKS3_PKPS1_EviT_T9_T10_S9_lSB_S9_lSA_T11_S9_li
		.amdhsa_group_segment_fixed_size 8192
		.amdhsa_private_segment_fixed_size 0
		.amdhsa_kernarg_size 100
		.amdhsa_user_sgpr_count 2
		.amdhsa_user_sgpr_dispatch_ptr 0
		.amdhsa_user_sgpr_queue_ptr 0
		.amdhsa_user_sgpr_kernarg_segment_ptr 1
		.amdhsa_user_sgpr_dispatch_id 0
		.amdhsa_user_sgpr_kernarg_preload_length 0
		.amdhsa_user_sgpr_kernarg_preload_offset 0
		.amdhsa_user_sgpr_private_segment_size 0
		.amdhsa_wavefront_size32 1
		.amdhsa_uses_dynamic_stack 0
		.amdhsa_enable_private_segment 0
		.amdhsa_system_sgpr_workgroup_id_x 1
		.amdhsa_system_sgpr_workgroup_id_y 1
		.amdhsa_system_sgpr_workgroup_id_z 1
		.amdhsa_system_sgpr_workgroup_info 0
		.amdhsa_system_vgpr_workitem_id 1
		.amdhsa_next_free_vgpr 132
		.amdhsa_next_free_sgpr 39
		.amdhsa_named_barrier_count 0
		.amdhsa_reserve_vcc 1
		.amdhsa_float_round_mode_32 0
		.amdhsa_float_round_mode_16_64 0
		.amdhsa_float_denorm_mode_32 3
		.amdhsa_float_denorm_mode_16_64 3
		.amdhsa_fp16_overflow 0
		.amdhsa_memory_ordered 1
		.amdhsa_forward_progress 1
		.amdhsa_inst_pref_size 24
		.amdhsa_round_robin_scheduling 0
		.amdhsa_exception_fp_ieee_invalid_op 0
		.amdhsa_exception_fp_denorm_src 0
		.amdhsa_exception_fp_ieee_div_zero 0
		.amdhsa_exception_fp_ieee_overflow 0
		.amdhsa_exception_fp_ieee_underflow 0
		.amdhsa_exception_fp_ieee_inexact 0
		.amdhsa_exception_int_div_zero 0
	.end_amdhsa_kernel
	.section	.text._ZL29rocblas_internal_gemmt_kernelIiLi16ELi32ELi8ELc67ELc78ELc85ELb1ELb0E19rocblas_complex_numIdEPKS1_PKS3_PKPS1_EviT_T9_T10_S9_lSB_S9_lSA_T11_S9_li,"axG",@progbits,_ZL29rocblas_internal_gemmt_kernelIiLi16ELi32ELi8ELc67ELc78ELc85ELb1ELb0E19rocblas_complex_numIdEPKS1_PKS3_PKPS1_EviT_T9_T10_S9_lSB_S9_lSA_T11_S9_li,comdat
.Lfunc_end402:
	.size	_ZL29rocblas_internal_gemmt_kernelIiLi16ELi32ELi8ELc67ELc78ELc85ELb1ELb0E19rocblas_complex_numIdEPKS1_PKS3_PKPS1_EviT_T9_T10_S9_lSB_S9_lSA_T11_S9_li, .Lfunc_end402-_ZL29rocblas_internal_gemmt_kernelIiLi16ELi32ELi8ELc67ELc78ELc85ELb1ELb0E19rocblas_complex_numIdEPKS1_PKS3_PKPS1_EviT_T9_T10_S9_lSB_S9_lSA_T11_S9_li
                                        ; -- End function
	.set _ZL29rocblas_internal_gemmt_kernelIiLi16ELi32ELi8ELc67ELc78ELc85ELb1ELb0E19rocblas_complex_numIdEPKS1_PKS3_PKPS1_EviT_T9_T10_S9_lSB_S9_lSA_T11_S9_li.num_vgpr, 132
	.set _ZL29rocblas_internal_gemmt_kernelIiLi16ELi32ELi8ELc67ELc78ELc85ELb1ELb0E19rocblas_complex_numIdEPKS1_PKS3_PKPS1_EviT_T9_T10_S9_lSB_S9_lSA_T11_S9_li.num_agpr, 0
	.set _ZL29rocblas_internal_gemmt_kernelIiLi16ELi32ELi8ELc67ELc78ELc85ELb1ELb0E19rocblas_complex_numIdEPKS1_PKS3_PKPS1_EviT_T9_T10_S9_lSB_S9_lSA_T11_S9_li.numbered_sgpr, 39
	.set _ZL29rocblas_internal_gemmt_kernelIiLi16ELi32ELi8ELc67ELc78ELc85ELb1ELb0E19rocblas_complex_numIdEPKS1_PKS3_PKPS1_EviT_T9_T10_S9_lSB_S9_lSA_T11_S9_li.num_named_barrier, 0
	.set _ZL29rocblas_internal_gemmt_kernelIiLi16ELi32ELi8ELc67ELc78ELc85ELb1ELb0E19rocblas_complex_numIdEPKS1_PKS3_PKPS1_EviT_T9_T10_S9_lSB_S9_lSA_T11_S9_li.private_seg_size, 0
	.set _ZL29rocblas_internal_gemmt_kernelIiLi16ELi32ELi8ELc67ELc78ELc85ELb1ELb0E19rocblas_complex_numIdEPKS1_PKS3_PKPS1_EviT_T9_T10_S9_lSB_S9_lSA_T11_S9_li.uses_vcc, 1
	.set _ZL29rocblas_internal_gemmt_kernelIiLi16ELi32ELi8ELc67ELc78ELc85ELb1ELb0E19rocblas_complex_numIdEPKS1_PKS3_PKPS1_EviT_T9_T10_S9_lSB_S9_lSA_T11_S9_li.uses_flat_scratch, 0
	.set _ZL29rocblas_internal_gemmt_kernelIiLi16ELi32ELi8ELc67ELc78ELc85ELb1ELb0E19rocblas_complex_numIdEPKS1_PKS3_PKPS1_EviT_T9_T10_S9_lSB_S9_lSA_T11_S9_li.has_dyn_sized_stack, 0
	.set _ZL29rocblas_internal_gemmt_kernelIiLi16ELi32ELi8ELc67ELc78ELc85ELb1ELb0E19rocblas_complex_numIdEPKS1_PKS3_PKPS1_EviT_T9_T10_S9_lSB_S9_lSA_T11_S9_li.has_recursion, 0
	.set _ZL29rocblas_internal_gemmt_kernelIiLi16ELi32ELi8ELc67ELc78ELc85ELb1ELb0E19rocblas_complex_numIdEPKS1_PKS3_PKPS1_EviT_T9_T10_S9_lSB_S9_lSA_T11_S9_li.has_indirect_call, 0
	.section	.AMDGPU.csdata,"",@progbits
; Kernel info:
; codeLenInByte = 2988
; TotalNumSgprs: 41
; NumVgprs: 132
; ScratchSize: 0
; MemoryBound: 1
; FloatMode: 240
; IeeeMode: 1
; LDSByteSize: 8192 bytes/workgroup (compile time only)
; SGPRBlocks: 0
; VGPRBlocks: 8
; NumSGPRsForWavesPerEU: 41
; NumVGPRsForWavesPerEU: 132
; NamedBarCnt: 0
; Occupancy: 7
; WaveLimiterHint : 1
; COMPUTE_PGM_RSRC2:SCRATCH_EN: 0
; COMPUTE_PGM_RSRC2:USER_SGPR: 2
; COMPUTE_PGM_RSRC2:TRAP_HANDLER: 0
; COMPUTE_PGM_RSRC2:TGID_X_EN: 1
; COMPUTE_PGM_RSRC2:TGID_Y_EN: 1
; COMPUTE_PGM_RSRC2:TGID_Z_EN: 1
; COMPUTE_PGM_RSRC2:TIDIG_COMP_CNT: 1
	.section	.text._ZL29rocblas_internal_gemmt_kernelIiLi16ELi32ELi8ELc67ELc84ELc85ELb1ELb0E19rocblas_complex_numIdEPKS1_PKS3_PKPS1_EviT_T9_T10_S9_lSB_S9_lSA_T11_S9_li,"axG",@progbits,_ZL29rocblas_internal_gemmt_kernelIiLi16ELi32ELi8ELc67ELc84ELc85ELb1ELb0E19rocblas_complex_numIdEPKS1_PKS3_PKPS1_EviT_T9_T10_S9_lSB_S9_lSA_T11_S9_li,comdat
	.globl	_ZL29rocblas_internal_gemmt_kernelIiLi16ELi32ELi8ELc67ELc84ELc85ELb1ELb0E19rocblas_complex_numIdEPKS1_PKS3_PKPS1_EviT_T9_T10_S9_lSB_S9_lSA_T11_S9_li ; -- Begin function _ZL29rocblas_internal_gemmt_kernelIiLi16ELi32ELi8ELc67ELc84ELc85ELb1ELb0E19rocblas_complex_numIdEPKS1_PKS3_PKPS1_EviT_T9_T10_S9_lSB_S9_lSA_T11_S9_li
	.p2align	8
	.type	_ZL29rocblas_internal_gemmt_kernelIiLi16ELi32ELi8ELc67ELc84ELc85ELb1ELb0E19rocblas_complex_numIdEPKS1_PKS3_PKPS1_EviT_T9_T10_S9_lSB_S9_lSA_T11_S9_li,@function
_ZL29rocblas_internal_gemmt_kernelIiLi16ELi32ELi8ELc67ELc84ELc85ELb1ELb0E19rocblas_complex_numIdEPKS1_PKS3_PKPS1_EviT_T9_T10_S9_lSB_S9_lSA_T11_S9_li: ; @_ZL29rocblas_internal_gemmt_kernelIiLi16ELi32ELi8ELc67ELc84ELc85ELb1ELb0E19rocblas_complex_numIdEPKS1_PKS3_PKPS1_EviT_T9_T10_S9_lSB_S9_lSA_T11_S9_li
; %bb.0:
	s_load_b128 s[20:23], s[0:1], 0x38
	s_wait_kmcnt 0x0
	s_load_b128 s[8:11], s[22:23], 0x0
	s_load_b128 s[4:7], s[0:1], 0x8
	s_wait_xcnt 0x0
	s_load_b64 s[22:23], s[0:1], 0x0
	s_wait_kmcnt 0x0
	v_cmp_eq_f64_e64 s2, s[8:9], 1.0
	v_cmp_eq_f64_e64 s33, s[10:11], 0
	s_load_b128 s[12:15], s[4:5], 0x0
	s_and_b32 s2, s2, s33
	s_delay_alu instid0(SALU_CYCLE_1)
	s_and_not1_b32 vcc_lo, exec_lo, s2
	s_mov_b32 s2, -1
	s_cbranch_vccnz .LBB403_3
; %bb.1:
	s_cmp_lg_u32 s23, 0
	s_cbranch_scc0 .LBB403_36
; %bb.2:
	s_wait_kmcnt 0x0
	v_cmp_neq_f64_e64 s2, s[12:13], 0
	v_cmp_neq_f64_e64 s3, s[14:15], 0
	s_or_b32 s2, s2, s3
.LBB403_3:
	s_delay_alu instid0(SALU_CYCLE_1)
	s_and_b32 vcc_lo, exec_lo, s2
	s_cbranch_vccz .LBB403_37
; %bb.4:
	s_load_b32 s27, s[0:1], 0x60
	s_bfe_u32 s2, ttmp6, 0x40014
	s_lshr_b32 s3, ttmp7, 16
	s_add_co_i32 s2, s2, 1
	s_wait_xcnt 0x0
	s_bfe_u32 s5, ttmp6, 0x40008
	s_mul_i32 s2, s3, s2
	s_getreg_b32 s4, hwreg(HW_REG_IB_STS2, 6, 4)
	s_add_co_i32 s5, s5, s2
	s_cmp_eq_u32 s4, 0
	s_mov_b32 s29, 0
	s_cselect_b32 s28, s3, s5
	s_wait_kmcnt 0x0
	s_cmp_ge_u32 s28, s27
	s_cbranch_scc1 .LBB403_37
; %bb.5:
	s_clause 0x3
	s_load_b32 s2, s[0:1], 0x18
	s_load_b32 s30, s[0:1], 0x30
	s_load_b96 s[24:26], s[0:1], 0x48
	s_load_b128 s[16:19], s[0:1], 0x20
	v_and_b32_e32 v1, 0x3ff, v0
	v_bfe_u32 v9, v0, 10, 10
	s_load_b64 s[34:35], s[0:1], 0x58
	s_wait_xcnt 0x0
	s_bfe_u32 s1, ttmp6, 0x4000c
	s_bfe_u32 s3, ttmp6, 0x40010
	s_and_b32 s36, ttmp7, 0xffff
	s_add_co_i32 s1, s1, 1
	s_add_co_i32 s3, s3, 1
	v_lshl_add_u32 v4, v9, 4, v1
	s_and_b32 s0, ttmp6, 15
	s_mul_i32 s1, ttmp9, s1
	s_mul_i32 s39, s36, s3
	s_bfe_u32 s40, ttmp6, 0x40004
	s_add_co_i32 s0, s0, s1
	s_add_co_i32 s40, s40, s39
	v_and_b32_e32 v8, 31, v4
	s_wait_kmcnt 0x0
	s_ashr_i32 s3, s2, 31
	s_ashr_i32 s31, s30, 31
	;; [unrolled: 1-line block ×3, first 2 shown]
	s_cmp_eq_u32 s4, 0
	v_cmp_neq_f64_e64 s37, s[12:13], 0
	s_cselect_b32 s0, ttmp9, s0
	s_cselect_b32 s1, s36, s40
	s_lshl_b32 s36, s0, 5
	v_cmp_neq_f64_e64 s38, s[14:15], 0
	v_or_b32_e32 v2, s36, v8
	v_dual_lshrrev_b32 v42, 5, v4 :: v_dual_lshrrev_b32 v10, 3, v4
	s_lshl_b32 s0, s1, 5
	v_dual_mov_b32 v0, 0 :: v_dual_bitop2_b32 v6, 7, v0 bitop3:0x40
	s_delay_alu instid0(VALU_DEP_3) | instskip(SKIP_3) | instid1(VALU_DEP_4)
	v_ashrrev_i32_e32 v3, 31, v2
	v_cmp_neq_f64_e64 s39, s[8:9], 0
	v_dual_add_nc_u32 v18, s0, v10 :: v_dual_add_nc_u32 v16, s0, v9
	v_lshlrev_b32_e32 v8, 4, v8
	v_mul_u64_e32 v[4:5], s[2:3], v[2:3]
	v_dual_lshlrev_b32 v3, 4, v6 :: v_dual_mov_b32 v7, v0
	v_cmp_gt_i32_e64 s0, s22, v2
	v_dual_add_nc_u32 v2, 16, v16 :: v_dual_ashrrev_i32 v17, 31, v16
	s_delay_alu instid0(VALU_DEP_3) | instskip(NEXT) | instid1(VALU_DEP_4)
	v_lshl_or_b32 v3, v10, 7, v3
	v_mul_u64_e32 v[20:21], s[30:31], v[6:7]
	s_mov_b32 s4, s26
	v_lshl_or_b32 v7, v42, 9, v8
	v_add_nc_u32_e32 v8, s36, v1
	v_add_nc_u32_e32 v43, 0x1000, v3
	v_ashrrev_i32_e32 v3, 31, v2
	v_mul_u64_e32 v[10:11], s[4:5], v[16:17]
	v_cmp_gt_i32_e64 s1, s22, v16
	v_cmp_le_i32_e64 s2, v8, v16
	v_add_nc_u32_e32 v14, 16, v8
	v_mul_u64_e32 v[12:13], s[4:5], v[2:3]
	v_dual_mov_b32 v23, v0 :: v_dual_lshlrev_b32 v22, 4, v42
	s_or_b32 s37, s37, s38
	s_cmp_gt_i32 s23, 0
	v_lshl_add_u32 v45, v9, 7, 0x1000
	s_cselect_b32 s38, -1, 0
	s_xor_b32 s3, s33, -1
	s_and_b32 s33, s1, s2
	v_dual_ashrrev_i32 v9, 31, v8 :: v_dual_ashrrev_i32 v19, 31, v18
	v_lshlrev_b32_e32 v44, 4, v1
	s_or_b32 s26, s39, s3
	s_lshl_b64 s[2:3], s[16:17], 4
	s_lshl_b64 s[16:17], s[20:21], 4
	v_lshl_add_u64 v[4:5], v[4:5], 4, s[2:3]
	v_cmp_le_i32_e64 s2, v14, v16
	v_cmp_gt_i32_e64 s3, s22, v2
	v_cmp_le_i32_e64 s4, v8, v2
	v_cmp_le_i32_e64 s5, v14, v2
	v_add_nc_u64_e32 v[16:17], v[4:5], v[22:23]
	v_cmp_gt_i32_e32 vcc_lo, s22, v18
	v_lshl_add_u64 v[2:3], v[20:21], 4, s[16:17]
	v_ashrrev_i32_e32 v15, 31, v14
	s_and_b32 s1, s1, s2
	s_and_b32 s16, s3, s4
	;; [unrolled: 1-line block ×3, first 2 shown]
	v_or_b32_e32 v16, 8, v16
	v_lshl_add_u64 v[18:19], v[18:19], 4, v[2:3]
	s_and_b32 s20, s37, s38
	s_lshl_b64 s[2:3], s[30:31], 7
	s_xor_b32 s21, vcc_lo, -1
	s_lshl_b64 s[4:5], s[34:35], 4
	s_branch .LBB403_7
.LBB403_6:                              ;   in Loop: Header=BB403_7 Depth=1
	s_wait_xcnt 0x0
	s_or_b32 exec_lo, exec_lo, s22
	s_add_co_i32 s28, s28, 0x10000
	s_delay_alu instid0(SALU_CYCLE_1)
	s_cmp_lt_u32 s28, s27
	s_cbranch_scc0 .LBB403_37
.LBB403_7:                              ; =>This Loop Header: Depth=1
                                        ;     Child Loop BB403_10 Depth 2
	v_mov_b32_e32 v1, s28
	v_mov_b64_e32 v[38:39], 0
	v_mov_b64_e32 v[40:41], 0
	;; [unrolled: 1-line block ×4, first 2 shown]
	global_load_b64 v[24:25], v1, s[24:25] scale_offset
	v_mov_b64_e32 v[26:27], 0
	v_mov_b64_e32 v[28:29], 0
	;; [unrolled: 1-line block ×4, first 2 shown]
	s_and_not1_b32 vcc_lo, exec_lo, s20
	s_cbranch_vccnz .LBB403_16
; %bb.8:                                ;   in Loop: Header=BB403_7 Depth=1
	s_lshl_b64 s[30:31], s[28:29], 3
	v_mov_b64_e32 v[22:23], 0
	s_add_nc_u64 s[34:35], s[6:7], s[30:31]
	s_add_nc_u64 s[30:31], s[18:19], s[30:31]
	s_clause 0x1
	global_load_b64 v[2:3], v0, s[34:35]
	global_load_b64 v[4:5], v0, s[30:31]
	v_mov_b64_e32 v[20:21], 0
	v_mov_b64_e32 v[28:29], 0
	v_mov_b64_e32 v[26:27], 0
	v_mov_b64_e32 v[36:37], 0
	v_mov_b64_e32 v[34:35], 0
	v_mov_b64_e32 v[40:41], 0
	v_mov_b64_e32 v[38:39], 0
	s_mov_b32 s22, 0
	s_wait_loadcnt 0x1
	v_add_nc_u64_e32 v[30:31], v[2:3], v[16:17]
	s_wait_loadcnt 0x0
	v_add_nc_u64_e32 v[32:33], v[4:5], v[18:19]
	s_branch .LBB403_10
.LBB403_9:                              ;   in Loop: Header=BB403_10 Depth=2
	s_wait_xcnt 0x0
	s_or_b32 exec_lo, exec_lo, s30
	s_wait_dscnt 0x0
	s_barrier_signal -1
	s_barrier_wait -1
	ds_load_b128 v[2:5], v45
	ds_load_b128 v[46:49], v44
	ds_load_b128 v[50:53], v44 offset:256
	ds_load_b128 v[54:57], v45 offset:2048
	;; [unrolled: 1-line block ×10, first 2 shown]
	v_add_nc_u64_e32 v[30:31], 0x80, v[30:31]
	v_add_nc_u64_e32 v[32:33], s[2:3], v[32:33]
	s_add_co_i32 s22, s22, 8
	s_delay_alu instid0(SALU_CYCLE_1)
	s_cmp_lt_i32 s22, s23
	s_wait_dscnt 0xa
	v_mul_f64_e32 v[90:91], v[4:5], v[48:49]
	v_mul_f64_e32 v[92:93], v[2:3], v[48:49]
	s_wait_dscnt 0x9
	v_mul_f64_e32 v[94:95], v[4:5], v[52:53]
	v_mul_f64_e32 v[96:97], v[2:3], v[52:53]
	s_wait_dscnt 0x8
	v_mul_f64_e32 v[98:99], v[56:57], v[48:49]
	v_mul_f64_e32 v[100:101], v[54:55], v[48:49]
	v_mul_f64_e32 v[48:49], v[56:57], v[52:53]
	v_mul_f64_e32 v[102:103], v[54:55], v[52:53]
	s_wait_dscnt 0x6
	v_mul_f64_e32 v[104:105], v[60:61], v[64:65]
	v_mul_f64_e32 v[106:107], v[58:59], v[64:65]
	s_wait_dscnt 0x5
	v_mul_f64_e32 v[108:109], v[60:61], v[68:69]
	v_mul_f64_e32 v[110:111], v[58:59], v[68:69]
	s_wait_dscnt 0x4
	v_mul_f64_e32 v[112:113], v[72:73], v[64:65]
	v_mul_f64_e32 v[64:65], v[70:71], v[64:65]
	v_mul_f64_e32 v[114:115], v[72:73], v[68:69]
	v_mul_f64_e32 v[68:69], v[70:71], v[68:69]
	;; [unrolled: 11-line block ×3, first 2 shown]
	v_fma_f64 v[90:91], v[2:3], v[46:47], -v[90:91]
	v_fmac_f64_e32 v[92:93], v[4:5], v[46:47]
	v_fma_f64 v[94:95], v[2:3], v[50:51], -v[94:95]
	v_fmac_f64_e32 v[96:97], v[4:5], v[50:51]
	;; [unrolled: 2-line block ×8, first 2 shown]
	ds_load_b128 v[2:5], v45 offset:48
	ds_load_b128 v[46:49], v45 offset:2096
	ds_load_b128 v[50:53], v44 offset:1536
	ds_load_b128 v[54:57], v44 offset:1792
	v_fma_f64 v[118:119], v[74:75], v[78:79], -v[118:119]
	v_fmac_f64_e32 v[120:121], v[76:77], v[78:79]
	v_fma_f64 v[74:75], v[74:75], v[82:83], -v[122:123]
	v_fmac_f64_e32 v[124:125], v[76:77], v[82:83]
	;; [unrolled: 2-line block ×4, first 2 shown]
	v_add_f64_e32 v[66:67], v[38:39], v[90:91]
	v_add_f64_e32 v[70:71], v[92:93], v[40:41]
	;; [unrolled: 1-line block ×8, first 2 shown]
	s_wait_dscnt 0x1
	v_mul_f64_e32 v[100:101], v[4:5], v[52:53]
	v_mul_f64_e32 v[102:103], v[2:3], v[52:53]
	s_wait_dscnt 0x0
	v_mul_f64_e32 v[108:109], v[4:5], v[56:57]
	v_mul_f64_e32 v[112:113], v[2:3], v[56:57]
	;; [unrolled: 1-line block ×6, first 2 shown]
	ds_load_b128 v[20:23], v45 offset:64
	ds_load_b128 v[26:29], v44 offset:2048
	;; [unrolled: 1-line block ×4, first 2 shown]
	v_add_f64_e32 v[82:83], v[66:67], v[104:105]
	v_add_f64_e32 v[86:87], v[106:107], v[70:71]
	;; [unrolled: 1-line block ×8, first 2 shown]
	s_wait_dscnt 0x2
	v_mul_f64_e32 v[98:99], v[22:23], v[28:29]
	v_mul_f64_e32 v[104:105], v[20:21], v[28:29]
	s_wait_dscnt 0x1
	v_mul_f64_e32 v[106:107], v[22:23], v[36:37]
	v_mul_f64_e32 v[110:111], v[20:21], v[36:37]
	;; [unrolled: 3-line block ×3, first 2 shown]
	v_mul_f64_e32 v[28:29], v[40:41], v[36:37]
	v_mul_f64_e32 v[128:129], v[38:39], v[36:37]
	v_fma_f64 v[36:37], v[2:3], v[50:51], -v[100:101]
	v_fmac_f64_e32 v[102:103], v[4:5], v[50:51]
	v_fma_f64 v[100:101], v[2:3], v[54:55], -v[108:109]
	v_fmac_f64_e32 v[112:113], v[4:5], v[54:55]
	;; [unrolled: 2-line block ×4, first 2 shown]
	ds_load_b128 v[56:59], v45 offset:80
	ds_load_b128 v[60:63], v45 offset:2128
	;; [unrolled: 1-line block ×4, first 2 shown]
	v_add_f64_e32 v[54:55], v[82:83], v[118:119]
	v_add_f64_e32 v[82:83], v[120:121], v[86:87]
	;; [unrolled: 1-line block ×8, first 2 shown]
	v_fma_f64 v[98:99], v[20:21], v[26:27], -v[98:99]
	v_fmac_f64_e32 v[104:105], v[22:23], v[26:27]
	v_fma_f64 v[106:107], v[20:21], v[34:35], -v[106:107]
	s_wait_dscnt 0x1
	v_mul_f64_e32 v[90:91], v[58:59], v[66:67]
	v_mul_f64_e32 v[92:93], v[56:57], v[66:67]
	s_wait_dscnt 0x0
	v_mul_f64_e32 v[94:95], v[58:59], v[70:71]
	v_mul_f64_e32 v[96:97], v[56:57], v[70:71]
	;; [unrolled: 1-line block ×6, first 2 shown]
	v_fmac_f64_e32 v[110:111], v[22:23], v[34:35]
	v_fma_f64 v[122:123], v[38:39], v[26:27], -v[122:123]
	v_fmac_f64_e32 v[126:127], v[40:41], v[26:27]
	v_fma_f64 v[124:125], v[38:39], v[34:35], -v[28:29]
	v_fmac_f64_e32 v[128:129], v[40:41], v[34:35]
	ds_load_b128 v[2:5], v45 offset:96
	ds_load_b128 v[46:49], v44 offset:3072
	;; [unrolled: 1-line block ×4, first 2 shown]
	v_add_f64_e32 v[54:55], v[54:55], v[36:37]
	v_add_f64_e32 v[82:83], v[102:103], v[82:83]
	;; [unrolled: 1-line block ×8, first 2 shown]
	ds_load_b128 v[20:23], v45 offset:112
	ds_load_b128 v[26:29], v45 offset:2160
	ds_load_b128 v[34:37], v44 offset:3584
	ds_load_b128 v[38:41], v44 offset:3840
	s_wait_dscnt 0x0
	v_mul_f64_e32 v[100:101], v[4:5], v[48:49]
	v_mul_f64_e32 v[102:103], v[2:3], v[48:49]
	;; [unrolled: 1-line block ×8, first 2 shown]
	v_fma_f64 v[90:91], v[56:57], v[64:65], -v[90:91]
	v_fmac_f64_e32 v[92:93], v[58:59], v[64:65]
	v_fma_f64 v[56:57], v[56:57], v[68:69], -v[94:95]
	v_fmac_f64_e32 v[96:97], v[58:59], v[68:69]
	;; [unrolled: 2-line block ×4, first 2 shown]
	s_barrier_signal -1
	s_barrier_wait -1
	v_mul_f64_e32 v[94:95], v[20:21], v[40:41]
	v_add_f64_e32 v[54:55], v[54:55], v[98:99]
	v_add_f64_e32 v[62:63], v[104:105], v[82:83]
	;; [unrolled: 1-line block ×8, first 2 shown]
	v_mul_f64_e32 v[84:85], v[22:23], v[36:37]
	v_mul_f64_e32 v[86:87], v[20:21], v[36:37]
	;; [unrolled: 1-line block ×7, first 2 shown]
	v_fma_f64 v[40:41], v[2:3], v[46:47], -v[100:101]
	v_fmac_f64_e32 v[102:103], v[4:5], v[46:47]
	v_fma_f64 v[2:3], v[2:3], v[50:51], -v[108:109]
	v_fmac_f64_e32 v[112:113], v[4:5], v[50:51]
	;; [unrolled: 2-line block ×4, first 2 shown]
	v_fmac_f64_e32 v[94:95], v[22:23], v[38:39]
	v_add_f64_e32 v[50:51], v[54:55], v[90:91]
	v_add_f64_e32 v[54:55], v[92:93], v[62:63]
	v_add_f64_e32 v[56:57], v[64:65], v[56:57]
	v_add_f64_e32 v[62:63], v[96:97], v[68:69]
	v_add_f64_e32 v[58:59], v[76:77], v[58:59]
	v_add_f64_e32 v[64:65], v[66:67], v[80:81]
	v_add_f64_e32 v[60:61], v[78:79], v[60:61]
	v_add_f64_e32 v[66:67], v[70:71], v[82:83]
	v_fma_f64 v[68:69], v[20:21], v[34:35], -v[84:85]
	v_fmac_f64_e32 v[86:87], v[22:23], v[34:35]
	v_fma_f64 v[20:21], v[20:21], v[38:39], -v[88:89]
	v_fma_f64 v[22:23], v[26:27], v[34:35], -v[98:99]
	v_fmac_f64_e32 v[104:105], v[28:29], v[34:35]
	v_fma_f64 v[70:71], v[26:27], v[38:39], -v[36:37]
	v_fmac_f64_e32 v[106:107], v[28:29], v[38:39]
	v_add_f64_e32 v[26:27], v[50:51], v[40:41]
	v_add_f64_e32 v[28:29], v[102:103], v[54:55]
	;; [unrolled: 1-line block ×16, first 2 shown]
	s_cbranch_scc0 .LBB403_16
.LBB403_10:                             ;   Parent Loop BB403_7 Depth=1
                                        ; =>  This Inner Loop Header: Depth=2
	s_wait_xcnt 0x2
	v_add_nc_u32_e32 v1, s22, v42
	v_mov_b64_e32 v[2:3], 0
	v_mov_b64_e32 v[4:5], 0
	s_delay_alu instid0(VALU_DEP_3) | instskip(SKIP_2) | instid1(SALU_CYCLE_1)
	v_cmp_gt_i32_e32 vcc_lo, s23, v1
	s_wait_xcnt 0x0
	s_and_b32 s31, s0, vcc_lo
	s_and_saveexec_b32 s30, s31
	s_cbranch_execz .LBB403_12
; %bb.11:                               ;   in Loop: Header=BB403_10 Depth=2
	flat_load_b128 v[2:5], v[30:31] offset:-8
	s_wait_loadcnt_dscnt 0x0
	v_xor_b32_e32 v5, 0x80000000, v5
.LBB403_12:                             ;   in Loop: Header=BB403_10 Depth=2
	s_wait_xcnt 0x0
	s_or_b32 exec_lo, exec_lo, s30
	v_add_nc_u32_e32 v1, s22, v6
	ds_store_b128 v7, v[2:5]
	v_cmp_le_i32_e32 vcc_lo, s23, v1
	s_or_b32 s30, vcc_lo, s21
	s_delay_alu instid0(SALU_CYCLE_1) | instskip(NEXT) | instid1(SALU_CYCLE_1)
	s_and_saveexec_b32 s31, s30
	s_xor_b32 s30, exec_lo, s31
; %bb.13:                               ;   in Loop: Header=BB403_10 Depth=2
	v_dual_mov_b32 v1, v0 :: v_dual_mov_b32 v2, v0
	v_mov_b32_e32 v3, v0
	ds_store_b128 v43, v[0:3]
; %bb.14:                               ;   in Loop: Header=BB403_10 Depth=2
	s_and_not1_saveexec_b32 s30, s30
	s_cbranch_execz .LBB403_9
; %bb.15:                               ;   in Loop: Header=BB403_10 Depth=2
	flat_load_b128 v[2:5], v[32:33]
	s_wait_loadcnt_dscnt 0x0
	ds_store_2addr_b64 v43, v[2:3], v[4:5] offset1:1
	s_branch .LBB403_9
.LBB403_16:                             ;   in Loop: Header=BB403_7 Depth=1
	s_wait_loadcnt 0x0
	v_add_nc_u64_e32 v[24:25], s[4:5], v[24:25]
	s_delay_alu instid0(VALU_DEP_1)
	v_lshl_add_u64 v[30:31], v[10:11], 4, v[24:25]
	s_wait_xcnt 0x0
	s_and_saveexec_b32 s22, s33
	s_cbranch_execz .LBB403_21
; %bb.17:                               ;   in Loop: Header=BB403_7 Depth=1
	v_mul_f64_e32 v[2:3], s[14:15], v[40:41]
	v_mul_f64_e32 v[4:5], s[12:13], v[40:41]
	v_lshl_add_u64 v[32:33], v[8:9], 4, v[30:31]
	s_and_b32 vcc_lo, exec_lo, s26
	s_mov_b32 s30, -1
	s_delay_alu instid0(VALU_DEP_3) | instskip(NEXT) | instid1(VALU_DEP_3)
	v_fma_f64 v[2:3], s[12:13], v[38:39], -v[2:3]
	v_fmac_f64_e32 v[4:5], s[14:15], v[38:39]
	s_cbranch_vccz .LBB403_19
; %bb.18:                               ;   in Loop: Header=BB403_7 Depth=1
	flat_load_b128 v[38:41], v[32:33]
	s_mov_b32 s30, 0
	s_wait_loadcnt_dscnt 0x0
	v_mul_f64_e32 v[46:47], s[10:11], v[40:41]
	v_mul_f64_e32 v[40:41], s[8:9], v[40:41]
	s_delay_alu instid0(VALU_DEP_2) | instskip(NEXT) | instid1(VALU_DEP_2)
	v_fma_f64 v[46:47], s[8:9], v[38:39], -v[46:47]
	v_fmac_f64_e32 v[40:41], s[10:11], v[38:39]
	s_delay_alu instid0(VALU_DEP_2) | instskip(NEXT) | instid1(VALU_DEP_2)
	v_add_f64_e32 v[38:39], v[2:3], v[46:47]
	v_add_f64_e32 v[40:41], v[4:5], v[40:41]
	flat_store_b128 v[32:33], v[38:41]
.LBB403_19:                             ;   in Loop: Header=BB403_7 Depth=1
	s_and_not1_b32 vcc_lo, exec_lo, s30
	s_cbranch_vccnz .LBB403_21
; %bb.20:                               ;   in Loop: Header=BB403_7 Depth=1
	flat_store_b128 v[32:33], v[2:5]
.LBB403_21:                             ;   in Loop: Header=BB403_7 Depth=1
	s_wait_xcnt 0x0
	s_or_b32 exec_lo, exec_lo, s22
	s_and_saveexec_b32 s22, s1
	s_cbranch_execz .LBB403_26
; %bb.22:                               ;   in Loop: Header=BB403_7 Depth=1
	v_mul_f64_e32 v[2:3], s[14:15], v[36:37]
	v_mul_f64_e32 v[4:5], s[12:13], v[36:37]
	v_lshl_add_u64 v[30:31], v[14:15], 4, v[30:31]
	s_and_not1_b32 vcc_lo, exec_lo, s26
	s_mov_b32 s30, -1
	s_delay_alu instid0(VALU_DEP_3) | instskip(NEXT) | instid1(VALU_DEP_3)
	v_fma_f64 v[2:3], s[12:13], v[34:35], -v[2:3]
	v_fmac_f64_e32 v[4:5], s[14:15], v[34:35]
	s_cbranch_vccnz .LBB403_24
; %bb.23:                               ;   in Loop: Header=BB403_7 Depth=1
	flat_load_b128 v[32:35], v[30:31]
	s_mov_b32 s30, 0
	s_wait_loadcnt_dscnt 0x0
	v_mul_f64_e32 v[36:37], s[10:11], v[34:35]
	v_mul_f64_e32 v[34:35], s[8:9], v[34:35]
	s_delay_alu instid0(VALU_DEP_2) | instskip(NEXT) | instid1(VALU_DEP_2)
	v_fma_f64 v[36:37], s[8:9], v[32:33], -v[36:37]
	v_fmac_f64_e32 v[34:35], s[10:11], v[32:33]
	s_delay_alu instid0(VALU_DEP_2) | instskip(NEXT) | instid1(VALU_DEP_2)
	v_add_f64_e32 v[32:33], v[2:3], v[36:37]
	v_add_f64_e32 v[34:35], v[4:5], v[34:35]
	flat_store_b128 v[30:31], v[32:35]
.LBB403_24:                             ;   in Loop: Header=BB403_7 Depth=1
	s_and_not1_b32 vcc_lo, exec_lo, s30
	s_cbranch_vccnz .LBB403_26
; %bb.25:                               ;   in Loop: Header=BB403_7 Depth=1
	flat_store_b128 v[30:31], v[2:5]
.LBB403_26:                             ;   in Loop: Header=BB403_7 Depth=1
	s_wait_xcnt 0x0
	s_or_b32 exec_lo, exec_lo, s22
	v_lshl_add_u64 v[24:25], v[12:13], 4, v[24:25]
	s_and_saveexec_b32 s22, s16
	s_cbranch_execz .LBB403_31
; %bb.27:                               ;   in Loop: Header=BB403_7 Depth=1
	v_mul_f64_e32 v[2:3], s[14:15], v[28:29]
	v_mul_f64_e32 v[4:5], s[12:13], v[28:29]
	s_and_not1_b32 vcc_lo, exec_lo, s26
	s_mov_b32 s30, -1
	s_delay_alu instid0(VALU_DEP_2) | instskip(NEXT) | instid1(VALU_DEP_2)
	v_fma_f64 v[2:3], s[12:13], v[26:27], -v[2:3]
	v_fmac_f64_e32 v[4:5], s[14:15], v[26:27]
	v_lshl_add_u64 v[26:27], v[8:9], 4, v[24:25]
	s_cbranch_vccnz .LBB403_29
; %bb.28:                               ;   in Loop: Header=BB403_7 Depth=1
	flat_load_b128 v[28:31], v[26:27]
	s_mov_b32 s30, 0
	s_wait_loadcnt_dscnt 0x0
	v_mul_f64_e32 v[32:33], s[10:11], v[30:31]
	v_mul_f64_e32 v[30:31], s[8:9], v[30:31]
	s_delay_alu instid0(VALU_DEP_2) | instskip(NEXT) | instid1(VALU_DEP_2)
	v_fma_f64 v[32:33], s[8:9], v[28:29], -v[32:33]
	v_fmac_f64_e32 v[30:31], s[10:11], v[28:29]
	s_delay_alu instid0(VALU_DEP_2) | instskip(NEXT) | instid1(VALU_DEP_2)
	v_add_f64_e32 v[28:29], v[2:3], v[32:33]
	v_add_f64_e32 v[30:31], v[4:5], v[30:31]
	flat_store_b128 v[26:27], v[28:31]
.LBB403_29:                             ;   in Loop: Header=BB403_7 Depth=1
	s_and_not1_b32 vcc_lo, exec_lo, s30
	s_cbranch_vccnz .LBB403_31
; %bb.30:                               ;   in Loop: Header=BB403_7 Depth=1
	flat_store_b128 v[26:27], v[2:5]
.LBB403_31:                             ;   in Loop: Header=BB403_7 Depth=1
	s_wait_xcnt 0x0
	s_or_b32 exec_lo, exec_lo, s22
	s_and_saveexec_b32 s22, s17
	s_cbranch_execz .LBB403_6
; %bb.32:                               ;   in Loop: Header=BB403_7 Depth=1
	s_delay_alu instid0(VALU_DEP_4) | instskip(SKIP_3) | instid1(VALU_DEP_2)
	v_mul_f64_e32 v[2:3], s[14:15], v[22:23]
	v_mul_f64_e32 v[4:5], s[12:13], v[22:23]
	s_and_not1_b32 vcc_lo, exec_lo, s26
	s_mov_b32 s30, -1
	v_fma_f64 v[2:3], s[12:13], v[20:21], -v[2:3]
	s_delay_alu instid0(VALU_DEP_2)
	v_fmac_f64_e32 v[4:5], s[14:15], v[20:21]
	v_lshl_add_u64 v[20:21], v[14:15], 4, v[24:25]
	s_cbranch_vccnz .LBB403_34
; %bb.33:                               ;   in Loop: Header=BB403_7 Depth=1
	flat_load_b128 v[22:25], v[20:21]
	s_mov_b32 s30, 0
	s_wait_loadcnt_dscnt 0x0
	v_mul_f64_e32 v[26:27], s[10:11], v[24:25]
	v_mul_f64_e32 v[24:25], s[8:9], v[24:25]
	s_delay_alu instid0(VALU_DEP_2) | instskip(NEXT) | instid1(VALU_DEP_2)
	v_fma_f64 v[26:27], s[8:9], v[22:23], -v[26:27]
	v_fmac_f64_e32 v[24:25], s[10:11], v[22:23]
	s_delay_alu instid0(VALU_DEP_2) | instskip(NEXT) | instid1(VALU_DEP_2)
	v_add_f64_e32 v[22:23], v[2:3], v[26:27]
	v_add_f64_e32 v[24:25], v[4:5], v[24:25]
	flat_store_b128 v[20:21], v[22:25]
.LBB403_34:                             ;   in Loop: Header=BB403_7 Depth=1
	s_and_not1_b32 vcc_lo, exec_lo, s30
	s_cbranch_vccnz .LBB403_6
; %bb.35:                               ;   in Loop: Header=BB403_7 Depth=1
	flat_store_b128 v[20:21], v[2:5]
	s_branch .LBB403_6
.LBB403_36:
.LBB403_37:
	s_sendmsg sendmsg(MSG_DEALLOC_VGPRS)
	s_endpgm
	.section	.rodata,"a",@progbits
	.p2align	6, 0x0
	.amdhsa_kernel _ZL29rocblas_internal_gemmt_kernelIiLi16ELi32ELi8ELc67ELc84ELc85ELb1ELb0E19rocblas_complex_numIdEPKS1_PKS3_PKPS1_EviT_T9_T10_S9_lSB_S9_lSA_T11_S9_li
		.amdhsa_group_segment_fixed_size 8192
		.amdhsa_private_segment_fixed_size 0
		.amdhsa_kernarg_size 100
		.amdhsa_user_sgpr_count 2
		.amdhsa_user_sgpr_dispatch_ptr 0
		.amdhsa_user_sgpr_queue_ptr 0
		.amdhsa_user_sgpr_kernarg_segment_ptr 1
		.amdhsa_user_sgpr_dispatch_id 0
		.amdhsa_user_sgpr_kernarg_preload_length 0
		.amdhsa_user_sgpr_kernarg_preload_offset 0
		.amdhsa_user_sgpr_private_segment_size 0
		.amdhsa_wavefront_size32 1
		.amdhsa_uses_dynamic_stack 0
		.amdhsa_enable_private_segment 0
		.amdhsa_system_sgpr_workgroup_id_x 1
		.amdhsa_system_sgpr_workgroup_id_y 1
		.amdhsa_system_sgpr_workgroup_id_z 1
		.amdhsa_system_sgpr_workgroup_info 0
		.amdhsa_system_vgpr_workitem_id 1
		.amdhsa_next_free_vgpr 132
		.amdhsa_next_free_sgpr 41
		.amdhsa_named_barrier_count 0
		.amdhsa_reserve_vcc 1
		.amdhsa_float_round_mode_32 0
		.amdhsa_float_round_mode_16_64 0
		.amdhsa_float_denorm_mode_32 3
		.amdhsa_float_denorm_mode_16_64 3
		.amdhsa_fp16_overflow 0
		.amdhsa_memory_ordered 1
		.amdhsa_forward_progress 1
		.amdhsa_inst_pref_size 24
		.amdhsa_round_robin_scheduling 0
		.amdhsa_exception_fp_ieee_invalid_op 0
		.amdhsa_exception_fp_denorm_src 0
		.amdhsa_exception_fp_ieee_div_zero 0
		.amdhsa_exception_fp_ieee_overflow 0
		.amdhsa_exception_fp_ieee_underflow 0
		.amdhsa_exception_fp_ieee_inexact 0
		.amdhsa_exception_int_div_zero 0
	.end_amdhsa_kernel
	.section	.text._ZL29rocblas_internal_gemmt_kernelIiLi16ELi32ELi8ELc67ELc84ELc85ELb1ELb0E19rocblas_complex_numIdEPKS1_PKS3_PKPS1_EviT_T9_T10_S9_lSB_S9_lSA_T11_S9_li,"axG",@progbits,_ZL29rocblas_internal_gemmt_kernelIiLi16ELi32ELi8ELc67ELc84ELc85ELb1ELb0E19rocblas_complex_numIdEPKS1_PKS3_PKPS1_EviT_T9_T10_S9_lSB_S9_lSA_T11_S9_li,comdat
.Lfunc_end403:
	.size	_ZL29rocblas_internal_gemmt_kernelIiLi16ELi32ELi8ELc67ELc84ELc85ELb1ELb0E19rocblas_complex_numIdEPKS1_PKS3_PKPS1_EviT_T9_T10_S9_lSB_S9_lSA_T11_S9_li, .Lfunc_end403-_ZL29rocblas_internal_gemmt_kernelIiLi16ELi32ELi8ELc67ELc84ELc85ELb1ELb0E19rocblas_complex_numIdEPKS1_PKS3_PKPS1_EviT_T9_T10_S9_lSB_S9_lSA_T11_S9_li
                                        ; -- End function
	.set _ZL29rocblas_internal_gemmt_kernelIiLi16ELi32ELi8ELc67ELc84ELc85ELb1ELb0E19rocblas_complex_numIdEPKS1_PKS3_PKPS1_EviT_T9_T10_S9_lSB_S9_lSA_T11_S9_li.num_vgpr, 132
	.set _ZL29rocblas_internal_gemmt_kernelIiLi16ELi32ELi8ELc67ELc84ELc85ELb1ELb0E19rocblas_complex_numIdEPKS1_PKS3_PKPS1_EviT_T9_T10_S9_lSB_S9_lSA_T11_S9_li.num_agpr, 0
	.set _ZL29rocblas_internal_gemmt_kernelIiLi16ELi32ELi8ELc67ELc84ELc85ELb1ELb0E19rocblas_complex_numIdEPKS1_PKS3_PKPS1_EviT_T9_T10_S9_lSB_S9_lSA_T11_S9_li.numbered_sgpr, 41
	.set _ZL29rocblas_internal_gemmt_kernelIiLi16ELi32ELi8ELc67ELc84ELc85ELb1ELb0E19rocblas_complex_numIdEPKS1_PKS3_PKPS1_EviT_T9_T10_S9_lSB_S9_lSA_T11_S9_li.num_named_barrier, 0
	.set _ZL29rocblas_internal_gemmt_kernelIiLi16ELi32ELi8ELc67ELc84ELc85ELb1ELb0E19rocblas_complex_numIdEPKS1_PKS3_PKPS1_EviT_T9_T10_S9_lSB_S9_lSA_T11_S9_li.private_seg_size, 0
	.set _ZL29rocblas_internal_gemmt_kernelIiLi16ELi32ELi8ELc67ELc84ELc85ELb1ELb0E19rocblas_complex_numIdEPKS1_PKS3_PKPS1_EviT_T9_T10_S9_lSB_S9_lSA_T11_S9_li.uses_vcc, 1
	.set _ZL29rocblas_internal_gemmt_kernelIiLi16ELi32ELi8ELc67ELc84ELc85ELb1ELb0E19rocblas_complex_numIdEPKS1_PKS3_PKPS1_EviT_T9_T10_S9_lSB_S9_lSA_T11_S9_li.uses_flat_scratch, 0
	.set _ZL29rocblas_internal_gemmt_kernelIiLi16ELi32ELi8ELc67ELc84ELc85ELb1ELb0E19rocblas_complex_numIdEPKS1_PKS3_PKPS1_EviT_T9_T10_S9_lSB_S9_lSA_T11_S9_li.has_dyn_sized_stack, 0
	.set _ZL29rocblas_internal_gemmt_kernelIiLi16ELi32ELi8ELc67ELc84ELc85ELb1ELb0E19rocblas_complex_numIdEPKS1_PKS3_PKPS1_EviT_T9_T10_S9_lSB_S9_lSA_T11_S9_li.has_recursion, 0
	.set _ZL29rocblas_internal_gemmt_kernelIiLi16ELi32ELi8ELc67ELc84ELc85ELb1ELb0E19rocblas_complex_numIdEPKS1_PKS3_PKPS1_EviT_T9_T10_S9_lSB_S9_lSA_T11_S9_li.has_indirect_call, 0
	.section	.AMDGPU.csdata,"",@progbits
; Kernel info:
; codeLenInByte = 2980
; TotalNumSgprs: 43
; NumVgprs: 132
; ScratchSize: 0
; MemoryBound: 1
; FloatMode: 240
; IeeeMode: 1
; LDSByteSize: 8192 bytes/workgroup (compile time only)
; SGPRBlocks: 0
; VGPRBlocks: 8
; NumSGPRsForWavesPerEU: 43
; NumVGPRsForWavesPerEU: 132
; NamedBarCnt: 0
; Occupancy: 7
; WaveLimiterHint : 1
; COMPUTE_PGM_RSRC2:SCRATCH_EN: 0
; COMPUTE_PGM_RSRC2:USER_SGPR: 2
; COMPUTE_PGM_RSRC2:TRAP_HANDLER: 0
; COMPUTE_PGM_RSRC2:TGID_X_EN: 1
; COMPUTE_PGM_RSRC2:TGID_Y_EN: 1
; COMPUTE_PGM_RSRC2:TGID_Z_EN: 1
; COMPUTE_PGM_RSRC2:TIDIG_COMP_CNT: 1
	.section	.text._ZL29rocblas_internal_gemmt_kernelIiLi16ELi32ELi8ELc67ELc67ELc85ELb1ELb1E19rocblas_complex_numIdEPKS1_PKS3_PKPS1_EviT_T9_T10_S9_lSB_S9_lSA_T11_S9_li,"axG",@progbits,_ZL29rocblas_internal_gemmt_kernelIiLi16ELi32ELi8ELc67ELc67ELc85ELb1ELb1E19rocblas_complex_numIdEPKS1_PKS3_PKPS1_EviT_T9_T10_S9_lSB_S9_lSA_T11_S9_li,comdat
	.globl	_ZL29rocblas_internal_gemmt_kernelIiLi16ELi32ELi8ELc67ELc67ELc85ELb1ELb1E19rocblas_complex_numIdEPKS1_PKS3_PKPS1_EviT_T9_T10_S9_lSB_S9_lSA_T11_S9_li ; -- Begin function _ZL29rocblas_internal_gemmt_kernelIiLi16ELi32ELi8ELc67ELc67ELc85ELb1ELb1E19rocblas_complex_numIdEPKS1_PKS3_PKPS1_EviT_T9_T10_S9_lSB_S9_lSA_T11_S9_li
	.p2align	8
	.type	_ZL29rocblas_internal_gemmt_kernelIiLi16ELi32ELi8ELc67ELc67ELc85ELb1ELb1E19rocblas_complex_numIdEPKS1_PKS3_PKPS1_EviT_T9_T10_S9_lSB_S9_lSA_T11_S9_li,@function
_ZL29rocblas_internal_gemmt_kernelIiLi16ELi32ELi8ELc67ELc67ELc85ELb1ELb1E19rocblas_complex_numIdEPKS1_PKS3_PKPS1_EviT_T9_T10_S9_lSB_S9_lSA_T11_S9_li: ; @_ZL29rocblas_internal_gemmt_kernelIiLi16ELi32ELi8ELc67ELc67ELc85ELb1ELb1E19rocblas_complex_numIdEPKS1_PKS3_PKPS1_EviT_T9_T10_S9_lSB_S9_lSA_T11_S9_li
; %bb.0:
	s_load_b128 s[20:23], s[0:1], 0x38
	s_wait_kmcnt 0x0
	s_load_b128 s[8:11], s[22:23], 0x0
	s_load_b128 s[4:7], s[0:1], 0x8
	s_wait_xcnt 0x0
	s_load_b64 s[22:23], s[0:1], 0x0
	s_wait_kmcnt 0x0
	v_cmp_eq_f64_e64 s2, s[8:9], 1.0
	v_cmp_eq_f64_e64 s33, s[10:11], 0
	s_load_b128 s[12:15], s[4:5], 0x0
	s_and_b32 s2, s2, s33
	s_delay_alu instid0(SALU_CYCLE_1)
	s_and_not1_b32 vcc_lo, exec_lo, s2
	s_mov_b32 s2, -1
	s_cbranch_vccnz .LBB404_3
; %bb.1:
	s_cmp_lg_u32 s23, 0
	s_cbranch_scc0 .LBB404_34
; %bb.2:
	s_wait_kmcnt 0x0
	v_cmp_neq_f64_e64 s2, s[12:13], 0
	v_cmp_neq_f64_e64 s3, s[14:15], 0
	s_or_b32 s2, s2, s3
.LBB404_3:
	s_delay_alu instid0(SALU_CYCLE_1)
	s_and_b32 vcc_lo, exec_lo, s2
	s_cbranch_vccz .LBB404_35
; %bb.4:
	s_load_b32 s27, s[0:1], 0x60
	s_bfe_u32 s2, ttmp6, 0x40014
	s_lshr_b32 s3, ttmp7, 16
	s_add_co_i32 s2, s2, 1
	s_wait_xcnt 0x0
	s_bfe_u32 s5, ttmp6, 0x40008
	s_mul_i32 s2, s3, s2
	s_getreg_b32 s4, hwreg(HW_REG_IB_STS2, 6, 4)
	s_add_co_i32 s5, s5, s2
	s_cmp_eq_u32 s4, 0
	s_mov_b32 s29, 0
	s_cselect_b32 s28, s3, s5
	s_wait_kmcnt 0x0
	s_cmp_ge_u32 s28, s27
	s_cbranch_scc1 .LBB404_35
; %bb.5:
	s_clause 0x3
	s_load_b32 s2, s[0:1], 0x18
	s_load_b32 s30, s[0:1], 0x30
	s_load_b96 s[24:26], s[0:1], 0x48
	s_load_b128 s[16:19], s[0:1], 0x20
	v_and_b32_e32 v10, 0x3ff, v0
	v_bfe_u32 v13, v0, 10, 10
	s_load_b64 s[34:35], s[0:1], 0x58
	s_wait_xcnt 0x0
	s_bfe_u32 s1, ttmp6, 0x4000c
	s_bfe_u32 s3, ttmp6, 0x40010
	s_and_b32 s36, ttmp7, 0xffff
	s_add_co_i32 s1, s1, 1
	s_add_co_i32 s3, s3, 1
	v_lshl_add_u32 v1, v13, 4, v10
	s_and_b32 s0, ttmp6, 15
	s_mul_i32 s1, ttmp9, s1
	s_mul_i32 s39, s36, s3
	s_bfe_u32 s40, ttmp6, 0x40004
	s_add_co_i32 s0, s0, s1
	s_add_co_i32 s40, s40, s39
	v_dual_lshrrev_b32 v46, 5, v1 :: v_dual_bitop2_b32 v5, 31, v1 bitop3:0x40
	s_wait_kmcnt 0x0
	s_ashr_i32 s3, s2, 31
	s_ashr_i32 s31, s30, 31
	;; [unrolled: 1-line block ×3, first 2 shown]
	s_cmp_eq_u32 s4, 0
	v_cmp_neq_f64_e64 s37, s[12:13], 0
	s_cselect_b32 s0, ttmp9, s0
	s_cselect_b32 s1, s36, s40
	s_lshl_b32 s36, s0, 5
	s_delay_alu instid0(SALU_CYCLE_1) | instskip(SKIP_2) | instid1(VALU_DEP_3)
	v_dual_mov_b32 v11, 0 :: v_dual_bitop2_b32 v2, s36, v5 bitop3:0x54
	v_cmp_neq_f64_e64 s38, s[14:15], 0
	v_dual_lshrrev_b32 v12, 3, v1 :: v_dual_bitop2_b32 v8, 7, v0 bitop3:0x40
	v_dual_mov_b32 v9, v11 :: v_dual_ashrrev_i32 v3, 31, v2
	s_lshl_b32 s0, s1, 5
	v_cmp_neq_f64_e64 s39, s[8:9], 0
	s_delay_alu instid0(VALU_DEP_3) | instskip(NEXT) | instid1(VALU_DEP_3)
	v_dual_add_nc_u32 v4, s0, v12 :: v_dual_add_nc_u32 v20, s0, v13
	v_mul_u64_e32 v[0:1], s[2:3], v[2:3]
	v_mul_u64_e32 v[6:7], s[30:31], v[8:9]
	v_dual_lshlrev_b32 v3, 4, v8 :: v_dual_lshlrev_b32 v5, 4, v5
	v_cmp_gt_i32_e64 s0, s22, v2
	v_dual_add_nc_u32 v2, 16, v20 :: v_dual_ashrrev_i32 v21, 31, v20
	s_delay_alu instid0(VALU_DEP_3) | instskip(SKIP_2) | instid1(VALU_DEP_3)
	v_lshl_or_b32 v12, v12, 7, v3
	s_mov_b32 s4, s26
	v_lshl_or_b32 v9, v46, 9, v5
	v_dual_ashrrev_i32 v3, 31, v2 :: v_dual_ashrrev_i32 v5, 31, v4
	v_mul_u64_e32 v[14:15], s[4:5], v[20:21]
	v_add_nc_u32_e32 v47, 0x1000, v12
	v_dual_add_nc_u32 v12, s36, v10 :: v_dual_lshlrev_b32 v48, 4, v10
	s_delay_alu instid0(VALU_DEP_4) | instskip(SKIP_1) | instid1(VALU_DEP_3)
	v_mul_u64_e32 v[16:17], s[4:5], v[2:3]
	v_cmp_gt_i32_e32 vcc_lo, s22, v20
	v_dual_lshlrev_b32 v10, 4, v46 :: v_dual_add_nc_u32 v18, 16, v12
	v_cmp_le_i32_e64 s2, v12, v20
	v_cmp_gt_i32_e64 s1, s22, v4
	v_lshl_add_u32 v49, v13, 7, 0x1000
	s_or_b32 s37, s37, s38
	s_cmp_gt_i32 s23, 0
	v_dual_ashrrev_i32 v13, 31, v12 :: v_dual_ashrrev_i32 v19, 31, v18
	s_cselect_b32 s38, -1, 0
	s_lshl_b64 s[4:5], s[16:17], 4
	s_xor_b32 s3, s33, -1
	s_and_b32 s33, vcc_lo, s2
	v_cmp_le_i32_e64 s2, v18, v20
	v_lshl_add_u64 v[0:1], v[0:1], 4, s[4:5]
	s_lshl_b64 s[4:5], s[20:21], 4
	s_or_b32 s26, s39, s3
	v_lshl_add_u64 v[6:7], v[6:7], 4, s[4:5]
	v_cmp_gt_i32_e64 s3, s22, v2
	v_add_nc_u64_e32 v[20:21], v[0:1], v[10:11]
	v_cmp_le_i32_e64 s4, v12, v2
	s_and_b32 s16, vcc_lo, s2
	v_lshl_add_u64 v[22:23], v[4:5], 4, v[6:7]
	v_cmp_le_i32_e32 vcc_lo, v18, v2
	s_and_b32 s20, s37, s38
	s_and_b32 s17, s3, s4
	v_or_b32_e32 v20, 8, v20
	v_or_b32_e32 v22, 8, v22
	s_and_b32 s21, s3, vcc_lo
	s_lshl_b64 s[2:3], s[30:31], 7
	s_lshl_b64 s[4:5], s[34:35], 4
	s_branch .LBB404_7
.LBB404_6:                              ;   in Loop: Header=BB404_7 Depth=1
	s_wait_xcnt 0x0
	s_or_b32 exec_lo, exec_lo, s22
	s_add_co_i32 s28, s28, 0x10000
	s_delay_alu instid0(SALU_CYCLE_1)
	s_cmp_lt_u32 s28, s27
	s_cbranch_scc0 .LBB404_35
.LBB404_7:                              ; =>This Loop Header: Depth=1
                                        ;     Child Loop BB404_10 Depth 2
	v_mov_b32_e32 v0, s28
	v_mov_b64_e32 v[42:43], 0
	v_mov_b64_e32 v[44:45], 0
	;; [unrolled: 1-line block ×4, first 2 shown]
	global_load_b64 v[28:29], v0, s[24:25] scale_offset
	v_mov_b64_e32 v[30:31], 0
	v_mov_b64_e32 v[32:33], 0
	;; [unrolled: 1-line block ×4, first 2 shown]
	s_and_not1_b32 vcc_lo, exec_lo, s20
	s_cbranch_vccnz .LBB404_14
; %bb.8:                                ;   in Loop: Header=BB404_7 Depth=1
	s_lshl_b64 s[30:31], s[28:29], 3
	v_mov_b64_e32 v[26:27], 0
	s_add_nc_u64 s[34:35], s[6:7], s[30:31]
	s_add_nc_u64 s[30:31], s[18:19], s[30:31]
	s_clause 0x1
	global_load_b64 v[0:1], v11, s[34:35]
	global_load_b64 v[2:3], v11, s[30:31]
	v_mov_b64_e32 v[24:25], 0
	v_mov_b64_e32 v[32:33], 0
	;; [unrolled: 1-line block ×7, first 2 shown]
	s_mov_b32 s22, 0
	s_wait_loadcnt 0x1
	v_add_nc_u64_e32 v[34:35], v[0:1], v[20:21]
	s_wait_loadcnt 0x0
	v_add_nc_u64_e32 v[36:37], v[2:3], v[22:23]
	s_branch .LBB404_10
.LBB404_9:                              ;   in Loop: Header=BB404_10 Depth=2
	s_wait_xcnt 0x0
	s_or_b32 exec_lo, exec_lo, s30
	ds_store_b128 v47, v[4:7]
	s_wait_dscnt 0x0
	s_barrier_signal -1
	s_barrier_wait -1
	ds_load_b128 v[0:3], v49
	ds_load_b128 v[4:7], v48
	ds_load_b128 v[50:53], v48 offset:256
	ds_load_b128 v[54:57], v49 offset:2048
	;; [unrolled: 1-line block ×10, first 2 shown]
	v_add_nc_u64_e32 v[34:35], 0x80, v[34:35]
	v_add_nc_u64_e32 v[36:37], s[2:3], v[36:37]
	s_add_co_i32 s22, s22, 8
	s_delay_alu instid0(SALU_CYCLE_1)
	s_cmp_lt_i32 s22, s23
	s_wait_dscnt 0xa
	v_mul_f64_e32 v[90:91], v[2:3], v[6:7]
	v_mul_f64_e32 v[92:93], v[0:1], v[6:7]
	s_wait_dscnt 0x9
	v_mul_f64_e32 v[94:95], v[2:3], v[52:53]
	v_mul_f64_e32 v[96:97], v[0:1], v[52:53]
	s_wait_dscnt 0x8
	v_mul_f64_e32 v[98:99], v[56:57], v[6:7]
	v_mul_f64_e32 v[100:101], v[54:55], v[6:7]
	v_mul_f64_e32 v[6:7], v[56:57], v[52:53]
	v_mul_f64_e32 v[102:103], v[54:55], v[52:53]
	s_wait_dscnt 0x6
	v_mul_f64_e32 v[104:105], v[60:61], v[64:65]
	v_mul_f64_e32 v[106:107], v[58:59], v[64:65]
	s_wait_dscnt 0x5
	v_mul_f64_e32 v[108:109], v[60:61], v[68:69]
	v_mul_f64_e32 v[110:111], v[58:59], v[68:69]
	s_wait_dscnt 0x4
	v_mul_f64_e32 v[112:113], v[72:73], v[64:65]
	v_mul_f64_e32 v[64:65], v[70:71], v[64:65]
	v_mul_f64_e32 v[114:115], v[72:73], v[68:69]
	v_mul_f64_e32 v[68:69], v[70:71], v[68:69]
	;; [unrolled: 11-line block ×3, first 2 shown]
	v_fma_f64 v[90:91], v[0:1], v[4:5], -v[90:91]
	v_fmac_f64_e32 v[92:93], v[2:3], v[4:5]
	v_fma_f64 v[94:95], v[0:1], v[50:51], -v[94:95]
	v_fmac_f64_e32 v[96:97], v[2:3], v[50:51]
	;; [unrolled: 2-line block ×8, first 2 shown]
	ds_load_b128 v[0:3], v49 offset:48
	ds_load_b128 v[4:7], v49 offset:2096
	;; [unrolled: 1-line block ×4, first 2 shown]
	v_fma_f64 v[118:119], v[74:75], v[78:79], -v[118:119]
	v_fmac_f64_e32 v[120:121], v[76:77], v[78:79]
	v_fma_f64 v[74:75], v[74:75], v[82:83], -v[122:123]
	v_fmac_f64_e32 v[124:125], v[76:77], v[82:83]
	v_fma_f64 v[76:77], v[86:87], v[78:79], -v[126:127]
	v_fmac_f64_e32 v[80:81], v[88:89], v[78:79]
	v_fma_f64 v[78:79], v[86:87], v[82:83], -v[128:129]
	v_fmac_f64_e32 v[84:85], v[88:89], v[82:83]
	v_add_f64_e32 v[66:67], v[42:43], v[90:91]
	v_add_f64_e32 v[70:71], v[92:93], v[44:45]
	;; [unrolled: 1-line block ×8, first 2 shown]
	s_wait_dscnt 0x1
	v_mul_f64_e32 v[100:101], v[2:3], v[52:53]
	v_mul_f64_e32 v[102:103], v[0:1], v[52:53]
	s_wait_dscnt 0x0
	v_mul_f64_e32 v[108:109], v[2:3], v[56:57]
	v_mul_f64_e32 v[112:113], v[0:1], v[56:57]
	;; [unrolled: 1-line block ×6, first 2 shown]
	ds_load_b128 v[24:27], v49 offset:64
	ds_load_b128 v[30:33], v48 offset:2048
	;; [unrolled: 1-line block ×4, first 2 shown]
	v_add_f64_e32 v[82:83], v[66:67], v[104:105]
	v_add_f64_e32 v[86:87], v[106:107], v[70:71]
	;; [unrolled: 1-line block ×8, first 2 shown]
	s_wait_dscnt 0x2
	v_mul_f64_e32 v[98:99], v[26:27], v[32:33]
	v_mul_f64_e32 v[104:105], v[24:25], v[32:33]
	s_wait_dscnt 0x1
	v_mul_f64_e32 v[106:107], v[26:27], v[40:41]
	v_mul_f64_e32 v[110:111], v[24:25], v[40:41]
	;; [unrolled: 3-line block ×3, first 2 shown]
	v_mul_f64_e32 v[32:33], v[44:45], v[40:41]
	v_mul_f64_e32 v[128:129], v[42:43], v[40:41]
	v_fma_f64 v[40:41], v[0:1], v[50:51], -v[100:101]
	v_fmac_f64_e32 v[102:103], v[2:3], v[50:51]
	v_fma_f64 v[100:101], v[0:1], v[54:55], -v[108:109]
	v_fmac_f64_e32 v[112:113], v[2:3], v[54:55]
	;; [unrolled: 2-line block ×4, first 2 shown]
	ds_load_b128 v[56:59], v49 offset:80
	ds_load_b128 v[60:63], v49 offset:2128
	;; [unrolled: 1-line block ×4, first 2 shown]
	v_add_f64_e32 v[54:55], v[82:83], v[118:119]
	v_add_f64_e32 v[82:83], v[120:121], v[86:87]
	v_add_f64_e32 v[86:87], v[72:73], v[74:75]
	v_add_f64_e32 v[88:89], v[124:125], v[88:89]
	v_add_f64_e32 v[76:77], v[90:91], v[76:77]
	v_add_f64_e32 v[80:81], v[80:81], v[92:93]
	v_add_f64_e32 v[78:79], v[94:95], v[78:79]
	v_add_f64_e32 v[84:85], v[84:85], v[96:97]
	v_fma_f64 v[98:99], v[24:25], v[30:31], -v[98:99]
	v_fmac_f64_e32 v[104:105], v[26:27], v[30:31]
	v_fma_f64 v[106:107], v[24:25], v[38:39], -v[106:107]
	s_wait_dscnt 0x1
	v_mul_f64_e32 v[90:91], v[58:59], v[66:67]
	v_mul_f64_e32 v[92:93], v[56:57], v[66:67]
	s_wait_dscnt 0x0
	v_mul_f64_e32 v[94:95], v[58:59], v[70:71]
	v_mul_f64_e32 v[96:97], v[56:57], v[70:71]
	;; [unrolled: 1-line block ×6, first 2 shown]
	v_fmac_f64_e32 v[110:111], v[26:27], v[38:39]
	v_fma_f64 v[122:123], v[42:43], v[30:31], -v[122:123]
	v_fmac_f64_e32 v[126:127], v[44:45], v[30:31]
	v_fma_f64 v[124:125], v[42:43], v[38:39], -v[32:33]
	v_fmac_f64_e32 v[128:129], v[44:45], v[38:39]
	ds_load_b128 v[0:3], v49 offset:96
	ds_load_b128 v[4:7], v48 offset:3072
	;; [unrolled: 1-line block ×4, first 2 shown]
	v_add_f64_e32 v[54:55], v[54:55], v[40:41]
	v_add_f64_e32 v[82:83], v[102:103], v[82:83]
	;; [unrolled: 1-line block ×8, first 2 shown]
	ds_load_b128 v[24:27], v49 offset:112
	ds_load_b128 v[30:33], v49 offset:2160
	;; [unrolled: 1-line block ×4, first 2 shown]
	s_wait_dscnt 0x0
	v_mul_f64_e32 v[100:101], v[2:3], v[6:7]
	v_mul_f64_e32 v[102:103], v[0:1], v[6:7]
	;; [unrolled: 1-line block ×8, first 2 shown]
	v_fma_f64 v[90:91], v[56:57], v[64:65], -v[90:91]
	v_fmac_f64_e32 v[92:93], v[58:59], v[64:65]
	v_fma_f64 v[56:57], v[56:57], v[68:69], -v[94:95]
	v_fmac_f64_e32 v[96:97], v[58:59], v[68:69]
	;; [unrolled: 2-line block ×4, first 2 shown]
	s_barrier_signal -1
	s_barrier_wait -1
	v_mul_f64_e32 v[94:95], v[24:25], v[44:45]
	v_add_f64_e32 v[54:55], v[54:55], v[98:99]
	v_add_f64_e32 v[62:63], v[104:105], v[82:83]
	;; [unrolled: 1-line block ×8, first 2 shown]
	v_mul_f64_e32 v[84:85], v[26:27], v[40:41]
	v_mul_f64_e32 v[86:87], v[24:25], v[40:41]
	;; [unrolled: 1-line block ×7, first 2 shown]
	v_fma_f64 v[44:45], v[0:1], v[4:5], -v[100:101]
	v_fmac_f64_e32 v[102:103], v[2:3], v[4:5]
	v_fma_f64 v[0:1], v[0:1], v[50:51], -v[108:109]
	v_fmac_f64_e32 v[112:113], v[2:3], v[50:51]
	;; [unrolled: 2-line block ×4, first 2 shown]
	v_fmac_f64_e32 v[94:95], v[26:27], v[42:43]
	v_add_f64_e32 v[50:51], v[54:55], v[90:91]
	v_add_f64_e32 v[54:55], v[92:93], v[62:63]
	;; [unrolled: 1-line block ×8, first 2 shown]
	v_fma_f64 v[68:69], v[24:25], v[38:39], -v[84:85]
	v_fmac_f64_e32 v[86:87], v[26:27], v[38:39]
	v_fma_f64 v[24:25], v[24:25], v[42:43], -v[88:89]
	v_fma_f64 v[26:27], v[30:31], v[38:39], -v[98:99]
	v_fmac_f64_e32 v[104:105], v[32:33], v[38:39]
	v_fma_f64 v[70:71], v[30:31], v[42:43], -v[40:41]
	v_fmac_f64_e32 v[106:107], v[32:33], v[42:43]
	v_add_f64_e32 v[30:31], v[50:51], v[44:45]
	v_add_f64_e32 v[32:33], v[102:103], v[54:55]
	;; [unrolled: 1-line block ×16, first 2 shown]
	s_cbranch_scc0 .LBB404_14
.LBB404_10:                             ;   Parent Loop BB404_7 Depth=1
                                        ; =>  This Inner Loop Header: Depth=2
	v_add_nc_u32_e32 v2, s22, v46
	v_mov_b64_e32 v[0:1], 0
	s_delay_alu instid0(VALU_DEP_2) | instskip(SKIP_3) | instid1(SALU_CYCLE_1)
	v_cmp_gt_i32_e32 vcc_lo, s23, v2
	v_mov_b64_e32 v[2:3], 0
	s_wait_xcnt 0x0
	s_and_b32 s31, s0, vcc_lo
	s_and_saveexec_b32 s30, s31
	s_cbranch_execz .LBB404_12
; %bb.11:                               ;   in Loop: Header=BB404_10 Depth=2
	flat_load_b128 v[0:3], v[34:35] offset:-8
	s_wait_loadcnt_dscnt 0x0
	v_xor_b32_e32 v3, 0x80000000, v3
.LBB404_12:                             ;   in Loop: Header=BB404_10 Depth=2
	s_wait_xcnt 0x0
	s_or_b32 exec_lo, exec_lo, s30
	v_add_nc_u32_e32 v6, s22, v8
	v_mov_b64_e32 v[4:5], 0
	ds_store_b128 v9, v[0:3]
	v_cmp_gt_i32_e32 vcc_lo, s23, v6
	v_mov_b64_e32 v[6:7], 0
	s_and_b32 s31, vcc_lo, s1
	s_delay_alu instid0(SALU_CYCLE_1)
	s_and_saveexec_b32 s30, s31
	s_cbranch_execz .LBB404_9
; %bb.13:                               ;   in Loop: Header=BB404_10 Depth=2
	flat_load_b128 v[4:7], v[36:37] offset:-8
	s_wait_loadcnt_dscnt 0x0
	v_xor_b32_e32 v7, 0x80000000, v7
	s_branch .LBB404_9
.LBB404_14:                             ;   in Loop: Header=BB404_7 Depth=1
	s_wait_loadcnt 0x0
	v_add_nc_u64_e32 v[4:5], s[4:5], v[28:29]
	s_delay_alu instid0(VALU_DEP_1)
	v_lshl_add_u64 v[6:7], v[14:15], 4, v[4:5]
	s_wait_xcnt 0x0
	s_and_saveexec_b32 s22, s33
	s_cbranch_execz .LBB404_19
; %bb.15:                               ;   in Loop: Header=BB404_7 Depth=1
	v_mul_f64_e32 v[0:1], s[14:15], v[44:45]
	v_mul_f64_e32 v[2:3], s[12:13], v[44:45]
	v_lshl_add_u64 v[28:29], v[12:13], 4, v[6:7]
	s_and_b32 vcc_lo, exec_lo, s26
	s_mov_b32 s30, -1
	s_delay_alu instid0(VALU_DEP_3) | instskip(NEXT) | instid1(VALU_DEP_3)
	v_fma_f64 v[0:1], s[12:13], v[42:43], -v[0:1]
	v_fmac_f64_e32 v[2:3], s[14:15], v[42:43]
	s_cbranch_vccz .LBB404_17
; %bb.16:                               ;   in Loop: Header=BB404_7 Depth=1
	flat_load_b128 v[34:37], v[28:29]
	s_mov_b32 s30, 0
	s_wait_loadcnt_dscnt 0x0
	v_mul_f64_e32 v[42:43], s[10:11], v[36:37]
	v_mul_f64_e32 v[36:37], s[8:9], v[36:37]
	s_delay_alu instid0(VALU_DEP_2) | instskip(NEXT) | instid1(VALU_DEP_2)
	v_fma_f64 v[42:43], s[8:9], v[34:35], -v[42:43]
	v_fmac_f64_e32 v[36:37], s[10:11], v[34:35]
	s_delay_alu instid0(VALU_DEP_2) | instskip(NEXT) | instid1(VALU_DEP_2)
	v_add_f64_e32 v[34:35], v[0:1], v[42:43]
	v_add_f64_e32 v[36:37], v[2:3], v[36:37]
	flat_store_b128 v[28:29], v[34:37]
.LBB404_17:                             ;   in Loop: Header=BB404_7 Depth=1
	s_and_not1_b32 vcc_lo, exec_lo, s30
	s_cbranch_vccnz .LBB404_19
; %bb.18:                               ;   in Loop: Header=BB404_7 Depth=1
	flat_store_b128 v[28:29], v[0:3]
.LBB404_19:                             ;   in Loop: Header=BB404_7 Depth=1
	s_wait_xcnt 0x0
	s_or_b32 exec_lo, exec_lo, s22
	s_and_saveexec_b32 s22, s16
	s_cbranch_execz .LBB404_24
; %bb.20:                               ;   in Loop: Header=BB404_7 Depth=1
	v_mul_f64_e32 v[0:1], s[14:15], v[40:41]
	v_mul_f64_e32 v[2:3], s[12:13], v[40:41]
	v_lshl_add_u64 v[6:7], v[18:19], 4, v[6:7]
	s_and_not1_b32 vcc_lo, exec_lo, s26
	s_mov_b32 s30, -1
	s_delay_alu instid0(VALU_DEP_3) | instskip(NEXT) | instid1(VALU_DEP_3)
	v_fma_f64 v[0:1], s[12:13], v[38:39], -v[0:1]
	v_fmac_f64_e32 v[2:3], s[14:15], v[38:39]
	s_cbranch_vccnz .LBB404_22
; %bb.21:                               ;   in Loop: Header=BB404_7 Depth=1
	flat_load_b128 v[34:37], v[6:7]
	s_mov_b32 s30, 0
	s_wait_loadcnt_dscnt 0x0
	v_mul_f64_e32 v[28:29], s[10:11], v[36:37]
	v_mul_f64_e32 v[36:37], s[8:9], v[36:37]
	s_delay_alu instid0(VALU_DEP_2) | instskip(NEXT) | instid1(VALU_DEP_2)
	v_fma_f64 v[28:29], s[8:9], v[34:35], -v[28:29]
	v_fmac_f64_e32 v[36:37], s[10:11], v[34:35]
	s_delay_alu instid0(VALU_DEP_2) | instskip(NEXT) | instid1(VALU_DEP_2)
	v_add_f64_e32 v[34:35], v[0:1], v[28:29]
	v_add_f64_e32 v[36:37], v[2:3], v[36:37]
	flat_store_b128 v[6:7], v[34:37]
.LBB404_22:                             ;   in Loop: Header=BB404_7 Depth=1
	s_and_not1_b32 vcc_lo, exec_lo, s30
	s_cbranch_vccnz .LBB404_24
; %bb.23:                               ;   in Loop: Header=BB404_7 Depth=1
	flat_store_b128 v[6:7], v[0:3]
.LBB404_24:                             ;   in Loop: Header=BB404_7 Depth=1
	s_wait_xcnt 0x0
	s_or_b32 exec_lo, exec_lo, s22
	v_lshl_add_u64 v[4:5], v[16:17], 4, v[4:5]
	s_and_saveexec_b32 s22, s17
	s_cbranch_execz .LBB404_29
; %bb.25:                               ;   in Loop: Header=BB404_7 Depth=1
	v_mul_f64_e32 v[0:1], s[14:15], v[32:33]
	v_mul_f64_e32 v[2:3], s[12:13], v[32:33]
	v_lshl_add_u64 v[6:7], v[12:13], 4, v[4:5]
	s_and_not1_b32 vcc_lo, exec_lo, s26
	s_mov_b32 s30, -1
	s_delay_alu instid0(VALU_DEP_3) | instskip(NEXT) | instid1(VALU_DEP_3)
	v_fma_f64 v[0:1], s[12:13], v[30:31], -v[0:1]
	v_fmac_f64_e32 v[2:3], s[14:15], v[30:31]
	s_cbranch_vccnz .LBB404_27
; %bb.26:                               ;   in Loop: Header=BB404_7 Depth=1
	flat_load_b128 v[28:31], v[6:7]
	s_mov_b32 s30, 0
	s_wait_loadcnt_dscnt 0x0
	v_mul_f64_e32 v[32:33], s[10:11], v[30:31]
	v_mul_f64_e32 v[30:31], s[8:9], v[30:31]
	s_delay_alu instid0(VALU_DEP_2) | instskip(NEXT) | instid1(VALU_DEP_2)
	v_fma_f64 v[32:33], s[8:9], v[28:29], -v[32:33]
	v_fmac_f64_e32 v[30:31], s[10:11], v[28:29]
	s_delay_alu instid0(VALU_DEP_2) | instskip(NEXT) | instid1(VALU_DEP_2)
	v_add_f64_e32 v[28:29], v[0:1], v[32:33]
	v_add_f64_e32 v[30:31], v[2:3], v[30:31]
	flat_store_b128 v[6:7], v[28:31]
.LBB404_27:                             ;   in Loop: Header=BB404_7 Depth=1
	s_and_not1_b32 vcc_lo, exec_lo, s30
	s_cbranch_vccnz .LBB404_29
; %bb.28:                               ;   in Loop: Header=BB404_7 Depth=1
	flat_store_b128 v[6:7], v[0:3]
.LBB404_29:                             ;   in Loop: Header=BB404_7 Depth=1
	s_wait_xcnt 0x0
	s_or_b32 exec_lo, exec_lo, s22
	s_and_saveexec_b32 s22, s21
	s_cbranch_execz .LBB404_6
; %bb.30:                               ;   in Loop: Header=BB404_7 Depth=1
	s_delay_alu instid0(VALU_DEP_4) | instskip(SKIP_4) | instid1(VALU_DEP_3)
	v_mul_f64_e32 v[0:1], s[14:15], v[26:27]
	v_mul_f64_e32 v[2:3], s[12:13], v[26:27]
	v_lshl_add_u64 v[4:5], v[18:19], 4, v[4:5]
	s_and_not1_b32 vcc_lo, exec_lo, s26
	s_mov_b32 s30, -1
	v_fma_f64 v[0:1], s[12:13], v[24:25], -v[0:1]
	s_delay_alu instid0(VALU_DEP_3)
	v_fmac_f64_e32 v[2:3], s[14:15], v[24:25]
	s_cbranch_vccnz .LBB404_32
; %bb.31:                               ;   in Loop: Header=BB404_7 Depth=1
	flat_load_b128 v[24:27], v[4:5]
	s_mov_b32 s30, 0
	s_wait_loadcnt_dscnt 0x0
	v_mul_f64_e32 v[6:7], s[10:11], v[26:27]
	v_mul_f64_e32 v[26:27], s[8:9], v[26:27]
	s_delay_alu instid0(VALU_DEP_2) | instskip(NEXT) | instid1(VALU_DEP_2)
	v_fma_f64 v[6:7], s[8:9], v[24:25], -v[6:7]
	v_fmac_f64_e32 v[26:27], s[10:11], v[24:25]
	s_delay_alu instid0(VALU_DEP_2) | instskip(NEXT) | instid1(VALU_DEP_2)
	v_add_f64_e32 v[24:25], v[0:1], v[6:7]
	v_add_f64_e32 v[26:27], v[2:3], v[26:27]
	flat_store_b128 v[4:5], v[24:27]
.LBB404_32:                             ;   in Loop: Header=BB404_7 Depth=1
	s_and_not1_b32 vcc_lo, exec_lo, s30
	s_cbranch_vccnz .LBB404_6
; %bb.33:                               ;   in Loop: Header=BB404_7 Depth=1
	flat_store_b128 v[4:5], v[0:3]
	s_branch .LBB404_6
.LBB404_34:
.LBB404_35:
	s_sendmsg sendmsg(MSG_DEALLOC_VGPRS)
	s_endpgm
	.section	.rodata,"a",@progbits
	.p2align	6, 0x0
	.amdhsa_kernel _ZL29rocblas_internal_gemmt_kernelIiLi16ELi32ELi8ELc67ELc67ELc85ELb1ELb1E19rocblas_complex_numIdEPKS1_PKS3_PKPS1_EviT_T9_T10_S9_lSB_S9_lSA_T11_S9_li
		.amdhsa_group_segment_fixed_size 8192
		.amdhsa_private_segment_fixed_size 0
		.amdhsa_kernarg_size 100
		.amdhsa_user_sgpr_count 2
		.amdhsa_user_sgpr_dispatch_ptr 0
		.amdhsa_user_sgpr_queue_ptr 0
		.amdhsa_user_sgpr_kernarg_segment_ptr 1
		.amdhsa_user_sgpr_dispatch_id 0
		.amdhsa_user_sgpr_kernarg_preload_length 0
		.amdhsa_user_sgpr_kernarg_preload_offset 0
		.amdhsa_user_sgpr_private_segment_size 0
		.amdhsa_wavefront_size32 1
		.amdhsa_uses_dynamic_stack 0
		.amdhsa_enable_private_segment 0
		.amdhsa_system_sgpr_workgroup_id_x 1
		.amdhsa_system_sgpr_workgroup_id_y 1
		.amdhsa_system_sgpr_workgroup_id_z 1
		.amdhsa_system_sgpr_workgroup_info 0
		.amdhsa_system_vgpr_workitem_id 1
		.amdhsa_next_free_vgpr 132
		.amdhsa_next_free_sgpr 41
		.amdhsa_named_barrier_count 0
		.amdhsa_reserve_vcc 1
		.amdhsa_float_round_mode_32 0
		.amdhsa_float_round_mode_16_64 0
		.amdhsa_float_denorm_mode_32 3
		.amdhsa_float_denorm_mode_16_64 3
		.amdhsa_fp16_overflow 0
		.amdhsa_memory_ordered 1
		.amdhsa_forward_progress 1
		.amdhsa_inst_pref_size 24
		.amdhsa_round_robin_scheduling 0
		.amdhsa_exception_fp_ieee_invalid_op 0
		.amdhsa_exception_fp_denorm_src 0
		.amdhsa_exception_fp_ieee_div_zero 0
		.amdhsa_exception_fp_ieee_overflow 0
		.amdhsa_exception_fp_ieee_underflow 0
		.amdhsa_exception_fp_ieee_inexact 0
		.amdhsa_exception_int_div_zero 0
	.end_amdhsa_kernel
	.section	.text._ZL29rocblas_internal_gemmt_kernelIiLi16ELi32ELi8ELc67ELc67ELc85ELb1ELb1E19rocblas_complex_numIdEPKS1_PKS3_PKPS1_EviT_T9_T10_S9_lSB_S9_lSA_T11_S9_li,"axG",@progbits,_ZL29rocblas_internal_gemmt_kernelIiLi16ELi32ELi8ELc67ELc67ELc85ELb1ELb1E19rocblas_complex_numIdEPKS1_PKS3_PKPS1_EviT_T9_T10_S9_lSB_S9_lSA_T11_S9_li,comdat
.Lfunc_end404:
	.size	_ZL29rocblas_internal_gemmt_kernelIiLi16ELi32ELi8ELc67ELc67ELc85ELb1ELb1E19rocblas_complex_numIdEPKS1_PKS3_PKPS1_EviT_T9_T10_S9_lSB_S9_lSA_T11_S9_li, .Lfunc_end404-_ZL29rocblas_internal_gemmt_kernelIiLi16ELi32ELi8ELc67ELc67ELc85ELb1ELb1E19rocblas_complex_numIdEPKS1_PKS3_PKPS1_EviT_T9_T10_S9_lSB_S9_lSA_T11_S9_li
                                        ; -- End function
	.set _ZL29rocblas_internal_gemmt_kernelIiLi16ELi32ELi8ELc67ELc67ELc85ELb1ELb1E19rocblas_complex_numIdEPKS1_PKS3_PKPS1_EviT_T9_T10_S9_lSB_S9_lSA_T11_S9_li.num_vgpr, 132
	.set _ZL29rocblas_internal_gemmt_kernelIiLi16ELi32ELi8ELc67ELc67ELc85ELb1ELb1E19rocblas_complex_numIdEPKS1_PKS3_PKPS1_EviT_T9_T10_S9_lSB_S9_lSA_T11_S9_li.num_agpr, 0
	.set _ZL29rocblas_internal_gemmt_kernelIiLi16ELi32ELi8ELc67ELc67ELc85ELb1ELb1E19rocblas_complex_numIdEPKS1_PKS3_PKPS1_EviT_T9_T10_S9_lSB_S9_lSA_T11_S9_li.numbered_sgpr, 41
	.set _ZL29rocblas_internal_gemmt_kernelIiLi16ELi32ELi8ELc67ELc67ELc85ELb1ELb1E19rocblas_complex_numIdEPKS1_PKS3_PKPS1_EviT_T9_T10_S9_lSB_S9_lSA_T11_S9_li.num_named_barrier, 0
	.set _ZL29rocblas_internal_gemmt_kernelIiLi16ELi32ELi8ELc67ELc67ELc85ELb1ELb1E19rocblas_complex_numIdEPKS1_PKS3_PKPS1_EviT_T9_T10_S9_lSB_S9_lSA_T11_S9_li.private_seg_size, 0
	.set _ZL29rocblas_internal_gemmt_kernelIiLi16ELi32ELi8ELc67ELc67ELc85ELb1ELb1E19rocblas_complex_numIdEPKS1_PKS3_PKPS1_EviT_T9_T10_S9_lSB_S9_lSA_T11_S9_li.uses_vcc, 1
	.set _ZL29rocblas_internal_gemmt_kernelIiLi16ELi32ELi8ELc67ELc67ELc85ELb1ELb1E19rocblas_complex_numIdEPKS1_PKS3_PKPS1_EviT_T9_T10_S9_lSB_S9_lSA_T11_S9_li.uses_flat_scratch, 0
	.set _ZL29rocblas_internal_gemmt_kernelIiLi16ELi32ELi8ELc67ELc67ELc85ELb1ELb1E19rocblas_complex_numIdEPKS1_PKS3_PKPS1_EviT_T9_T10_S9_lSB_S9_lSA_T11_S9_li.has_dyn_sized_stack, 0
	.set _ZL29rocblas_internal_gemmt_kernelIiLi16ELi32ELi8ELc67ELc67ELc85ELb1ELb1E19rocblas_complex_numIdEPKS1_PKS3_PKPS1_EviT_T9_T10_S9_lSB_S9_lSA_T11_S9_li.has_recursion, 0
	.set _ZL29rocblas_internal_gemmt_kernelIiLi16ELi32ELi8ELc67ELc67ELc85ELb1ELb1E19rocblas_complex_numIdEPKS1_PKS3_PKPS1_EviT_T9_T10_S9_lSB_S9_lSA_T11_S9_li.has_indirect_call, 0
	.section	.AMDGPU.csdata,"",@progbits
; Kernel info:
; codeLenInByte = 2984
; TotalNumSgprs: 43
; NumVgprs: 132
; ScratchSize: 0
; MemoryBound: 1
; FloatMode: 240
; IeeeMode: 1
; LDSByteSize: 8192 bytes/workgroup (compile time only)
; SGPRBlocks: 0
; VGPRBlocks: 8
; NumSGPRsForWavesPerEU: 43
; NumVGPRsForWavesPerEU: 132
; NamedBarCnt: 0
; Occupancy: 7
; WaveLimiterHint : 1
; COMPUTE_PGM_RSRC2:SCRATCH_EN: 0
; COMPUTE_PGM_RSRC2:USER_SGPR: 2
; COMPUTE_PGM_RSRC2:TRAP_HANDLER: 0
; COMPUTE_PGM_RSRC2:TGID_X_EN: 1
; COMPUTE_PGM_RSRC2:TGID_Y_EN: 1
; COMPUTE_PGM_RSRC2:TGID_Z_EN: 1
; COMPUTE_PGM_RSRC2:TIDIG_COMP_CNT: 1
	.section	.text._ZL29rocblas_internal_gemmt_kernelIiLi16ELi32ELi8ELc78ELc78ELc76ELb0ELb0E19rocblas_complex_numIdEPKS1_PKS3_PKPS1_EviT_T9_T10_S9_lSB_S9_lSA_T11_S9_li,"axG",@progbits,_ZL29rocblas_internal_gemmt_kernelIiLi16ELi32ELi8ELc78ELc78ELc76ELb0ELb0E19rocblas_complex_numIdEPKS1_PKS3_PKPS1_EviT_T9_T10_S9_lSB_S9_lSA_T11_S9_li,comdat
	.globl	_ZL29rocblas_internal_gemmt_kernelIiLi16ELi32ELi8ELc78ELc78ELc76ELb0ELb0E19rocblas_complex_numIdEPKS1_PKS3_PKPS1_EviT_T9_T10_S9_lSB_S9_lSA_T11_S9_li ; -- Begin function _ZL29rocblas_internal_gemmt_kernelIiLi16ELi32ELi8ELc78ELc78ELc76ELb0ELb0E19rocblas_complex_numIdEPKS1_PKS3_PKPS1_EviT_T9_T10_S9_lSB_S9_lSA_T11_S9_li
	.p2align	8
	.type	_ZL29rocblas_internal_gemmt_kernelIiLi16ELi32ELi8ELc78ELc78ELc76ELb0ELb0E19rocblas_complex_numIdEPKS1_PKS3_PKPS1_EviT_T9_T10_S9_lSB_S9_lSA_T11_S9_li,@function
_ZL29rocblas_internal_gemmt_kernelIiLi16ELi32ELi8ELc78ELc78ELc76ELb0ELb0E19rocblas_complex_numIdEPKS1_PKS3_PKPS1_EviT_T9_T10_S9_lSB_S9_lSA_T11_S9_li: ; @_ZL29rocblas_internal_gemmt_kernelIiLi16ELi32ELi8ELc78ELc78ELc76ELb0ELb0E19rocblas_complex_numIdEPKS1_PKS3_PKPS1_EviT_T9_T10_S9_lSB_S9_lSA_T11_S9_li
; %bb.0:
	s_load_b128 s[20:23], s[0:1], 0x38
	s_wait_kmcnt 0x0
	s_load_b128 s[8:11], s[22:23], 0x0
	s_load_b128 s[4:7], s[0:1], 0x8
	s_wait_xcnt 0x0
	s_load_b64 s[22:23], s[0:1], 0x0
	s_wait_kmcnt 0x0
	v_cmp_eq_f64_e64 s2, s[8:9], 1.0
	v_cmp_eq_f64_e64 s27, s[10:11], 0
	s_load_b128 s[12:15], s[4:5], 0x0
	s_and_b32 s2, s2, s27
	s_delay_alu instid0(SALU_CYCLE_1)
	s_and_not1_b32 vcc_lo, exec_lo, s2
	s_mov_b32 s2, -1
	s_cbranch_vccnz .LBB405_3
; %bb.1:
	s_cmp_lg_u32 s23, 0
	s_cbranch_scc0 .LBB405_38
; %bb.2:
	s_wait_kmcnt 0x0
	v_cmp_neq_f64_e64 s2, s[12:13], 0
	v_cmp_neq_f64_e64 s3, s[14:15], 0
	s_or_b32 s2, s2, s3
.LBB405_3:
	s_delay_alu instid0(SALU_CYCLE_1)
	s_and_b32 vcc_lo, exec_lo, s2
	s_cbranch_vccz .LBB405_39
; %bb.4:
	s_wait_xcnt 0x0
	s_load_b32 s5, s[0:1], 0x60
	s_bfe_u32 s2, ttmp6, 0x40014
	s_lshr_b32 s3, ttmp7, 16
	s_add_co_i32 s2, s2, 1
	s_bfe_u32 s16, ttmp6, 0x40008
	s_mul_i32 s2, s3, s2
	s_getreg_b32 s4, hwreg(HW_REG_IB_STS2, 6, 4)
	s_add_co_i32 s16, s16, s2
	s_cmp_eq_u32 s4, 0
	s_mov_b32 s29, 0
	s_cselect_b32 s28, s3, s16
	s_wait_kmcnt 0x0
	s_cmp_ge_u32 s28, s5
	s_cbranch_scc1 .LBB405_39
; %bb.5:
	s_clause 0x3
	s_load_b32 s30, s[0:1], 0x18
	s_load_b32 s2, s[0:1], 0x30
	s_load_b96 s[24:26], s[0:1], 0x48
	s_load_b128 s[16:19], s[0:1], 0x20
	v_and_b32_e32 v1, 0x3ff, v0
	v_bfe_u32 v5, v0, 10, 10
	s_load_b64 s[34:35], s[0:1], 0x58
	s_wait_xcnt 0x0
	s_bfe_u32 s1, ttmp6, 0x4000c
	s_bfe_u32 s39, ttmp6, 0x40010
	s_add_co_i32 s1, s1, 1
	s_add_co_i32 s39, s39, 1
	v_and_b32_e32 v40, 7, v0
	v_lshl_add_u32 v0, v5, 4, v1
	s_and_b32 s0, ttmp6, 15
	s_mul_i32 s1, ttmp9, s1
	s_bfe_u32 s40, ttmp6, 0x40004
	s_add_co_i32 s0, s0, s1
	v_dual_lshrrev_b32 v8, 3, v0 :: v_dual_bitop2_b32 v9, 31, v0 bitop3:0x40
	v_lshrrev_b32_e32 v6, 5, v0
	s_wait_kmcnt 0x0
	s_ashr_i32 s31, s30, 31
	s_ashr_i32 s3, s2, 31
	;; [unrolled: 1-line block ×3, first 2 shown]
	s_mov_b32 s36, s26
	s_and_b32 s26, ttmp7, 0xffff
	v_cmp_neq_f64_e64 s33, s[12:13], 0
	s_mul_i32 s39, s26, s39
	v_cmp_neq_f64_e64 s38, s[14:15], 0
	s_add_co_i32 s40, s40, s39
	s_cmp_eq_u32 s4, 0
	v_lshl_add_u32 v43, v5, 7, 0x1000
	s_cselect_b32 s1, s26, s40
	s_cselect_b32 s0, ttmp9, s0
	s_lshl_b32 s1, s1, 5
	s_delay_alu instid0(SALU_CYCLE_1) | instskip(SKIP_2) | instid1(VALU_DEP_2)
	v_dual_mov_b32 v0, 0 :: v_dual_add_nc_u32 v2, s1, v8
	s_lshl_b32 s0, s0, 5
	v_dual_add_nc_u32 v18, s1, v5 :: v_dual_lshlrev_b32 v20, 4, v40
	v_dual_mov_b32 v7, v0 :: v_dual_bitop2_b32 v4, s0, v9 bitop3:0x54
	s_delay_alu instid0(VALU_DEP_3) | instskip(NEXT) | instid1(VALU_DEP_3)
	v_dual_ashrrev_i32 v3, 31, v2 :: v_dual_lshlrev_b32 v9, 4, v9
	v_dual_add_nc_u32 v24, 16, v18 :: v_dual_ashrrev_i32 v19, 31, v18
	s_delay_alu instid0(VALU_DEP_3) | instskip(NEXT) | instid1(VALU_DEP_3)
	v_mul_u64_e32 v[16:17], s[30:31], v[6:7]
	v_mul_u64_e32 v[22:23], s[2:3], v[2:3]
	v_cmp_neq_f64_e64 s26, s[8:9], 0
	v_lshl_or_b32 v3, v8, 7, v20
	v_dual_add_nc_u32 v8, s0, v1 :: v_dual_ashrrev_i32 v25, 31, v24
	v_mul_u64_e32 v[10:11], s[36:37], v[18:19]
	v_cmp_gt_i32_e64 s0, s22, v2
	s_delay_alu instid0(VALU_DEP_4) | instskip(NEXT) | instid1(VALU_DEP_4)
	v_add_nc_u32_e32 v41, 0x1000, v3
	v_dual_add_nc_u32 v12, 16, v8 :: v_dual_lshlrev_b32 v42, 4, v1
	v_mul_u64_e32 v[14:15], s[36:37], v[24:25]
	v_lshl_or_b32 v7, v6, 9, v9
	v_cmp_le_i32_e64 s1, v18, v8
	s_or_b32 s33, s33, s38
	s_cmp_gt_i32 s23, 0
	v_cmp_gt_i32_e64 s2, s22, v8
	s_cselect_b32 s38, -1, 0
	s_lshl_b64 s[16:17], s[16:17], 4
	v_cmp_le_i32_e64 s3, v18, v12
	v_cmp_gt_i32_e64 s4, s22, v12
	v_dual_ashrrev_i32 v9, 31, v8 :: v_dual_mov_b32 v21, v0
	v_ashrrev_i32_e32 v5, 31, v4
	s_xor_b32 s27, s27, -1
	v_cmp_gt_i32_e32 vcc_lo, s22, v4
	v_ashrrev_i32_e32 v13, 31, v12
	v_lshl_add_u64 v[2:3], v[16:17], 4, s[16:17]
	s_lshl_b64 s[16:17], s[20:21], 4
	s_or_b32 s22, s26, s27
	v_lshl_add_u64 v[18:19], v[22:23], 4, s[16:17]
	s_and_b32 s26, s1, s2
	s_and_b32 s27, s3, s4
	v_cmp_le_i32_e64 s1, v24, v8
	v_cmp_le_i32_e64 s3, v24, v12
	v_add_nc_u64_e32 v[18:19], v[18:19], v[20:21]
	v_lshl_add_u64 v[16:17], v[4:5], 4, v[2:3]
	s_and_b32 s17, s33, s38
	s_and_b32 s16, s1, s2
	;; [unrolled: 1-line block ×3, first 2 shown]
	s_lshl_b64 s[2:3], s[30:31], 7
	s_xor_b32 s20, vcc_lo, -1
	s_xor_b32 s21, s0, -1
	s_lshl_b64 s[0:1], s[34:35], 4
	s_branch .LBB405_7
.LBB405_6:                              ;   in Loop: Header=BB405_7 Depth=1
	s_wait_xcnt 0x0
	s_or_b32 exec_lo, exec_lo, s30
	s_add_co_i32 s28, s28, 0x10000
	s_delay_alu instid0(SALU_CYCLE_1)
	s_cmp_lt_u32 s28, s5
	s_cbranch_scc0 .LBB405_39
.LBB405_7:                              ; =>This Loop Header: Depth=1
                                        ;     Child Loop BB405_10 Depth 2
	v_mov_b32_e32 v1, s28
	v_mov_b64_e32 v[36:37], 0
	v_mov_b64_e32 v[38:39], 0
	;; [unrolled: 1-line block ×4, first 2 shown]
	global_load_b64 v[4:5], v1, s[24:25] scale_offset
	v_mov_b64_e32 v[24:25], 0
	v_mov_b64_e32 v[26:27], 0
	;; [unrolled: 1-line block ×4, first 2 shown]
	s_and_not1_b32 vcc_lo, exec_lo, s17
	s_cbranch_vccnz .LBB405_18
; %bb.8:                                ;   in Loop: Header=BB405_7 Depth=1
	s_lshl_b64 s[30:31], s[28:29], 3
	v_mov_b64_e32 v[22:23], 0
	s_add_nc_u64 s[34:35], s[6:7], s[30:31]
	s_add_nc_u64 s[30:31], s[18:19], s[30:31]
	s_clause 0x1
	global_load_b64 v[2:3], v0, s[34:35]
	global_load_b64 v[30:31], v0, s[30:31]
	v_mov_b64_e32 v[20:21], 0
	v_mov_b64_e32 v[26:27], 0
	;; [unrolled: 1-line block ×7, first 2 shown]
	s_wait_xcnt 0x0
	s_mov_b32 s30, 0
	s_wait_loadcnt 0x1
	v_add_nc_u64_e32 v[28:29], v[2:3], v[16:17]
	s_wait_loadcnt 0x0
	v_add_nc_u64_e32 v[30:31], v[30:31], v[18:19]
	s_branch .LBB405_10
.LBB405_9:                              ;   in Loop: Header=BB405_10 Depth=2
	s_wait_xcnt 0x0
	s_or_b32 exec_lo, exec_lo, s31
	s_wait_dscnt 0x0
	s_barrier_signal -1
	s_barrier_wait -1
	ds_load_b128 v[44:47], v43
	ds_load_b128 v[48:51], v42
	ds_load_b128 v[52:55], v42 offset:256
	ds_load_b128 v[56:59], v43 offset:2048
	;; [unrolled: 1-line block ×10, first 2 shown]
	v_add_nc_u64_e32 v[28:29], s[2:3], v[28:29]
	v_add_nc_u64_e32 v[30:31], 0x80, v[30:31]
	s_add_co_i32 s30, s30, 8
	s_delay_alu instid0(SALU_CYCLE_1)
	s_cmp_lt_i32 s30, s23
	s_wait_dscnt 0xa
	v_mul_f64_e32 v[2:3], v[46:47], v[50:51]
	v_mul_f64_e32 v[92:93], v[44:45], v[50:51]
	s_wait_dscnt 0x9
	v_mul_f64_e32 v[94:95], v[46:47], v[54:55]
	v_mul_f64_e32 v[96:97], v[44:45], v[54:55]
	s_wait_dscnt 0x8
	v_mul_f64_e32 v[98:99], v[58:59], v[50:51]
	v_mul_f64_e32 v[100:101], v[56:57], v[50:51]
	v_mul_f64_e32 v[50:51], v[58:59], v[54:55]
	v_mul_f64_e32 v[102:103], v[56:57], v[54:55]
	s_wait_dscnt 0x6
	v_mul_f64_e32 v[104:105], v[62:63], v[66:67]
	v_mul_f64_e32 v[106:107], v[60:61], v[66:67]
	s_wait_dscnt 0x5
	v_mul_f64_e32 v[108:109], v[62:63], v[70:71]
	v_mul_f64_e32 v[110:111], v[60:61], v[70:71]
	s_wait_dscnt 0x4
	v_mul_f64_e32 v[112:113], v[74:75], v[66:67]
	v_mul_f64_e32 v[66:67], v[72:73], v[66:67]
	v_mul_f64_e32 v[114:115], v[74:75], v[70:71]
	v_mul_f64_e32 v[70:71], v[72:73], v[70:71]
	;; [unrolled: 11-line block ×3, first 2 shown]
	v_fma_f64 v[2:3], v[44:45], v[48:49], -v[2:3]
	v_fmac_f64_e32 v[92:93], v[46:47], v[48:49]
	v_fma_f64 v[94:95], v[44:45], v[52:53], -v[94:95]
	v_fmac_f64_e32 v[96:97], v[46:47], v[52:53]
	;; [unrolled: 2-line block ×8, first 2 shown]
	ds_load_b128 v[44:47], v43 offset:48
	ds_load_b128 v[48:51], v43 offset:2096
	;; [unrolled: 1-line block ×4, first 2 shown]
	v_fma_f64 v[118:119], v[76:77], v[80:81], -v[118:119]
	v_fmac_f64_e32 v[120:121], v[78:79], v[80:81]
	v_fma_f64 v[76:77], v[76:77], v[84:85], -v[122:123]
	v_fmac_f64_e32 v[124:125], v[78:79], v[84:85]
	;; [unrolled: 2-line block ×4, first 2 shown]
	v_add_f64_e32 v[2:3], v[36:37], v[2:3]
	v_add_f64_e32 v[68:69], v[92:93], v[38:39]
	v_add_f64_e32 v[72:73], v[32:33], v[94:95]
	v_add_f64_e32 v[74:75], v[96:97], v[34:35]
	v_add_f64_e32 v[92:93], v[24:25], v[98:99]
	v_add_f64_e32 v[94:95], v[100:101], v[26:27]
	v_add_f64_e32 v[96:97], v[20:21], v[116:117]
	v_add_f64_e32 v[98:99], v[102:103], v[22:23]
	s_wait_dscnt 0x1
	v_mul_f64_e32 v[100:101], v[46:47], v[54:55]
	v_mul_f64_e32 v[102:103], v[44:45], v[54:55]
	s_wait_dscnt 0x0
	v_mul_f64_e32 v[108:109], v[46:47], v[58:59]
	v_mul_f64_e32 v[112:113], v[44:45], v[58:59]
	;; [unrolled: 1-line block ×6, first 2 shown]
	ds_load_b128 v[20:23], v43 offset:64
	ds_load_b128 v[24:27], v42 offset:2048
	;; [unrolled: 1-line block ×4, first 2 shown]
	v_add_f64_e32 v[2:3], v[2:3], v[104:105]
	v_add_f64_e32 v[84:85], v[106:107], v[68:69]
	;; [unrolled: 1-line block ×8, first 2 shown]
	s_wait_dscnt 0x2
	v_mul_f64_e32 v[98:99], v[22:23], v[26:27]
	v_mul_f64_e32 v[104:105], v[20:21], v[26:27]
	s_wait_dscnt 0x1
	v_mul_f64_e32 v[106:107], v[22:23], v[34:35]
	v_mul_f64_e32 v[110:111], v[20:21], v[34:35]
	;; [unrolled: 3-line block ×3, first 2 shown]
	v_mul_f64_e32 v[26:27], v[38:39], v[34:35]
	v_mul_f64_e32 v[128:129], v[36:37], v[34:35]
	v_fma_f64 v[34:35], v[44:45], v[52:53], -v[100:101]
	v_fmac_f64_e32 v[102:103], v[46:47], v[52:53]
	v_fma_f64 v[100:101], v[44:45], v[56:57], -v[108:109]
	v_fmac_f64_e32 v[112:113], v[46:47], v[56:57]
	;; [unrolled: 2-line block ×4, first 2 shown]
	ds_load_b128 v[58:61], v43 offset:80
	ds_load_b128 v[62:65], v43 offset:2128
	;; [unrolled: 1-line block ×4, first 2 shown]
	v_add_f64_e32 v[2:3], v[2:3], v[118:119]
	v_add_f64_e32 v[56:57], v[120:121], v[84:85]
	;; [unrolled: 1-line block ×8, first 2 shown]
	v_fma_f64 v[98:99], v[20:21], v[24:25], -v[98:99]
	v_fmac_f64_e32 v[104:105], v[22:23], v[24:25]
	v_fma_f64 v[106:107], v[20:21], v[32:33], -v[106:107]
	s_wait_dscnt 0x1
	v_mul_f64_e32 v[90:91], v[60:61], v[68:69]
	v_mul_f64_e32 v[92:93], v[58:59], v[68:69]
	s_wait_dscnt 0x0
	v_mul_f64_e32 v[94:95], v[60:61], v[72:73]
	v_mul_f64_e32 v[96:97], v[58:59], v[72:73]
	;; [unrolled: 1-line block ×6, first 2 shown]
	v_fmac_f64_e32 v[110:111], v[22:23], v[32:33]
	v_fma_f64 v[122:123], v[36:37], v[24:25], -v[122:123]
	v_fmac_f64_e32 v[126:127], v[38:39], v[24:25]
	v_fma_f64 v[124:125], v[36:37], v[32:33], -v[26:27]
	v_fmac_f64_e32 v[128:129], v[38:39], v[32:33]
	ds_load_b128 v[44:47], v43 offset:96
	ds_load_b128 v[48:51], v42 offset:3072
	;; [unrolled: 1-line block ×4, first 2 shown]
	v_add_f64_e32 v[2:3], v[2:3], v[34:35]
	v_add_f64_e32 v[56:57], v[102:103], v[56:57]
	;; [unrolled: 1-line block ×8, first 2 shown]
	ds_load_b128 v[20:23], v43 offset:112
	ds_load_b128 v[24:27], v43 offset:2160
	;; [unrolled: 1-line block ×4, first 2 shown]
	s_wait_dscnt 0x0
	v_mul_f64_e32 v[100:101], v[46:47], v[50:51]
	v_mul_f64_e32 v[102:103], v[44:45], v[50:51]
	;; [unrolled: 1-line block ×8, first 2 shown]
	v_fma_f64 v[90:91], v[58:59], v[66:67], -v[90:91]
	v_fmac_f64_e32 v[92:93], v[60:61], v[66:67]
	v_fma_f64 v[58:59], v[58:59], v[70:71], -v[94:95]
	v_fmac_f64_e32 v[96:97], v[60:61], v[70:71]
	;; [unrolled: 2-line block ×4, first 2 shown]
	s_barrier_signal -1
	s_barrier_wait -1
	v_mul_f64_e32 v[94:95], v[20:21], v[38:39]
	v_add_f64_e32 v[2:3], v[2:3], v[98:99]
	v_add_f64_e32 v[56:57], v[104:105], v[56:57]
	;; [unrolled: 1-line block ×8, first 2 shown]
	v_mul_f64_e32 v[84:85], v[22:23], v[34:35]
	v_mul_f64_e32 v[86:87], v[20:21], v[34:35]
	;; [unrolled: 1-line block ×7, first 2 shown]
	v_fma_f64 v[38:39], v[44:45], v[48:49], -v[100:101]
	v_fmac_f64_e32 v[102:103], v[46:47], v[48:49]
	v_fma_f64 v[44:45], v[44:45], v[52:53], -v[108:109]
	v_fmac_f64_e32 v[112:113], v[46:47], v[52:53]
	;; [unrolled: 2-line block ×4, first 2 shown]
	v_fmac_f64_e32 v[94:95], v[22:23], v[36:37]
	v_add_f64_e32 v[2:3], v[2:3], v[90:91]
	v_add_f64_e32 v[52:53], v[92:93], v[56:57]
	;; [unrolled: 1-line block ×8, first 2 shown]
	v_fma_f64 v[68:69], v[20:21], v[32:33], -v[84:85]
	v_fmac_f64_e32 v[86:87], v[22:23], v[32:33]
	v_fma_f64 v[20:21], v[20:21], v[36:37], -v[88:89]
	v_fma_f64 v[22:23], v[24:25], v[32:33], -v[98:99]
	v_fmac_f64_e32 v[104:105], v[26:27], v[32:33]
	v_fma_f64 v[70:71], v[24:25], v[36:37], -v[34:35]
	v_fmac_f64_e32 v[106:107], v[26:27], v[36:37]
	v_add_f64_e32 v[2:3], v[2:3], v[38:39]
	v_add_f64_e32 v[24:25], v[102:103], v[52:53]
	;; [unrolled: 1-line block ×16, first 2 shown]
	s_cbranch_scc0 .LBB405_18
.LBB405_10:                             ;   Parent Loop BB405_7 Depth=1
                                        ; =>  This Inner Loop Header: Depth=2
	v_add_nc_u32_e32 v1, s30, v6
	s_delay_alu instid0(VALU_DEP_1) | instskip(SKIP_1) | instid1(SALU_CYCLE_1)
	v_cmp_le_i32_e32 vcc_lo, s23, v1
	s_or_b32 s31, s20, vcc_lo
	s_and_saveexec_b32 s33, s31
	s_delay_alu instid0(SALU_CYCLE_1)
	s_xor_b32 s31, exec_lo, s33
; %bb.11:                               ;   in Loop: Header=BB405_10 Depth=2
	v_dual_mov_b32 v1, v0 :: v_dual_mov_b32 v2, v0
	v_mov_b32_e32 v3, v0
	ds_store_b128 v7, v[0:3]
; %bb.12:                               ;   in Loop: Header=BB405_10 Depth=2
	s_and_not1_saveexec_b32 s31, s31
	s_cbranch_execz .LBB405_14
; %bb.13:                               ;   in Loop: Header=BB405_10 Depth=2
	flat_load_b128 v[44:47], v[28:29]
	s_wait_loadcnt_dscnt 0x0
	ds_store_2addr_b64 v7, v[44:45], v[46:47] offset1:1
.LBB405_14:                             ;   in Loop: Header=BB405_10 Depth=2
	s_wait_xcnt 0x0
	s_or_b32 exec_lo, exec_lo, s31
	v_add_nc_u32_e32 v1, s30, v40
	s_delay_alu instid0(VALU_DEP_1) | instskip(SKIP_1) | instid1(SALU_CYCLE_1)
	v_cmp_le_i32_e32 vcc_lo, s23, v1
	s_or_b32 s31, vcc_lo, s21
	s_and_saveexec_b32 s33, s31
	s_delay_alu instid0(SALU_CYCLE_1)
	s_xor_b32 s31, exec_lo, s33
; %bb.15:                               ;   in Loop: Header=BB405_10 Depth=2
	v_dual_mov_b32 v1, v0 :: v_dual_mov_b32 v2, v0
	v_mov_b32_e32 v3, v0
	ds_store_b128 v41, v[0:3]
; %bb.16:                               ;   in Loop: Header=BB405_10 Depth=2
	s_and_not1_saveexec_b32 s31, s31
	s_cbranch_execz .LBB405_9
; %bb.17:                               ;   in Loop: Header=BB405_10 Depth=2
	flat_load_b128 v[44:47], v[30:31]
	s_wait_loadcnt_dscnt 0x0
	ds_store_2addr_b64 v41, v[44:45], v[46:47] offset1:1
	s_branch .LBB405_9
.LBB405_18:                             ;   in Loop: Header=BB405_7 Depth=1
	s_wait_loadcnt 0x0
	v_add_nc_u64_e32 v[28:29], s[0:1], v[4:5]
	s_delay_alu instid0(VALU_DEP_1)
	v_lshl_add_u64 v[30:31], v[10:11], 4, v[28:29]
	s_wait_xcnt 0x0
	s_and_saveexec_b32 s30, s26
	s_cbranch_execz .LBB405_23
; %bb.19:                               ;   in Loop: Header=BB405_7 Depth=1
	v_mul_f64_e32 v[2:3], s[14:15], v[38:39]
	v_mul_f64_e32 v[4:5], s[12:13], v[38:39]
	s_and_b32 vcc_lo, exec_lo, s22
	s_mov_b32 s31, -1
	s_delay_alu instid0(VALU_DEP_2) | instskip(NEXT) | instid1(VALU_DEP_2)
	v_fma_f64 v[2:3], s[12:13], v[36:37], -v[2:3]
	v_fmac_f64_e32 v[4:5], s[14:15], v[36:37]
	v_lshl_add_u64 v[36:37], v[8:9], 4, v[30:31]
	s_cbranch_vccz .LBB405_21
; %bb.20:                               ;   in Loop: Header=BB405_7 Depth=1
	flat_load_b128 v[44:47], v[36:37]
	s_mov_b32 s31, 0
	s_wait_loadcnt_dscnt 0x0
	v_mul_f64_e32 v[38:39], s[10:11], v[46:47]
	v_mul_f64_e32 v[46:47], s[8:9], v[46:47]
	s_delay_alu instid0(VALU_DEP_2) | instskip(NEXT) | instid1(VALU_DEP_2)
	v_fma_f64 v[38:39], s[8:9], v[44:45], -v[38:39]
	v_fmac_f64_e32 v[46:47], s[10:11], v[44:45]
	s_delay_alu instid0(VALU_DEP_2) | instskip(NEXT) | instid1(VALU_DEP_2)
	v_add_f64_e32 v[44:45], v[2:3], v[38:39]
	v_add_f64_e32 v[46:47], v[4:5], v[46:47]
	flat_store_b128 v[36:37], v[44:47]
.LBB405_21:                             ;   in Loop: Header=BB405_7 Depth=1
	s_and_not1_b32 vcc_lo, exec_lo, s31
	s_cbranch_vccnz .LBB405_23
; %bb.22:                               ;   in Loop: Header=BB405_7 Depth=1
	flat_store_b128 v[36:37], v[2:5]
.LBB405_23:                             ;   in Loop: Header=BB405_7 Depth=1
	s_wait_xcnt 0x0
	s_or_b32 exec_lo, exec_lo, s30
	s_and_saveexec_b32 s30, s27
	s_cbranch_execz .LBB405_28
; %bb.24:                               ;   in Loop: Header=BB405_7 Depth=1
	v_mul_f64_e32 v[2:3], s[14:15], v[34:35]
	v_mul_f64_e32 v[4:5], s[12:13], v[34:35]
	v_lshl_add_u64 v[30:31], v[12:13], 4, v[30:31]
	s_and_not1_b32 vcc_lo, exec_lo, s22
	s_mov_b32 s31, -1
	s_delay_alu instid0(VALU_DEP_3) | instskip(NEXT) | instid1(VALU_DEP_3)
	v_fma_f64 v[2:3], s[12:13], v[32:33], -v[2:3]
	v_fmac_f64_e32 v[4:5], s[14:15], v[32:33]
	s_cbranch_vccnz .LBB405_26
; %bb.25:                               ;   in Loop: Header=BB405_7 Depth=1
	flat_load_b128 v[32:35], v[30:31]
	s_mov_b32 s31, 0
	s_wait_loadcnt_dscnt 0x0
	v_mul_f64_e32 v[36:37], s[10:11], v[34:35]
	v_mul_f64_e32 v[34:35], s[8:9], v[34:35]
	s_delay_alu instid0(VALU_DEP_2) | instskip(NEXT) | instid1(VALU_DEP_2)
	v_fma_f64 v[36:37], s[8:9], v[32:33], -v[36:37]
	v_fmac_f64_e32 v[34:35], s[10:11], v[32:33]
	s_delay_alu instid0(VALU_DEP_2) | instskip(NEXT) | instid1(VALU_DEP_2)
	v_add_f64_e32 v[32:33], v[2:3], v[36:37]
	v_add_f64_e32 v[34:35], v[4:5], v[34:35]
	flat_store_b128 v[30:31], v[32:35]
.LBB405_26:                             ;   in Loop: Header=BB405_7 Depth=1
	s_and_not1_b32 vcc_lo, exec_lo, s31
	s_cbranch_vccnz .LBB405_28
; %bb.27:                               ;   in Loop: Header=BB405_7 Depth=1
	flat_store_b128 v[30:31], v[2:5]
.LBB405_28:                             ;   in Loop: Header=BB405_7 Depth=1
	s_wait_xcnt 0x0
	s_or_b32 exec_lo, exec_lo, s30
	v_lshl_add_u64 v[28:29], v[14:15], 4, v[28:29]
	s_and_saveexec_b32 s30, s16
	s_cbranch_execz .LBB405_33
; %bb.29:                               ;   in Loop: Header=BB405_7 Depth=1
	v_mul_f64_e32 v[2:3], s[14:15], v[26:27]
	v_mul_f64_e32 v[4:5], s[12:13], v[26:27]
	s_and_not1_b32 vcc_lo, exec_lo, s22
	s_mov_b32 s31, -1
	s_delay_alu instid0(VALU_DEP_2) | instskip(NEXT) | instid1(VALU_DEP_2)
	v_fma_f64 v[2:3], s[12:13], v[24:25], -v[2:3]
	v_fmac_f64_e32 v[4:5], s[14:15], v[24:25]
	v_lshl_add_u64 v[24:25], v[8:9], 4, v[28:29]
	s_cbranch_vccnz .LBB405_31
; %bb.30:                               ;   in Loop: Header=BB405_7 Depth=1
	flat_load_b128 v[30:33], v[24:25]
	s_mov_b32 s31, 0
	s_wait_loadcnt_dscnt 0x0
	v_mul_f64_e32 v[26:27], s[10:11], v[32:33]
	v_mul_f64_e32 v[32:33], s[8:9], v[32:33]
	s_delay_alu instid0(VALU_DEP_2) | instskip(NEXT) | instid1(VALU_DEP_2)
	v_fma_f64 v[26:27], s[8:9], v[30:31], -v[26:27]
	v_fmac_f64_e32 v[32:33], s[10:11], v[30:31]
	s_delay_alu instid0(VALU_DEP_2) | instskip(NEXT) | instid1(VALU_DEP_2)
	v_add_f64_e32 v[30:31], v[2:3], v[26:27]
	v_add_f64_e32 v[32:33], v[4:5], v[32:33]
	flat_store_b128 v[24:25], v[30:33]
.LBB405_31:                             ;   in Loop: Header=BB405_7 Depth=1
	s_and_not1_b32 vcc_lo, exec_lo, s31
	s_cbranch_vccnz .LBB405_33
; %bb.32:                               ;   in Loop: Header=BB405_7 Depth=1
	flat_store_b128 v[24:25], v[2:5]
.LBB405_33:                             ;   in Loop: Header=BB405_7 Depth=1
	s_wait_xcnt 0x0
	s_or_b32 exec_lo, exec_lo, s30
	s_and_saveexec_b32 s30, s4
	s_cbranch_execz .LBB405_6
; %bb.34:                               ;   in Loop: Header=BB405_7 Depth=1
	s_delay_alu instid0(VALU_DEP_4) | instskip(SKIP_3) | instid1(VALU_DEP_2)
	v_mul_f64_e32 v[2:3], s[14:15], v[22:23]
	v_mul_f64_e32 v[4:5], s[12:13], v[22:23]
	s_and_not1_b32 vcc_lo, exec_lo, s22
	s_mov_b32 s31, -1
	v_fma_f64 v[2:3], s[12:13], v[20:21], -v[2:3]
	s_delay_alu instid0(VALU_DEP_2)
	v_fmac_f64_e32 v[4:5], s[14:15], v[20:21]
	v_lshl_add_u64 v[20:21], v[12:13], 4, v[28:29]
	s_cbranch_vccnz .LBB405_36
; %bb.35:                               ;   in Loop: Header=BB405_7 Depth=1
	flat_load_b128 v[22:25], v[20:21]
	s_mov_b32 s31, 0
	s_wait_loadcnt_dscnt 0x0
	v_mul_f64_e32 v[26:27], s[10:11], v[24:25]
	v_mul_f64_e32 v[24:25], s[8:9], v[24:25]
	s_delay_alu instid0(VALU_DEP_2) | instskip(NEXT) | instid1(VALU_DEP_2)
	v_fma_f64 v[26:27], s[8:9], v[22:23], -v[26:27]
	v_fmac_f64_e32 v[24:25], s[10:11], v[22:23]
	s_delay_alu instid0(VALU_DEP_2) | instskip(NEXT) | instid1(VALU_DEP_2)
	v_add_f64_e32 v[22:23], v[2:3], v[26:27]
	v_add_f64_e32 v[24:25], v[4:5], v[24:25]
	flat_store_b128 v[20:21], v[22:25]
.LBB405_36:                             ;   in Loop: Header=BB405_7 Depth=1
	s_and_not1_b32 vcc_lo, exec_lo, s31
	s_cbranch_vccnz .LBB405_6
; %bb.37:                               ;   in Loop: Header=BB405_7 Depth=1
	flat_store_b128 v[20:21], v[2:5]
	s_branch .LBB405_6
.LBB405_38:
.LBB405_39:
	s_sendmsg sendmsg(MSG_DEALLOC_VGPRS)
	s_endpgm
	.section	.rodata,"a",@progbits
	.p2align	6, 0x0
	.amdhsa_kernel _ZL29rocblas_internal_gemmt_kernelIiLi16ELi32ELi8ELc78ELc78ELc76ELb0ELb0E19rocblas_complex_numIdEPKS1_PKS3_PKPS1_EviT_T9_T10_S9_lSB_S9_lSA_T11_S9_li
		.amdhsa_group_segment_fixed_size 8192
		.amdhsa_private_segment_fixed_size 0
		.amdhsa_kernarg_size 100
		.amdhsa_user_sgpr_count 2
		.amdhsa_user_sgpr_dispatch_ptr 0
		.amdhsa_user_sgpr_queue_ptr 0
		.amdhsa_user_sgpr_kernarg_segment_ptr 1
		.amdhsa_user_sgpr_dispatch_id 0
		.amdhsa_user_sgpr_kernarg_preload_length 0
		.amdhsa_user_sgpr_kernarg_preload_offset 0
		.amdhsa_user_sgpr_private_segment_size 0
		.amdhsa_wavefront_size32 1
		.amdhsa_uses_dynamic_stack 0
		.amdhsa_enable_private_segment 0
		.amdhsa_system_sgpr_workgroup_id_x 1
		.amdhsa_system_sgpr_workgroup_id_y 1
		.amdhsa_system_sgpr_workgroup_id_z 1
		.amdhsa_system_sgpr_workgroup_info 0
		.amdhsa_system_vgpr_workitem_id 1
		.amdhsa_next_free_vgpr 132
		.amdhsa_next_free_sgpr 41
		.amdhsa_named_barrier_count 0
		.amdhsa_reserve_vcc 1
		.amdhsa_float_round_mode_32 0
		.amdhsa_float_round_mode_16_64 0
		.amdhsa_float_denorm_mode_32 3
		.amdhsa_float_denorm_mode_16_64 3
		.amdhsa_fp16_overflow 0
		.amdhsa_memory_ordered 1
		.amdhsa_forward_progress 1
		.amdhsa_inst_pref_size 24
		.amdhsa_round_robin_scheduling 0
		.amdhsa_exception_fp_ieee_invalid_op 0
		.amdhsa_exception_fp_denorm_src 0
		.amdhsa_exception_fp_ieee_div_zero 0
		.amdhsa_exception_fp_ieee_overflow 0
		.amdhsa_exception_fp_ieee_underflow 0
		.amdhsa_exception_fp_ieee_inexact 0
		.amdhsa_exception_int_div_zero 0
	.end_amdhsa_kernel
	.section	.text._ZL29rocblas_internal_gemmt_kernelIiLi16ELi32ELi8ELc78ELc78ELc76ELb0ELb0E19rocblas_complex_numIdEPKS1_PKS3_PKPS1_EviT_T9_T10_S9_lSB_S9_lSA_T11_S9_li,"axG",@progbits,_ZL29rocblas_internal_gemmt_kernelIiLi16ELi32ELi8ELc78ELc78ELc76ELb0ELb0E19rocblas_complex_numIdEPKS1_PKS3_PKPS1_EviT_T9_T10_S9_lSB_S9_lSA_T11_S9_li,comdat
.Lfunc_end405:
	.size	_ZL29rocblas_internal_gemmt_kernelIiLi16ELi32ELi8ELc78ELc78ELc76ELb0ELb0E19rocblas_complex_numIdEPKS1_PKS3_PKPS1_EviT_T9_T10_S9_lSB_S9_lSA_T11_S9_li, .Lfunc_end405-_ZL29rocblas_internal_gemmt_kernelIiLi16ELi32ELi8ELc78ELc78ELc76ELb0ELb0E19rocblas_complex_numIdEPKS1_PKS3_PKPS1_EviT_T9_T10_S9_lSB_S9_lSA_T11_S9_li
                                        ; -- End function
	.set _ZL29rocblas_internal_gemmt_kernelIiLi16ELi32ELi8ELc78ELc78ELc76ELb0ELb0E19rocblas_complex_numIdEPKS1_PKS3_PKPS1_EviT_T9_T10_S9_lSB_S9_lSA_T11_S9_li.num_vgpr, 132
	.set _ZL29rocblas_internal_gemmt_kernelIiLi16ELi32ELi8ELc78ELc78ELc76ELb0ELb0E19rocblas_complex_numIdEPKS1_PKS3_PKPS1_EviT_T9_T10_S9_lSB_S9_lSA_T11_S9_li.num_agpr, 0
	.set _ZL29rocblas_internal_gemmt_kernelIiLi16ELi32ELi8ELc78ELc78ELc76ELb0ELb0E19rocblas_complex_numIdEPKS1_PKS3_PKPS1_EviT_T9_T10_S9_lSB_S9_lSA_T11_S9_li.numbered_sgpr, 41
	.set _ZL29rocblas_internal_gemmt_kernelIiLi16ELi32ELi8ELc78ELc78ELc76ELb0ELb0E19rocblas_complex_numIdEPKS1_PKS3_PKPS1_EviT_T9_T10_S9_lSB_S9_lSA_T11_S9_li.num_named_barrier, 0
	.set _ZL29rocblas_internal_gemmt_kernelIiLi16ELi32ELi8ELc78ELc78ELc76ELb0ELb0E19rocblas_complex_numIdEPKS1_PKS3_PKPS1_EviT_T9_T10_S9_lSB_S9_lSA_T11_S9_li.private_seg_size, 0
	.set _ZL29rocblas_internal_gemmt_kernelIiLi16ELi32ELi8ELc78ELc78ELc76ELb0ELb0E19rocblas_complex_numIdEPKS1_PKS3_PKPS1_EviT_T9_T10_S9_lSB_S9_lSA_T11_S9_li.uses_vcc, 1
	.set _ZL29rocblas_internal_gemmt_kernelIiLi16ELi32ELi8ELc78ELc78ELc76ELb0ELb0E19rocblas_complex_numIdEPKS1_PKS3_PKPS1_EviT_T9_T10_S9_lSB_S9_lSA_T11_S9_li.uses_flat_scratch, 0
	.set _ZL29rocblas_internal_gemmt_kernelIiLi16ELi32ELi8ELc78ELc78ELc76ELb0ELb0E19rocblas_complex_numIdEPKS1_PKS3_PKPS1_EviT_T9_T10_S9_lSB_S9_lSA_T11_S9_li.has_dyn_sized_stack, 0
	.set _ZL29rocblas_internal_gemmt_kernelIiLi16ELi32ELi8ELc78ELc78ELc76ELb0ELb0E19rocblas_complex_numIdEPKS1_PKS3_PKPS1_EviT_T9_T10_S9_lSB_S9_lSA_T11_S9_li.has_recursion, 0
	.set _ZL29rocblas_internal_gemmt_kernelIiLi16ELi32ELi8ELc78ELc78ELc76ELb0ELb0E19rocblas_complex_numIdEPKS1_PKS3_PKPS1_EviT_T9_T10_S9_lSB_S9_lSA_T11_S9_li.has_indirect_call, 0
	.section	.AMDGPU.csdata,"",@progbits
; Kernel info:
; codeLenInByte = 3012
; TotalNumSgprs: 43
; NumVgprs: 132
; ScratchSize: 0
; MemoryBound: 0
; FloatMode: 240
; IeeeMode: 1
; LDSByteSize: 8192 bytes/workgroup (compile time only)
; SGPRBlocks: 0
; VGPRBlocks: 8
; NumSGPRsForWavesPerEU: 43
; NumVGPRsForWavesPerEU: 132
; NamedBarCnt: 0
; Occupancy: 7
; WaveLimiterHint : 1
; COMPUTE_PGM_RSRC2:SCRATCH_EN: 0
; COMPUTE_PGM_RSRC2:USER_SGPR: 2
; COMPUTE_PGM_RSRC2:TRAP_HANDLER: 0
; COMPUTE_PGM_RSRC2:TGID_X_EN: 1
; COMPUTE_PGM_RSRC2:TGID_Y_EN: 1
; COMPUTE_PGM_RSRC2:TGID_Z_EN: 1
; COMPUTE_PGM_RSRC2:TIDIG_COMP_CNT: 1
	.section	.text._ZL29rocblas_internal_gemmt_kernelIiLi16ELi32ELi8ELc78ELc84ELc76ELb0ELb0E19rocblas_complex_numIdEPKS1_PKS3_PKPS1_EviT_T9_T10_S9_lSB_S9_lSA_T11_S9_li,"axG",@progbits,_ZL29rocblas_internal_gemmt_kernelIiLi16ELi32ELi8ELc78ELc84ELc76ELb0ELb0E19rocblas_complex_numIdEPKS1_PKS3_PKPS1_EviT_T9_T10_S9_lSB_S9_lSA_T11_S9_li,comdat
	.globl	_ZL29rocblas_internal_gemmt_kernelIiLi16ELi32ELi8ELc78ELc84ELc76ELb0ELb0E19rocblas_complex_numIdEPKS1_PKS3_PKPS1_EviT_T9_T10_S9_lSB_S9_lSA_T11_S9_li ; -- Begin function _ZL29rocblas_internal_gemmt_kernelIiLi16ELi32ELi8ELc78ELc84ELc76ELb0ELb0E19rocblas_complex_numIdEPKS1_PKS3_PKPS1_EviT_T9_T10_S9_lSB_S9_lSA_T11_S9_li
	.p2align	8
	.type	_ZL29rocblas_internal_gemmt_kernelIiLi16ELi32ELi8ELc78ELc84ELc76ELb0ELb0E19rocblas_complex_numIdEPKS1_PKS3_PKPS1_EviT_T9_T10_S9_lSB_S9_lSA_T11_S9_li,@function
_ZL29rocblas_internal_gemmt_kernelIiLi16ELi32ELi8ELc78ELc84ELc76ELb0ELb0E19rocblas_complex_numIdEPKS1_PKS3_PKPS1_EviT_T9_T10_S9_lSB_S9_lSA_T11_S9_li: ; @_ZL29rocblas_internal_gemmt_kernelIiLi16ELi32ELi8ELc78ELc84ELc76ELb0ELb0E19rocblas_complex_numIdEPKS1_PKS3_PKPS1_EviT_T9_T10_S9_lSB_S9_lSA_T11_S9_li
; %bb.0:
	s_load_b128 s[20:23], s[0:1], 0x38
	s_wait_kmcnt 0x0
	s_load_b128 s[8:11], s[22:23], 0x0
	s_load_b128 s[4:7], s[0:1], 0x8
	s_wait_xcnt 0x0
	s_load_b64 s[22:23], s[0:1], 0x0
	s_wait_kmcnt 0x0
	v_cmp_eq_f64_e64 s3, s[8:9], 1.0
	v_cmp_eq_f64_e64 s2, s[10:11], 0
	s_load_b128 s[12:15], s[4:5], 0x0
	s_and_b32 s3, s3, s2
	s_delay_alu instid0(SALU_CYCLE_1)
	s_and_not1_b32 vcc_lo, exec_lo, s3
	s_mov_b32 s3, -1
	s_cbranch_vccnz .LBB406_3
; %bb.1:
	s_cmp_lg_u32 s23, 0
	s_cbranch_scc0 .LBB406_38
; %bb.2:
	s_wait_kmcnt 0x0
	v_cmp_neq_f64_e64 s3, s[12:13], 0
	v_cmp_neq_f64_e64 s4, s[14:15], 0
	s_or_b32 s3, s3, s4
.LBB406_3:
	s_delay_alu instid0(SALU_CYCLE_1)
	s_and_b32 vcc_lo, exec_lo, s3
	s_cbranch_vccz .LBB406_39
; %bb.4:
	s_load_b32 s27, s[0:1], 0x60
	s_bfe_u32 s3, ttmp6, 0x40014
	s_wait_xcnt 0x0
	s_lshr_b32 s4, ttmp7, 16
	s_add_co_i32 s3, s3, 1
	s_bfe_u32 s16, ttmp6, 0x40008
	s_mul_i32 s5, s4, s3
	s_getreg_b32 s3, hwreg(HW_REG_IB_STS2, 6, 4)
	s_add_co_i32 s16, s16, s5
	s_cmp_eq_u32 s3, 0
	s_mov_b32 s29, 0
	s_cselect_b32 s28, s4, s16
	s_wait_kmcnt 0x0
	s_cmp_ge_u32 s28, s27
	s_cbranch_scc1 .LBB406_39
; %bb.5:
	s_clause 0x4
	s_load_b32 s30, s[0:1], 0x18
	s_load_b32 s34, s[0:1], 0x30
	s_load_b96 s[24:26], s[0:1], 0x48
	s_load_b128 s[16:19], s[0:1], 0x20
	s_load_b64 s[36:37], s[0:1], 0x58
	s_wait_xcnt 0x0
	s_bfe_u32 s1, ttmp6, 0x4000c
	s_bfe_u32 s39, ttmp6, 0x40010
	v_and_b32_e32 v1, 0x3ff, v0
	v_bfe_u32 v3, v0, 10, 10
	s_add_co_i32 s1, s1, 1
	s_add_co_i32 s39, s39, 1
	s_and_b32 s0, ttmp6, 15
	s_mul_i32 s1, ttmp9, s1
	s_bfe_u32 s40, ttmp6, 0x40004
	v_and_b32_e32 v6, 7, v0
	v_lshl_add_u32 v0, v3, 4, v1
	s_add_co_i32 s0, s0, s1
	v_cmp_neq_f64_e64 s33, s[12:13], 0
	v_cmp_neq_f64_e64 s38, s[14:15], 0
	v_lshl_add_u32 v43, v3, 7, 0x1000
	s_wait_kmcnt 0x0
	s_ashr_i32 s31, s30, 31
	s_ashr_i32 s35, s34, 31
	;; [unrolled: 1-line block ×3, first 2 shown]
	s_mov_b32 s4, s26
	s_and_b32 s26, ttmp7, 0xffff
	v_lshrrev_b32_e32 v8, 5, v0
	s_mul_i32 s39, s26, s39
	v_dual_lshrrev_b32 v5, 3, v0 :: v_dual_bitop2_b32 v10, 31, v0 bitop3:0x40
	s_add_co_i32 s40, s40, s39
	s_cmp_eq_u32 s3, 0
	s_cselect_b32 s0, ttmp9, s0
	s_cselect_b32 s1, s26, s40
	s_lshl_b32 s3, s0, 5
	s_delay_alu instid0(SALU_CYCLE_1) | instskip(SKIP_2) | instid1(VALU_DEP_2)
	v_dual_mov_b32 v0, 0 :: v_dual_bitop2_b32 v2, s3, v10 bitop3:0x54
	s_lshl_b32 s0, s1, 5
	v_cmp_neq_f64_e64 s26, s[8:9], 0
	v_dual_mov_b32 v9, v0 :: v_dual_add_nc_u32 v20, s0, v3
	v_dual_mov_b32 v7, v0 :: v_dual_add_nc_u32 v4, s0, v5
	v_ashrrev_i32_e32 v3, 31, v2
	v_cmp_gt_i32_e32 vcc_lo, s22, v2
	s_delay_alu instid0(VALU_DEP_4)
	v_mul_u64_e32 v[18:19], s[30:31], v[8:9]
	v_lshlrev_b32_e32 v9, 4, v10
	v_lshlrev_b32_e32 v10, 4, v6
	v_mul_u64_e32 v[22:23], s[34:35], v[6:7]
	v_dual_add_nc_u32 v24, 16, v20 :: v_dual_ashrrev_i32 v21, 31, v20
	s_or_b32 s38, s33, s38
	s_delay_alu instid0(VALU_DEP_3) | instskip(NEXT) | instid1(VALU_DEP_2)
	v_lshl_or_b32 v5, v5, 7, v10
	v_dual_add_nc_u32 v10, s3, v1 :: v_dual_ashrrev_i32 v25, 31, v24
	s_delay_alu instid0(VALU_DEP_3) | instskip(SKIP_1) | instid1(VALU_DEP_4)
	v_mul_u64_e32 v[12:13], s[4:5], v[20:21]
	v_lshl_or_b32 v7, v8, 9, v9
	v_add_nc_u32_e32 v9, 0x1000, v5
	s_delay_alu instid0(VALU_DEP_4)
	v_dual_ashrrev_i32 v5, 31, v4 :: v_dual_add_nc_u32 v14, 16, v10
	v_mul_u64_e32 v[16:17], s[4:5], v[24:25]
	s_cmp_gt_i32 s23, 0
	v_cmp_le_i32_e64 s1, v20, v10
	s_cselect_b32 s39, -1, 0
	s_lshl_b64 s[16:17], s[16:17], 4
	s_xor_b32 s5, s2, -1
	v_cmp_gt_i32_e64 s2, s22, v10
	v_cmp_le_i32_e64 s3, v20, v14
	v_cmp_gt_i32_e64 s4, s22, v14
	v_cmp_gt_i32_e64 s0, s22, v4
	s_or_b32 s22, s26, s5
	s_and_b32 s26, s1, s2
	v_cmp_le_i32_e64 s1, v24, v10
	s_and_b32 s33, s3, s4
	v_cmp_le_i32_e64 s3, v24, v14
	v_dual_lshlrev_b32 v42, 4, v1 :: v_dual_ashrrev_i32 v11, 31, v10
	v_lshl_add_u64 v[18:19], v[18:19], 4, s[16:17]
	s_lshl_b64 s[16:17], s[20:21], 4
	v_ashrrev_i32_e32 v15, 31, v14
	v_lshl_add_u64 v[20:21], v[22:23], 4, s[16:17]
	s_and_b32 s16, s1, s2
	v_lshl_add_u64 v[18:19], v[2:3], 4, v[18:19]
	s_and_b32 s17, s3, s4
	s_lshl_b64 s[2:3], s[30:31], 7
	v_lshl_add_u64 v[20:21], v[4:5], 4, v[20:21]
	s_lshl_b64 s[4:5], s[34:35], 7
	s_and_b32 s20, s38, s39
	s_xor_b32 s21, vcc_lo, -1
	s_xor_b32 s30, s0, -1
	s_lshl_b64 s[0:1], s[36:37], 4
	s_branch .LBB406_7
.LBB406_6:                              ;   in Loop: Header=BB406_7 Depth=1
	s_wait_xcnt 0x0
	s_or_b32 exec_lo, exec_lo, s31
	s_add_co_i32 s28, s28, 0x10000
	s_delay_alu instid0(SALU_CYCLE_1)
	s_cmp_lt_u32 s28, s27
	s_cbranch_scc0 .LBB406_39
.LBB406_7:                              ; =>This Loop Header: Depth=1
                                        ;     Child Loop BB406_10 Depth 2
	v_mov_b32_e32 v1, s28
	v_mov_b64_e32 v[38:39], 0
	v_mov_b64_e32 v[40:41], 0
	;; [unrolled: 1-line block ×4, first 2 shown]
	global_load_b64 v[4:5], v1, s[24:25] scale_offset
	v_mov_b64_e32 v[26:27], 0
	v_mov_b64_e32 v[28:29], 0
	;; [unrolled: 1-line block ×4, first 2 shown]
	s_and_not1_b32 vcc_lo, exec_lo, s20
	s_cbranch_vccnz .LBB406_18
; %bb.8:                                ;   in Loop: Header=BB406_7 Depth=1
	s_lshl_b64 s[34:35], s[28:29], 3
	v_mov_b64_e32 v[24:25], 0
	s_add_nc_u64 s[36:37], s[6:7], s[34:35]
	s_add_nc_u64 s[34:35], s[18:19], s[34:35]
	s_clause 0x1
	global_load_b64 v[2:3], v0, s[36:37]
	global_load_b64 v[32:33], v0, s[34:35]
	v_mov_b64_e32 v[22:23], 0
	v_mov_b64_e32 v[28:29], 0
	;; [unrolled: 1-line block ×7, first 2 shown]
	s_mov_b32 s31, 0
	s_wait_loadcnt 0x1
	v_add_nc_u64_e32 v[30:31], v[2:3], v[18:19]
	s_wait_loadcnt 0x0
	v_add_nc_u64_e32 v[32:33], v[32:33], v[20:21]
	s_branch .LBB406_10
.LBB406_9:                              ;   in Loop: Header=BB406_10 Depth=2
	s_wait_xcnt 0x0
	s_or_b32 exec_lo, exec_lo, s34
	s_wait_dscnt 0x0
	s_barrier_signal -1
	s_barrier_wait -1
	ds_load_b128 v[44:47], v43
	ds_load_b128 v[48:51], v42
	ds_load_b128 v[52:55], v42 offset:256
	ds_load_b128 v[56:59], v43 offset:2048
	ds_load_b128 v[60:63], v43 offset:16
	ds_load_b128 v[64:67], v42 offset:512
	ds_load_b128 v[68:71], v42 offset:768
	ds_load_b128 v[72:75], v43 offset:2064
	ds_load_b128 v[76:79], v43 offset:32
	ds_load_b128 v[80:83], v42 offset:1024
	ds_load_b128 v[84:87], v42 offset:1280
	ds_load_b128 v[88:91], v43 offset:2080
	v_add_nc_u64_e32 v[30:31], s[2:3], v[30:31]
	v_add_nc_u64_e32 v[32:33], s[4:5], v[32:33]
	s_add_co_i32 s31, s31, 8
	s_delay_alu instid0(SALU_CYCLE_1)
	s_cmp_lt_i32 s31, s23
	s_wait_dscnt 0xa
	v_mul_f64_e32 v[2:3], v[46:47], v[50:51]
	v_mul_f64_e32 v[92:93], v[44:45], v[50:51]
	s_wait_dscnt 0x9
	v_mul_f64_e32 v[94:95], v[46:47], v[54:55]
	v_mul_f64_e32 v[96:97], v[44:45], v[54:55]
	s_wait_dscnt 0x8
	v_mul_f64_e32 v[98:99], v[58:59], v[50:51]
	v_mul_f64_e32 v[100:101], v[56:57], v[50:51]
	v_mul_f64_e32 v[50:51], v[58:59], v[54:55]
	v_mul_f64_e32 v[102:103], v[56:57], v[54:55]
	s_wait_dscnt 0x6
	v_mul_f64_e32 v[104:105], v[62:63], v[66:67]
	v_mul_f64_e32 v[106:107], v[60:61], v[66:67]
	s_wait_dscnt 0x5
	v_mul_f64_e32 v[108:109], v[62:63], v[70:71]
	v_mul_f64_e32 v[110:111], v[60:61], v[70:71]
	s_wait_dscnt 0x4
	v_mul_f64_e32 v[112:113], v[74:75], v[66:67]
	v_mul_f64_e32 v[66:67], v[72:73], v[66:67]
	v_mul_f64_e32 v[114:115], v[74:75], v[70:71]
	v_mul_f64_e32 v[70:71], v[72:73], v[70:71]
	;; [unrolled: 11-line block ×3, first 2 shown]
	v_fma_f64 v[2:3], v[44:45], v[48:49], -v[2:3]
	v_fmac_f64_e32 v[92:93], v[46:47], v[48:49]
	v_fma_f64 v[94:95], v[44:45], v[52:53], -v[94:95]
	v_fmac_f64_e32 v[96:97], v[46:47], v[52:53]
	;; [unrolled: 2-line block ×8, first 2 shown]
	ds_load_b128 v[44:47], v43 offset:48
	ds_load_b128 v[48:51], v43 offset:2096
	ds_load_b128 v[52:55], v42 offset:1536
	ds_load_b128 v[56:59], v42 offset:1792
	v_fma_f64 v[118:119], v[76:77], v[80:81], -v[118:119]
	v_fmac_f64_e32 v[120:121], v[78:79], v[80:81]
	v_fma_f64 v[76:77], v[76:77], v[84:85], -v[122:123]
	v_fmac_f64_e32 v[124:125], v[78:79], v[84:85]
	;; [unrolled: 2-line block ×4, first 2 shown]
	v_add_f64_e32 v[2:3], v[38:39], v[2:3]
	v_add_f64_e32 v[68:69], v[92:93], v[40:41]
	;; [unrolled: 1-line block ×8, first 2 shown]
	s_wait_dscnt 0x1
	v_mul_f64_e32 v[100:101], v[46:47], v[54:55]
	v_mul_f64_e32 v[102:103], v[44:45], v[54:55]
	s_wait_dscnt 0x0
	v_mul_f64_e32 v[108:109], v[46:47], v[58:59]
	v_mul_f64_e32 v[112:113], v[44:45], v[58:59]
	;; [unrolled: 1-line block ×6, first 2 shown]
	ds_load_b128 v[22:25], v43 offset:64
	ds_load_b128 v[26:29], v42 offset:2048
	;; [unrolled: 1-line block ×4, first 2 shown]
	v_add_f64_e32 v[2:3], v[2:3], v[104:105]
	v_add_f64_e32 v[84:85], v[106:107], v[68:69]
	;; [unrolled: 1-line block ×8, first 2 shown]
	s_wait_dscnt 0x2
	v_mul_f64_e32 v[98:99], v[24:25], v[28:29]
	v_mul_f64_e32 v[104:105], v[22:23], v[28:29]
	s_wait_dscnt 0x1
	v_mul_f64_e32 v[106:107], v[24:25], v[36:37]
	v_mul_f64_e32 v[110:111], v[22:23], v[36:37]
	s_wait_dscnt 0x0
	v_mul_f64_e32 v[122:123], v[40:41], v[28:29]
	v_mul_f64_e32 v[126:127], v[38:39], v[28:29]
	v_mul_f64_e32 v[28:29], v[40:41], v[36:37]
	v_mul_f64_e32 v[128:129], v[38:39], v[36:37]
	v_fma_f64 v[36:37], v[44:45], v[52:53], -v[100:101]
	v_fmac_f64_e32 v[102:103], v[46:47], v[52:53]
	v_fma_f64 v[100:101], v[44:45], v[56:57], -v[108:109]
	v_fmac_f64_e32 v[112:113], v[46:47], v[56:57]
	;; [unrolled: 2-line block ×4, first 2 shown]
	ds_load_b128 v[58:61], v43 offset:80
	ds_load_b128 v[62:65], v43 offset:2128
	;; [unrolled: 1-line block ×4, first 2 shown]
	v_add_f64_e32 v[2:3], v[2:3], v[118:119]
	v_add_f64_e32 v[56:57], v[120:121], v[84:85]
	;; [unrolled: 1-line block ×8, first 2 shown]
	v_fma_f64 v[98:99], v[22:23], v[26:27], -v[98:99]
	v_fmac_f64_e32 v[104:105], v[24:25], v[26:27]
	v_fma_f64 v[106:107], v[22:23], v[34:35], -v[106:107]
	s_wait_dscnt 0x1
	v_mul_f64_e32 v[90:91], v[60:61], v[68:69]
	v_mul_f64_e32 v[92:93], v[58:59], v[68:69]
	s_wait_dscnt 0x0
	v_mul_f64_e32 v[94:95], v[60:61], v[72:73]
	v_mul_f64_e32 v[96:97], v[58:59], v[72:73]
	;; [unrolled: 1-line block ×6, first 2 shown]
	v_fmac_f64_e32 v[110:111], v[24:25], v[34:35]
	v_fma_f64 v[122:123], v[38:39], v[26:27], -v[122:123]
	v_fmac_f64_e32 v[126:127], v[40:41], v[26:27]
	v_fma_f64 v[124:125], v[38:39], v[34:35], -v[28:29]
	v_fmac_f64_e32 v[128:129], v[40:41], v[34:35]
	ds_load_b128 v[44:47], v43 offset:96
	ds_load_b128 v[48:51], v42 offset:3072
	;; [unrolled: 1-line block ×4, first 2 shown]
	v_add_f64_e32 v[2:3], v[2:3], v[36:37]
	v_add_f64_e32 v[56:57], v[102:103], v[56:57]
	;; [unrolled: 1-line block ×8, first 2 shown]
	ds_load_b128 v[22:25], v43 offset:112
	ds_load_b128 v[26:29], v43 offset:2160
	;; [unrolled: 1-line block ×4, first 2 shown]
	s_wait_dscnt 0x0
	v_mul_f64_e32 v[100:101], v[46:47], v[50:51]
	v_mul_f64_e32 v[102:103], v[44:45], v[50:51]
	;; [unrolled: 1-line block ×8, first 2 shown]
	v_fma_f64 v[90:91], v[58:59], v[66:67], -v[90:91]
	v_fmac_f64_e32 v[92:93], v[60:61], v[66:67]
	v_fma_f64 v[58:59], v[58:59], v[70:71], -v[94:95]
	v_fmac_f64_e32 v[96:97], v[60:61], v[70:71]
	;; [unrolled: 2-line block ×4, first 2 shown]
	s_barrier_signal -1
	s_barrier_wait -1
	v_mul_f64_e32 v[94:95], v[22:23], v[40:41]
	v_add_f64_e32 v[2:3], v[2:3], v[98:99]
	v_add_f64_e32 v[56:57], v[104:105], v[56:57]
	;; [unrolled: 1-line block ×8, first 2 shown]
	v_mul_f64_e32 v[84:85], v[24:25], v[36:37]
	v_mul_f64_e32 v[86:87], v[22:23], v[36:37]
	;; [unrolled: 1-line block ×7, first 2 shown]
	v_fma_f64 v[40:41], v[44:45], v[48:49], -v[100:101]
	v_fmac_f64_e32 v[102:103], v[46:47], v[48:49]
	v_fma_f64 v[44:45], v[44:45], v[52:53], -v[108:109]
	v_fmac_f64_e32 v[112:113], v[46:47], v[52:53]
	;; [unrolled: 2-line block ×4, first 2 shown]
	v_fmac_f64_e32 v[94:95], v[24:25], v[38:39]
	v_add_f64_e32 v[2:3], v[2:3], v[90:91]
	v_add_f64_e32 v[52:53], v[92:93], v[56:57]
	;; [unrolled: 1-line block ×8, first 2 shown]
	v_fma_f64 v[68:69], v[22:23], v[34:35], -v[84:85]
	v_fmac_f64_e32 v[86:87], v[24:25], v[34:35]
	v_fma_f64 v[22:23], v[22:23], v[38:39], -v[88:89]
	v_fma_f64 v[24:25], v[26:27], v[34:35], -v[98:99]
	v_fmac_f64_e32 v[104:105], v[28:29], v[34:35]
	v_fma_f64 v[70:71], v[26:27], v[38:39], -v[36:37]
	v_fmac_f64_e32 v[106:107], v[28:29], v[38:39]
	v_add_f64_e32 v[2:3], v[2:3], v[40:41]
	v_add_f64_e32 v[26:27], v[102:103], v[52:53]
	;; [unrolled: 1-line block ×16, first 2 shown]
	s_cbranch_scc0 .LBB406_18
.LBB406_10:                             ;   Parent Loop BB406_7 Depth=1
                                        ; =>  This Inner Loop Header: Depth=2
	s_wait_xcnt 0x2
	v_add_nc_u32_e32 v1, s31, v8
	s_delay_alu instid0(VALU_DEP_1) | instskip(SKIP_2) | instid1(SALU_CYCLE_1)
	v_cmp_le_i32_e32 vcc_lo, s23, v1
	s_wait_xcnt 0x0
	s_or_b32 s34, s21, vcc_lo
	s_and_saveexec_b32 s35, s34
	s_delay_alu instid0(SALU_CYCLE_1)
	s_xor_b32 s34, exec_lo, s35
; %bb.11:                               ;   in Loop: Header=BB406_10 Depth=2
	v_dual_mov_b32 v1, v0 :: v_dual_mov_b32 v2, v0
	v_mov_b32_e32 v3, v0
	ds_store_b128 v7, v[0:3]
; %bb.12:                               ;   in Loop: Header=BB406_10 Depth=2
	s_and_not1_saveexec_b32 s34, s34
	s_cbranch_execz .LBB406_14
; %bb.13:                               ;   in Loop: Header=BB406_10 Depth=2
	flat_load_b128 v[44:47], v[30:31]
	s_wait_loadcnt_dscnt 0x0
	ds_store_2addr_b64 v7, v[44:45], v[46:47] offset1:1
.LBB406_14:                             ;   in Loop: Header=BB406_10 Depth=2
	s_wait_xcnt 0x0
	s_or_b32 exec_lo, exec_lo, s34
	v_add_nc_u32_e32 v1, s31, v6
	s_delay_alu instid0(VALU_DEP_1) | instskip(SKIP_1) | instid1(SALU_CYCLE_1)
	v_cmp_le_i32_e32 vcc_lo, s23, v1
	s_or_b32 s34, vcc_lo, s30
	s_and_saveexec_b32 s35, s34
	s_delay_alu instid0(SALU_CYCLE_1)
	s_xor_b32 s34, exec_lo, s35
; %bb.15:                               ;   in Loop: Header=BB406_10 Depth=2
	v_dual_mov_b32 v1, v0 :: v_dual_mov_b32 v2, v0
	v_mov_b32_e32 v3, v0
	ds_store_b128 v9, v[0:3]
; %bb.16:                               ;   in Loop: Header=BB406_10 Depth=2
	s_and_not1_saveexec_b32 s34, s34
	s_cbranch_execz .LBB406_9
; %bb.17:                               ;   in Loop: Header=BB406_10 Depth=2
	flat_load_b128 v[44:47], v[32:33]
	s_wait_loadcnt_dscnt 0x0
	ds_store_2addr_b64 v9, v[44:45], v[46:47] offset1:1
	s_branch .LBB406_9
.LBB406_18:                             ;   in Loop: Header=BB406_7 Depth=1
	s_wait_loadcnt 0x0
	v_add_nc_u64_e32 v[30:31], s[0:1], v[4:5]
	s_delay_alu instid0(VALU_DEP_1)
	v_lshl_add_u64 v[32:33], v[12:13], 4, v[30:31]
	s_wait_xcnt 0x0
	s_and_saveexec_b32 s31, s26
	s_cbranch_execz .LBB406_23
; %bb.19:                               ;   in Loop: Header=BB406_7 Depth=1
	v_mul_f64_e32 v[2:3], s[14:15], v[40:41]
	v_mul_f64_e32 v[4:5], s[12:13], v[40:41]
	s_and_b32 vcc_lo, exec_lo, s22
	s_mov_b32 s34, -1
	s_delay_alu instid0(VALU_DEP_2) | instskip(NEXT) | instid1(VALU_DEP_2)
	v_fma_f64 v[2:3], s[12:13], v[38:39], -v[2:3]
	v_fmac_f64_e32 v[4:5], s[14:15], v[38:39]
	v_lshl_add_u64 v[38:39], v[10:11], 4, v[32:33]
	s_cbranch_vccz .LBB406_21
; %bb.20:                               ;   in Loop: Header=BB406_7 Depth=1
	flat_load_b128 v[44:47], v[38:39]
	s_mov_b32 s34, 0
	s_wait_loadcnt_dscnt 0x0
	v_mul_f64_e32 v[40:41], s[10:11], v[46:47]
	v_mul_f64_e32 v[46:47], s[8:9], v[46:47]
	s_delay_alu instid0(VALU_DEP_2) | instskip(NEXT) | instid1(VALU_DEP_2)
	v_fma_f64 v[40:41], s[8:9], v[44:45], -v[40:41]
	v_fmac_f64_e32 v[46:47], s[10:11], v[44:45]
	s_delay_alu instid0(VALU_DEP_2) | instskip(NEXT) | instid1(VALU_DEP_2)
	v_add_f64_e32 v[44:45], v[2:3], v[40:41]
	v_add_f64_e32 v[46:47], v[4:5], v[46:47]
	flat_store_b128 v[38:39], v[44:47]
.LBB406_21:                             ;   in Loop: Header=BB406_7 Depth=1
	s_and_not1_b32 vcc_lo, exec_lo, s34
	s_cbranch_vccnz .LBB406_23
; %bb.22:                               ;   in Loop: Header=BB406_7 Depth=1
	flat_store_b128 v[38:39], v[2:5]
.LBB406_23:                             ;   in Loop: Header=BB406_7 Depth=1
	s_wait_xcnt 0x0
	s_or_b32 exec_lo, exec_lo, s31
	s_and_saveexec_b32 s31, s33
	s_cbranch_execz .LBB406_28
; %bb.24:                               ;   in Loop: Header=BB406_7 Depth=1
	v_mul_f64_e32 v[2:3], s[14:15], v[36:37]
	v_mul_f64_e32 v[4:5], s[12:13], v[36:37]
	v_lshl_add_u64 v[32:33], v[14:15], 4, v[32:33]
	s_and_not1_b32 vcc_lo, exec_lo, s22
	s_mov_b32 s34, -1
	s_delay_alu instid0(VALU_DEP_3) | instskip(NEXT) | instid1(VALU_DEP_3)
	v_fma_f64 v[2:3], s[12:13], v[34:35], -v[2:3]
	v_fmac_f64_e32 v[4:5], s[14:15], v[34:35]
	s_cbranch_vccnz .LBB406_26
; %bb.25:                               ;   in Loop: Header=BB406_7 Depth=1
	flat_load_b128 v[34:37], v[32:33]
	s_mov_b32 s34, 0
	s_wait_loadcnt_dscnt 0x0
	v_mul_f64_e32 v[38:39], s[10:11], v[36:37]
	v_mul_f64_e32 v[36:37], s[8:9], v[36:37]
	s_delay_alu instid0(VALU_DEP_2) | instskip(NEXT) | instid1(VALU_DEP_2)
	v_fma_f64 v[38:39], s[8:9], v[34:35], -v[38:39]
	v_fmac_f64_e32 v[36:37], s[10:11], v[34:35]
	s_delay_alu instid0(VALU_DEP_2) | instskip(NEXT) | instid1(VALU_DEP_2)
	v_add_f64_e32 v[34:35], v[2:3], v[38:39]
	v_add_f64_e32 v[36:37], v[4:5], v[36:37]
	flat_store_b128 v[32:33], v[34:37]
.LBB406_26:                             ;   in Loop: Header=BB406_7 Depth=1
	s_and_not1_b32 vcc_lo, exec_lo, s34
	s_cbranch_vccnz .LBB406_28
; %bb.27:                               ;   in Loop: Header=BB406_7 Depth=1
	flat_store_b128 v[32:33], v[2:5]
.LBB406_28:                             ;   in Loop: Header=BB406_7 Depth=1
	s_wait_xcnt 0x0
	s_or_b32 exec_lo, exec_lo, s31
	v_lshl_add_u64 v[30:31], v[16:17], 4, v[30:31]
	s_and_saveexec_b32 s31, s16
	s_cbranch_execz .LBB406_33
; %bb.29:                               ;   in Loop: Header=BB406_7 Depth=1
	v_mul_f64_e32 v[2:3], s[14:15], v[28:29]
	v_mul_f64_e32 v[4:5], s[12:13], v[28:29]
	s_and_not1_b32 vcc_lo, exec_lo, s22
	s_mov_b32 s34, -1
	s_delay_alu instid0(VALU_DEP_2) | instskip(NEXT) | instid1(VALU_DEP_2)
	v_fma_f64 v[2:3], s[12:13], v[26:27], -v[2:3]
	v_fmac_f64_e32 v[4:5], s[14:15], v[26:27]
	v_lshl_add_u64 v[26:27], v[10:11], 4, v[30:31]
	s_cbranch_vccnz .LBB406_31
; %bb.30:                               ;   in Loop: Header=BB406_7 Depth=1
	flat_load_b128 v[32:35], v[26:27]
	s_mov_b32 s34, 0
	s_wait_loadcnt_dscnt 0x0
	v_mul_f64_e32 v[28:29], s[10:11], v[34:35]
	v_mul_f64_e32 v[34:35], s[8:9], v[34:35]
	s_delay_alu instid0(VALU_DEP_2) | instskip(NEXT) | instid1(VALU_DEP_2)
	v_fma_f64 v[28:29], s[8:9], v[32:33], -v[28:29]
	v_fmac_f64_e32 v[34:35], s[10:11], v[32:33]
	s_delay_alu instid0(VALU_DEP_2) | instskip(NEXT) | instid1(VALU_DEP_2)
	v_add_f64_e32 v[32:33], v[2:3], v[28:29]
	v_add_f64_e32 v[34:35], v[4:5], v[34:35]
	flat_store_b128 v[26:27], v[32:35]
.LBB406_31:                             ;   in Loop: Header=BB406_7 Depth=1
	s_and_not1_b32 vcc_lo, exec_lo, s34
	s_cbranch_vccnz .LBB406_33
; %bb.32:                               ;   in Loop: Header=BB406_7 Depth=1
	flat_store_b128 v[26:27], v[2:5]
.LBB406_33:                             ;   in Loop: Header=BB406_7 Depth=1
	s_wait_xcnt 0x0
	s_or_b32 exec_lo, exec_lo, s31
	s_and_saveexec_b32 s31, s17
	s_cbranch_execz .LBB406_6
; %bb.34:                               ;   in Loop: Header=BB406_7 Depth=1
	s_delay_alu instid0(VALU_DEP_4) | instskip(SKIP_3) | instid1(VALU_DEP_2)
	v_mul_f64_e32 v[2:3], s[14:15], v[24:25]
	v_mul_f64_e32 v[4:5], s[12:13], v[24:25]
	s_and_not1_b32 vcc_lo, exec_lo, s22
	s_mov_b32 s34, -1
	v_fma_f64 v[2:3], s[12:13], v[22:23], -v[2:3]
	s_delay_alu instid0(VALU_DEP_2)
	v_fmac_f64_e32 v[4:5], s[14:15], v[22:23]
	v_lshl_add_u64 v[22:23], v[14:15], 4, v[30:31]
	s_cbranch_vccnz .LBB406_36
; %bb.35:                               ;   in Loop: Header=BB406_7 Depth=1
	flat_load_b128 v[24:27], v[22:23]
	s_mov_b32 s34, 0
	s_wait_loadcnt_dscnt 0x0
	v_mul_f64_e32 v[28:29], s[10:11], v[26:27]
	v_mul_f64_e32 v[26:27], s[8:9], v[26:27]
	s_delay_alu instid0(VALU_DEP_2) | instskip(NEXT) | instid1(VALU_DEP_2)
	v_fma_f64 v[28:29], s[8:9], v[24:25], -v[28:29]
	v_fmac_f64_e32 v[26:27], s[10:11], v[24:25]
	s_delay_alu instid0(VALU_DEP_2) | instskip(NEXT) | instid1(VALU_DEP_2)
	v_add_f64_e32 v[24:25], v[2:3], v[28:29]
	v_add_f64_e32 v[26:27], v[4:5], v[26:27]
	flat_store_b128 v[22:23], v[24:27]
.LBB406_36:                             ;   in Loop: Header=BB406_7 Depth=1
	s_and_not1_b32 vcc_lo, exec_lo, s34
	s_cbranch_vccnz .LBB406_6
; %bb.37:                               ;   in Loop: Header=BB406_7 Depth=1
	flat_store_b128 v[22:23], v[2:5]
	s_branch .LBB406_6
.LBB406_38:
.LBB406_39:
	s_sendmsg sendmsg(MSG_DEALLOC_VGPRS)
	s_endpgm
	.section	.rodata,"a",@progbits
	.p2align	6, 0x0
	.amdhsa_kernel _ZL29rocblas_internal_gemmt_kernelIiLi16ELi32ELi8ELc78ELc84ELc76ELb0ELb0E19rocblas_complex_numIdEPKS1_PKS3_PKPS1_EviT_T9_T10_S9_lSB_S9_lSA_T11_S9_li
		.amdhsa_group_segment_fixed_size 8192
		.amdhsa_private_segment_fixed_size 0
		.amdhsa_kernarg_size 100
		.amdhsa_user_sgpr_count 2
		.amdhsa_user_sgpr_dispatch_ptr 0
		.amdhsa_user_sgpr_queue_ptr 0
		.amdhsa_user_sgpr_kernarg_segment_ptr 1
		.amdhsa_user_sgpr_dispatch_id 0
		.amdhsa_user_sgpr_kernarg_preload_length 0
		.amdhsa_user_sgpr_kernarg_preload_offset 0
		.amdhsa_user_sgpr_private_segment_size 0
		.amdhsa_wavefront_size32 1
		.amdhsa_uses_dynamic_stack 0
		.amdhsa_enable_private_segment 0
		.amdhsa_system_sgpr_workgroup_id_x 1
		.amdhsa_system_sgpr_workgroup_id_y 1
		.amdhsa_system_sgpr_workgroup_id_z 1
		.amdhsa_system_sgpr_workgroup_info 0
		.amdhsa_system_vgpr_workitem_id 1
		.amdhsa_next_free_vgpr 132
		.amdhsa_next_free_sgpr 41
		.amdhsa_named_barrier_count 0
		.amdhsa_reserve_vcc 1
		.amdhsa_float_round_mode_32 0
		.amdhsa_float_round_mode_16_64 0
		.amdhsa_float_denorm_mode_32 3
		.amdhsa_float_denorm_mode_16_64 3
		.amdhsa_fp16_overflow 0
		.amdhsa_memory_ordered 1
		.amdhsa_forward_progress 1
		.amdhsa_inst_pref_size 24
		.amdhsa_round_robin_scheduling 0
		.amdhsa_exception_fp_ieee_invalid_op 0
		.amdhsa_exception_fp_denorm_src 0
		.amdhsa_exception_fp_ieee_div_zero 0
		.amdhsa_exception_fp_ieee_overflow 0
		.amdhsa_exception_fp_ieee_underflow 0
		.amdhsa_exception_fp_ieee_inexact 0
		.amdhsa_exception_int_div_zero 0
	.end_amdhsa_kernel
	.section	.text._ZL29rocblas_internal_gemmt_kernelIiLi16ELi32ELi8ELc78ELc84ELc76ELb0ELb0E19rocblas_complex_numIdEPKS1_PKS3_PKPS1_EviT_T9_T10_S9_lSB_S9_lSA_T11_S9_li,"axG",@progbits,_ZL29rocblas_internal_gemmt_kernelIiLi16ELi32ELi8ELc78ELc84ELc76ELb0ELb0E19rocblas_complex_numIdEPKS1_PKS3_PKPS1_EviT_T9_T10_S9_lSB_S9_lSA_T11_S9_li,comdat
.Lfunc_end406:
	.size	_ZL29rocblas_internal_gemmt_kernelIiLi16ELi32ELi8ELc78ELc84ELc76ELb0ELb0E19rocblas_complex_numIdEPKS1_PKS3_PKPS1_EviT_T9_T10_S9_lSB_S9_lSA_T11_S9_li, .Lfunc_end406-_ZL29rocblas_internal_gemmt_kernelIiLi16ELi32ELi8ELc78ELc84ELc76ELb0ELb0E19rocblas_complex_numIdEPKS1_PKS3_PKPS1_EviT_T9_T10_S9_lSB_S9_lSA_T11_S9_li
                                        ; -- End function
	.set _ZL29rocblas_internal_gemmt_kernelIiLi16ELi32ELi8ELc78ELc84ELc76ELb0ELb0E19rocblas_complex_numIdEPKS1_PKS3_PKPS1_EviT_T9_T10_S9_lSB_S9_lSA_T11_S9_li.num_vgpr, 132
	.set _ZL29rocblas_internal_gemmt_kernelIiLi16ELi32ELi8ELc78ELc84ELc76ELb0ELb0E19rocblas_complex_numIdEPKS1_PKS3_PKPS1_EviT_T9_T10_S9_lSB_S9_lSA_T11_S9_li.num_agpr, 0
	.set _ZL29rocblas_internal_gemmt_kernelIiLi16ELi32ELi8ELc78ELc84ELc76ELb0ELb0E19rocblas_complex_numIdEPKS1_PKS3_PKPS1_EviT_T9_T10_S9_lSB_S9_lSA_T11_S9_li.numbered_sgpr, 41
	.set _ZL29rocblas_internal_gemmt_kernelIiLi16ELi32ELi8ELc78ELc84ELc76ELb0ELb0E19rocblas_complex_numIdEPKS1_PKS3_PKPS1_EviT_T9_T10_S9_lSB_S9_lSA_T11_S9_li.num_named_barrier, 0
	.set _ZL29rocblas_internal_gemmt_kernelIiLi16ELi32ELi8ELc78ELc84ELc76ELb0ELb0E19rocblas_complex_numIdEPKS1_PKS3_PKPS1_EviT_T9_T10_S9_lSB_S9_lSA_T11_S9_li.private_seg_size, 0
	.set _ZL29rocblas_internal_gemmt_kernelIiLi16ELi32ELi8ELc78ELc84ELc76ELb0ELb0E19rocblas_complex_numIdEPKS1_PKS3_PKPS1_EviT_T9_T10_S9_lSB_S9_lSA_T11_S9_li.uses_vcc, 1
	.set _ZL29rocblas_internal_gemmt_kernelIiLi16ELi32ELi8ELc78ELc84ELc76ELb0ELb0E19rocblas_complex_numIdEPKS1_PKS3_PKPS1_EviT_T9_T10_S9_lSB_S9_lSA_T11_S9_li.uses_flat_scratch, 0
	.set _ZL29rocblas_internal_gemmt_kernelIiLi16ELi32ELi8ELc78ELc84ELc76ELb0ELb0E19rocblas_complex_numIdEPKS1_PKS3_PKPS1_EviT_T9_T10_S9_lSB_S9_lSA_T11_S9_li.has_dyn_sized_stack, 0
	.set _ZL29rocblas_internal_gemmt_kernelIiLi16ELi32ELi8ELc78ELc84ELc76ELb0ELb0E19rocblas_complex_numIdEPKS1_PKS3_PKPS1_EviT_T9_T10_S9_lSB_S9_lSA_T11_S9_li.has_recursion, 0
	.set _ZL29rocblas_internal_gemmt_kernelIiLi16ELi32ELi8ELc78ELc84ELc76ELb0ELb0E19rocblas_complex_numIdEPKS1_PKS3_PKPS1_EviT_T9_T10_S9_lSB_S9_lSA_T11_S9_li.has_indirect_call, 0
	.section	.AMDGPU.csdata,"",@progbits
; Kernel info:
; codeLenInByte = 3012
; TotalNumSgprs: 43
; NumVgprs: 132
; ScratchSize: 0
; MemoryBound: 0
; FloatMode: 240
; IeeeMode: 1
; LDSByteSize: 8192 bytes/workgroup (compile time only)
; SGPRBlocks: 0
; VGPRBlocks: 8
; NumSGPRsForWavesPerEU: 43
; NumVGPRsForWavesPerEU: 132
; NamedBarCnt: 0
; Occupancy: 7
; WaveLimiterHint : 1
; COMPUTE_PGM_RSRC2:SCRATCH_EN: 0
; COMPUTE_PGM_RSRC2:USER_SGPR: 2
; COMPUTE_PGM_RSRC2:TRAP_HANDLER: 0
; COMPUTE_PGM_RSRC2:TGID_X_EN: 1
; COMPUTE_PGM_RSRC2:TGID_Y_EN: 1
; COMPUTE_PGM_RSRC2:TGID_Z_EN: 1
; COMPUTE_PGM_RSRC2:TIDIG_COMP_CNT: 1
	.section	.text._ZL29rocblas_internal_gemmt_kernelIiLi16ELi32ELi8ELc78ELc67ELc76ELb0ELb1E19rocblas_complex_numIdEPKS1_PKS3_PKPS1_EviT_T9_T10_S9_lSB_S9_lSA_T11_S9_li,"axG",@progbits,_ZL29rocblas_internal_gemmt_kernelIiLi16ELi32ELi8ELc78ELc67ELc76ELb0ELb1E19rocblas_complex_numIdEPKS1_PKS3_PKPS1_EviT_T9_T10_S9_lSB_S9_lSA_T11_S9_li,comdat
	.globl	_ZL29rocblas_internal_gemmt_kernelIiLi16ELi32ELi8ELc78ELc67ELc76ELb0ELb1E19rocblas_complex_numIdEPKS1_PKS3_PKPS1_EviT_T9_T10_S9_lSB_S9_lSA_T11_S9_li ; -- Begin function _ZL29rocblas_internal_gemmt_kernelIiLi16ELi32ELi8ELc78ELc67ELc76ELb0ELb1E19rocblas_complex_numIdEPKS1_PKS3_PKPS1_EviT_T9_T10_S9_lSB_S9_lSA_T11_S9_li
	.p2align	8
	.type	_ZL29rocblas_internal_gemmt_kernelIiLi16ELi32ELi8ELc78ELc67ELc76ELb0ELb1E19rocblas_complex_numIdEPKS1_PKS3_PKPS1_EviT_T9_T10_S9_lSB_S9_lSA_T11_S9_li,@function
_ZL29rocblas_internal_gemmt_kernelIiLi16ELi32ELi8ELc78ELc67ELc76ELb0ELb1E19rocblas_complex_numIdEPKS1_PKS3_PKPS1_EviT_T9_T10_S9_lSB_S9_lSA_T11_S9_li: ; @_ZL29rocblas_internal_gemmt_kernelIiLi16ELi32ELi8ELc78ELc67ELc76ELb0ELb1E19rocblas_complex_numIdEPKS1_PKS3_PKPS1_EviT_T9_T10_S9_lSB_S9_lSA_T11_S9_li
; %bb.0:
	s_load_b128 s[20:23], s[0:1], 0x38
	s_wait_kmcnt 0x0
	s_load_b128 s[8:11], s[22:23], 0x0
	s_load_b128 s[4:7], s[0:1], 0x8
	s_wait_xcnt 0x0
	s_load_b64 s[22:23], s[0:1], 0x0
	s_wait_kmcnt 0x0
	v_cmp_eq_f64_e64 s3, s[8:9], 1.0
	v_cmp_eq_f64_e64 s2, s[10:11], 0
	s_load_b128 s[12:15], s[4:5], 0x0
	s_and_b32 s3, s3, s2
	s_delay_alu instid0(SALU_CYCLE_1)
	s_and_not1_b32 vcc_lo, exec_lo, s3
	s_mov_b32 s3, -1
	s_cbranch_vccnz .LBB407_3
; %bb.1:
	s_cmp_lg_u32 s23, 0
	s_cbranch_scc0 .LBB407_36
; %bb.2:
	s_wait_kmcnt 0x0
	v_cmp_neq_f64_e64 s3, s[12:13], 0
	v_cmp_neq_f64_e64 s4, s[14:15], 0
	s_or_b32 s3, s3, s4
.LBB407_3:
	s_delay_alu instid0(SALU_CYCLE_1)
	s_and_b32 vcc_lo, exec_lo, s3
	s_cbranch_vccz .LBB407_37
; %bb.4:
	s_load_b32 s27, s[0:1], 0x60
	s_bfe_u32 s3, ttmp6, 0x40014
	s_wait_xcnt 0x0
	s_lshr_b32 s4, ttmp7, 16
	s_add_co_i32 s3, s3, 1
	s_bfe_u32 s16, ttmp6, 0x40008
	s_mul_i32 s5, s4, s3
	s_getreg_b32 s3, hwreg(HW_REG_IB_STS2, 6, 4)
	s_add_co_i32 s16, s16, s5
	s_cmp_eq_u32 s3, 0
	s_mov_b32 s29, 0
	s_cselect_b32 s28, s4, s16
	s_wait_kmcnt 0x0
	s_cmp_ge_u32 s28, s27
	s_cbranch_scc1 .LBB407_37
; %bb.5:
	s_clause 0x4
	s_load_b32 s34, s[0:1], 0x18
	s_load_b32 s30, s[0:1], 0x30
	s_load_b96 s[24:26], s[0:1], 0x48
	s_load_b128 s[16:19], s[0:1], 0x20
	s_load_b64 s[36:37], s[0:1], 0x58
	s_wait_xcnt 0x0
	s_bfe_u32 s1, ttmp6, 0x4000c
	s_bfe_u32 s39, ttmp6, 0x40010
	v_and_b32_e32 v1, 0x3ff, v0
	v_bfe_u32 v3, v0, 10, 10
	s_add_co_i32 s1, s1, 1
	s_add_co_i32 s39, s39, 1
	s_and_b32 s0, ttmp6, 15
	s_mul_i32 s1, ttmp9, s1
	s_bfe_u32 s40, ttmp6, 0x40004
	v_and_b32_e32 v6, 7, v0
	v_lshl_add_u32 v0, v3, 4, v1
	s_add_co_i32 s0, s0, s1
	v_cmp_neq_f64_e64 s33, s[12:13], 0
	v_cmp_neq_f64_e64 s38, s[14:15], 0
	v_lshl_add_u32 v45, v3, 7, 0x1000
	s_wait_kmcnt 0x0
	s_ashr_i32 s35, s34, 31
	s_ashr_i32 s31, s30, 31
	;; [unrolled: 1-line block ×3, first 2 shown]
	s_mov_b32 s4, s26
	s_and_b32 s26, ttmp7, 0xffff
	v_lshrrev_b32_e32 v8, 5, v0
	s_mul_i32 s39, s26, s39
	v_dual_lshrrev_b32 v5, 3, v0 :: v_dual_bitop2_b32 v10, 31, v0 bitop3:0x40
	s_add_co_i32 s40, s40, s39
	s_cmp_eq_u32 s3, 0
	s_cselect_b32 s0, ttmp9, s0
	s_cselect_b32 s1, s26, s40
	s_lshl_b32 s3, s0, 5
	s_delay_alu instid0(SALU_CYCLE_1) | instskip(SKIP_1) | instid1(SALU_CYCLE_1)
	v_dual_mov_b32 v0, 0 :: v_dual_bitop2_b32 v2, s3, v10 bitop3:0x54
	s_lshl_b32 s0, s1, 5
	v_dual_lshlrev_b32 v10, 4, v10 :: v_dual_add_nc_u32 v4, s0, v5
	s_delay_alu instid0(VALU_DEP_2) | instskip(SKIP_3) | instid1(VALU_DEP_4)
	v_dual_mov_b32 v7, v0 :: v_dual_mov_b32 v9, v0
	v_add_nc_u32_e32 v20, s0, v3
	v_cmp_neq_f64_e64 s26, s[8:9], 0
	v_ashrrev_i32_e32 v3, 31, v2
	v_mul_u64_e32 v[18:19], s[30:31], v[6:7]
	v_mul_u64_e32 v[22:23], s[34:35], v[8:9]
	v_dual_lshlrev_b32 v9, 4, v6 :: v_dual_add_nc_u32 v24, 16, v20
	v_ashrrev_i32_e32 v21, 31, v20
	v_lshl_or_b32 v7, v8, 9, v10
	v_add_nc_u32_e32 v10, s3, v1
	s_delay_alu instid0(VALU_DEP_4)
	v_lshl_or_b32 v5, v5, 7, v9
	v_ashrrev_i32_e32 v25, 31, v24
	v_mul_u64_e32 v[12:13], s[4:5], v[20:21]
	s_or_b32 s38, s33, s38
	s_cmp_gt_i32 s23, 0
	v_add_nc_u32_e32 v9, 0x1000, v5
	v_mul_u64_e32 v[16:17], s[4:5], v[24:25]
	s_cselect_b32 s39, -1, 0
	v_dual_ashrrev_i32 v5, 31, v4 :: v_dual_add_nc_u32 v14, 16, v10
	s_lshl_b64 s[20:21], s[20:21], 4
	s_xor_b32 s5, s2, -1
	v_cmp_le_i32_e64 s1, v20, v10
	v_cmp_gt_i32_e64 s2, s22, v10
	v_cmp_le_i32_e64 s3, v20, v14
	v_cmp_gt_i32_e64 s4, s22, v14
	s_lshl_b64 s[16:17], s[16:17], 4
	v_cmp_gt_i32_e32 vcc_lo, s22, v2
	v_cmp_gt_i32_e64 s0, s22, v4
	v_dual_lshlrev_b32 v44, 4, v1 :: v_dual_ashrrev_i32 v11, 31, v10
	s_and_b32 s33, s3, s4
	v_cmp_le_i32_e64 s3, v24, v14
	s_or_b32 s22, s26, s5
	s_and_b32 s26, s1, s2
	v_lshl_add_u64 v[18:19], v[18:19], 4, s[20:21]
	v_lshl_add_u64 v[20:21], v[22:23], 4, s[16:17]
	v_cmp_le_i32_e64 s1, v24, v10
	v_ashrrev_i32_e32 v15, 31, v14
	s_and_b32 s20, s3, s4
	v_lshl_add_u64 v[18:19], v[4:5], 4, v[18:19]
	v_lshl_add_u64 v[20:21], v[2:3], 4, v[20:21]
	s_and_b32 s1, s1, s2
	s_lshl_b64 s[2:3], s[34:35], 7
	s_and_b32 s21, s38, s39
	v_or_b32_e32 v18, 8, v18
	s_lshl_b64 s[4:5], s[30:31], 7
	s_xor_b32 s30, vcc_lo, -1
	s_lshl_b64 s[16:17], s[36:37], 4
	s_branch .LBB407_7
.LBB407_6:                              ;   in Loop: Header=BB407_7 Depth=1
	s_wait_xcnt 0x0
	s_or_b32 exec_lo, exec_lo, s31
	s_add_co_i32 s28, s28, 0x10000
	s_delay_alu instid0(SALU_CYCLE_1)
	s_cmp_lt_u32 s28, s27
	s_cbranch_scc0 .LBB407_37
.LBB407_7:                              ; =>This Loop Header: Depth=1
                                        ;     Child Loop BB407_10 Depth 2
	v_mov_b32_e32 v1, s28
	v_mov_b64_e32 v[40:41], 0
	v_mov_b64_e32 v[42:43], 0
	;; [unrolled: 1-line block ×4, first 2 shown]
	global_load_b64 v[26:27], v1, s[24:25] scale_offset
	v_mov_b64_e32 v[28:29], 0
	v_mov_b64_e32 v[30:31], 0
	;; [unrolled: 1-line block ×4, first 2 shown]
	s_and_not1_b32 vcc_lo, exec_lo, s21
	s_cbranch_vccnz .LBB407_16
; %bb.8:                                ;   in Loop: Header=BB407_7 Depth=1
	s_lshl_b64 s[34:35], s[28:29], 3
	v_mov_b64_e32 v[24:25], 0
	s_add_nc_u64 s[36:37], s[6:7], s[34:35]
	s_add_nc_u64 s[34:35], s[18:19], s[34:35]
	s_clause 0x1
	global_load_b64 v[2:3], v0, s[36:37]
	global_load_b64 v[4:5], v0, s[34:35]
	v_mov_b64_e32 v[22:23], 0
	v_mov_b64_e32 v[30:31], 0
	;; [unrolled: 1-line block ×7, first 2 shown]
	s_mov_b32 s31, 0
	s_wait_loadcnt 0x1
	v_add_nc_u64_e32 v[32:33], v[2:3], v[20:21]
	s_wait_loadcnt 0x0
	v_add_nc_u64_e32 v[34:35], v[4:5], v[18:19]
	s_branch .LBB407_10
.LBB407_9:                              ;   in Loop: Header=BB407_10 Depth=2
	s_wait_xcnt 0x0
	s_or_b32 exec_lo, exec_lo, s34
	ds_store_b128 v9, v[2:5]
	s_wait_dscnt 0x0
	s_barrier_signal -1
	s_barrier_wait -1
	ds_load_b128 v[2:5], v45
	ds_load_b128 v[46:49], v44
	ds_load_b128 v[50:53], v44 offset:256
	ds_load_b128 v[54:57], v45 offset:2048
	;; [unrolled: 1-line block ×10, first 2 shown]
	v_add_nc_u64_e32 v[32:33], s[2:3], v[32:33]
	v_add_nc_u64_e32 v[34:35], s[4:5], v[34:35]
	s_add_co_i32 s31, s31, 8
	s_delay_alu instid0(SALU_CYCLE_1)
	s_cmp_lt_i32 s31, s23
	s_wait_dscnt 0xa
	v_mul_f64_e32 v[90:91], v[4:5], v[48:49]
	v_mul_f64_e32 v[92:93], v[2:3], v[48:49]
	s_wait_dscnt 0x9
	v_mul_f64_e32 v[94:95], v[4:5], v[52:53]
	v_mul_f64_e32 v[96:97], v[2:3], v[52:53]
	s_wait_dscnt 0x8
	v_mul_f64_e32 v[98:99], v[56:57], v[48:49]
	v_mul_f64_e32 v[100:101], v[54:55], v[48:49]
	v_mul_f64_e32 v[48:49], v[56:57], v[52:53]
	v_mul_f64_e32 v[102:103], v[54:55], v[52:53]
	s_wait_dscnt 0x6
	v_mul_f64_e32 v[104:105], v[60:61], v[64:65]
	v_mul_f64_e32 v[106:107], v[58:59], v[64:65]
	s_wait_dscnt 0x5
	v_mul_f64_e32 v[108:109], v[60:61], v[68:69]
	v_mul_f64_e32 v[110:111], v[58:59], v[68:69]
	s_wait_dscnt 0x4
	v_mul_f64_e32 v[112:113], v[72:73], v[64:65]
	v_mul_f64_e32 v[64:65], v[70:71], v[64:65]
	v_mul_f64_e32 v[114:115], v[72:73], v[68:69]
	v_mul_f64_e32 v[68:69], v[70:71], v[68:69]
	;; [unrolled: 11-line block ×3, first 2 shown]
	v_fma_f64 v[90:91], v[2:3], v[46:47], -v[90:91]
	v_fmac_f64_e32 v[92:93], v[4:5], v[46:47]
	v_fma_f64 v[94:95], v[2:3], v[50:51], -v[94:95]
	v_fmac_f64_e32 v[96:97], v[4:5], v[50:51]
	;; [unrolled: 2-line block ×8, first 2 shown]
	ds_load_b128 v[2:5], v45 offset:48
	ds_load_b128 v[46:49], v45 offset:2096
	;; [unrolled: 1-line block ×4, first 2 shown]
	v_fma_f64 v[118:119], v[74:75], v[78:79], -v[118:119]
	v_fmac_f64_e32 v[120:121], v[76:77], v[78:79]
	v_fma_f64 v[74:75], v[74:75], v[82:83], -v[122:123]
	v_fmac_f64_e32 v[124:125], v[76:77], v[82:83]
	;; [unrolled: 2-line block ×4, first 2 shown]
	v_add_f64_e32 v[66:67], v[40:41], v[90:91]
	v_add_f64_e32 v[70:71], v[92:93], v[42:43]
	;; [unrolled: 1-line block ×8, first 2 shown]
	s_wait_dscnt 0x1
	v_mul_f64_e32 v[100:101], v[4:5], v[52:53]
	v_mul_f64_e32 v[102:103], v[2:3], v[52:53]
	s_wait_dscnt 0x0
	v_mul_f64_e32 v[108:109], v[4:5], v[56:57]
	v_mul_f64_e32 v[112:113], v[2:3], v[56:57]
	;; [unrolled: 1-line block ×6, first 2 shown]
	ds_load_b128 v[22:25], v45 offset:64
	ds_load_b128 v[28:31], v44 offset:2048
	;; [unrolled: 1-line block ×4, first 2 shown]
	v_add_f64_e32 v[82:83], v[66:67], v[104:105]
	v_add_f64_e32 v[86:87], v[106:107], v[70:71]
	v_add_f64_e32 v[72:73], v[72:73], v[58:59]
	v_add_f64_e32 v[88:89], v[110:111], v[90:91]
	v_add_f64_e32 v[90:91], v[92:93], v[60:61]
	v_add_f64_e32 v[92:93], v[64:65], v[94:95]
	v_add_f64_e32 v[94:95], v[96:97], v[62:63]
	v_add_f64_e32 v[96:97], v[68:69], v[98:99]
	s_wait_dscnt 0x2
	v_mul_f64_e32 v[98:99], v[24:25], v[30:31]
	v_mul_f64_e32 v[104:105], v[22:23], v[30:31]
	s_wait_dscnt 0x1
	v_mul_f64_e32 v[106:107], v[24:25], v[38:39]
	v_mul_f64_e32 v[110:111], v[22:23], v[38:39]
	;; [unrolled: 3-line block ×3, first 2 shown]
	v_mul_f64_e32 v[30:31], v[42:43], v[38:39]
	v_mul_f64_e32 v[128:129], v[40:41], v[38:39]
	v_fma_f64 v[38:39], v[2:3], v[50:51], -v[100:101]
	v_fmac_f64_e32 v[102:103], v[4:5], v[50:51]
	v_fma_f64 v[100:101], v[2:3], v[54:55], -v[108:109]
	v_fmac_f64_e32 v[112:113], v[4:5], v[54:55]
	;; [unrolled: 2-line block ×4, first 2 shown]
	ds_load_b128 v[56:59], v45 offset:80
	ds_load_b128 v[60:63], v45 offset:2128
	;; [unrolled: 1-line block ×4, first 2 shown]
	v_add_f64_e32 v[54:55], v[82:83], v[118:119]
	v_add_f64_e32 v[82:83], v[120:121], v[86:87]
	;; [unrolled: 1-line block ×8, first 2 shown]
	v_fma_f64 v[98:99], v[22:23], v[28:29], -v[98:99]
	v_fmac_f64_e32 v[104:105], v[24:25], v[28:29]
	v_fma_f64 v[106:107], v[22:23], v[36:37], -v[106:107]
	s_wait_dscnt 0x1
	v_mul_f64_e32 v[90:91], v[58:59], v[66:67]
	v_mul_f64_e32 v[92:93], v[56:57], v[66:67]
	s_wait_dscnt 0x0
	v_mul_f64_e32 v[94:95], v[58:59], v[70:71]
	v_mul_f64_e32 v[96:97], v[56:57], v[70:71]
	;; [unrolled: 1-line block ×6, first 2 shown]
	v_fmac_f64_e32 v[110:111], v[24:25], v[36:37]
	v_fma_f64 v[122:123], v[40:41], v[28:29], -v[122:123]
	v_fmac_f64_e32 v[126:127], v[42:43], v[28:29]
	v_fma_f64 v[124:125], v[40:41], v[36:37], -v[30:31]
	v_fmac_f64_e32 v[128:129], v[42:43], v[36:37]
	ds_load_b128 v[2:5], v45 offset:96
	ds_load_b128 v[46:49], v44 offset:3072
	;; [unrolled: 1-line block ×4, first 2 shown]
	v_add_f64_e32 v[54:55], v[54:55], v[38:39]
	v_add_f64_e32 v[82:83], v[102:103], v[82:83]
	;; [unrolled: 1-line block ×8, first 2 shown]
	ds_load_b128 v[22:25], v45 offset:112
	ds_load_b128 v[28:31], v45 offset:2160
	;; [unrolled: 1-line block ×4, first 2 shown]
	s_wait_dscnt 0x0
	v_mul_f64_e32 v[100:101], v[4:5], v[48:49]
	v_mul_f64_e32 v[102:103], v[2:3], v[48:49]
	;; [unrolled: 1-line block ×8, first 2 shown]
	v_fma_f64 v[90:91], v[56:57], v[64:65], -v[90:91]
	v_fmac_f64_e32 v[92:93], v[58:59], v[64:65]
	v_fma_f64 v[56:57], v[56:57], v[68:69], -v[94:95]
	v_fmac_f64_e32 v[96:97], v[58:59], v[68:69]
	;; [unrolled: 2-line block ×4, first 2 shown]
	s_barrier_signal -1
	s_barrier_wait -1
	v_mul_f64_e32 v[94:95], v[22:23], v[42:43]
	v_add_f64_e32 v[54:55], v[54:55], v[98:99]
	v_add_f64_e32 v[62:63], v[104:105], v[82:83]
	;; [unrolled: 1-line block ×8, first 2 shown]
	v_mul_f64_e32 v[84:85], v[24:25], v[38:39]
	v_mul_f64_e32 v[86:87], v[22:23], v[38:39]
	;; [unrolled: 1-line block ×7, first 2 shown]
	v_fma_f64 v[42:43], v[2:3], v[46:47], -v[100:101]
	v_fmac_f64_e32 v[102:103], v[4:5], v[46:47]
	v_fma_f64 v[2:3], v[2:3], v[50:51], -v[108:109]
	v_fmac_f64_e32 v[112:113], v[4:5], v[50:51]
	;; [unrolled: 2-line block ×4, first 2 shown]
	v_fmac_f64_e32 v[94:95], v[24:25], v[40:41]
	v_add_f64_e32 v[50:51], v[54:55], v[90:91]
	v_add_f64_e32 v[54:55], v[92:93], v[62:63]
	;; [unrolled: 1-line block ×8, first 2 shown]
	v_fma_f64 v[68:69], v[22:23], v[36:37], -v[84:85]
	v_fmac_f64_e32 v[86:87], v[24:25], v[36:37]
	v_fma_f64 v[22:23], v[22:23], v[40:41], -v[88:89]
	v_fma_f64 v[24:25], v[28:29], v[36:37], -v[98:99]
	v_fmac_f64_e32 v[104:105], v[30:31], v[36:37]
	v_fma_f64 v[70:71], v[28:29], v[40:41], -v[38:39]
	v_fmac_f64_e32 v[106:107], v[30:31], v[40:41]
	v_add_f64_e32 v[28:29], v[50:51], v[42:43]
	v_add_f64_e32 v[30:31], v[102:103], v[54:55]
	;; [unrolled: 1-line block ×16, first 2 shown]
	s_cbranch_scc0 .LBB407_16
.LBB407_10:                             ;   Parent Loop BB407_7 Depth=1
                                        ; =>  This Inner Loop Header: Depth=2
	s_wait_xcnt 0x2
	v_add_nc_u32_e32 v1, s31, v8
	s_delay_alu instid0(VALU_DEP_1) | instskip(SKIP_2) | instid1(SALU_CYCLE_1)
	v_cmp_le_i32_e32 vcc_lo, s23, v1
	s_wait_xcnt 0x0
	s_or_b32 s34, s30, vcc_lo
	s_and_saveexec_b32 s35, s34
	s_delay_alu instid0(SALU_CYCLE_1)
	s_xor_b32 s34, exec_lo, s35
; %bb.11:                               ;   in Loop: Header=BB407_10 Depth=2
	v_dual_mov_b32 v1, v0 :: v_dual_mov_b32 v2, v0
	v_mov_b32_e32 v3, v0
	ds_store_b128 v7, v[0:3]
; %bb.12:                               ;   in Loop: Header=BB407_10 Depth=2
	s_and_not1_saveexec_b32 s34, s34
	s_cbranch_execz .LBB407_14
; %bb.13:                               ;   in Loop: Header=BB407_10 Depth=2
	flat_load_b128 v[2:5], v[32:33]
	s_wait_loadcnt_dscnt 0x0
	ds_store_2addr_b64 v7, v[2:3], v[4:5] offset1:1
.LBB407_14:                             ;   in Loop: Header=BB407_10 Depth=2
	s_wait_xcnt 0x0
	s_or_b32 exec_lo, exec_lo, s34
	v_add_nc_u32_e32 v1, s31, v6
	v_mov_b64_e32 v[2:3], 0
	v_mov_b64_e32 v[4:5], 0
	s_delay_alu instid0(VALU_DEP_3) | instskip(SKIP_1) | instid1(SALU_CYCLE_1)
	v_cmp_gt_i32_e32 vcc_lo, s23, v1
	s_and_b32 s35, vcc_lo, s0
	s_and_saveexec_b32 s34, s35
	s_cbranch_execz .LBB407_9
; %bb.15:                               ;   in Loop: Header=BB407_10 Depth=2
	flat_load_b128 v[2:5], v[34:35] offset:-8
	s_wait_loadcnt_dscnt 0x0
	v_xor_b32_e32 v5, 0x80000000, v5
	s_branch .LBB407_9
.LBB407_16:                             ;   in Loop: Header=BB407_7 Depth=1
	s_wait_loadcnt 0x0
	v_add_nc_u64_e32 v[26:27], s[16:17], v[26:27]
	s_delay_alu instid0(VALU_DEP_1)
	v_lshl_add_u64 v[32:33], v[12:13], 4, v[26:27]
	s_wait_xcnt 0x0
	s_and_saveexec_b32 s31, s26
	s_cbranch_execz .LBB407_21
; %bb.17:                               ;   in Loop: Header=BB407_7 Depth=1
	v_mul_f64_e32 v[2:3], s[14:15], v[42:43]
	v_mul_f64_e32 v[4:5], s[12:13], v[42:43]
	v_lshl_add_u64 v[34:35], v[10:11], 4, v[32:33]
	s_and_b32 vcc_lo, exec_lo, s22
	s_mov_b32 s34, -1
	s_delay_alu instid0(VALU_DEP_3) | instskip(NEXT) | instid1(VALU_DEP_3)
	v_fma_f64 v[2:3], s[12:13], v[40:41], -v[2:3]
	v_fmac_f64_e32 v[4:5], s[14:15], v[40:41]
	s_cbranch_vccz .LBB407_19
; %bb.18:                               ;   in Loop: Header=BB407_7 Depth=1
	flat_load_b128 v[40:43], v[34:35]
	s_mov_b32 s34, 0
	s_wait_loadcnt_dscnt 0x0
	v_mul_f64_e32 v[46:47], s[10:11], v[42:43]
	v_mul_f64_e32 v[42:43], s[8:9], v[42:43]
	s_delay_alu instid0(VALU_DEP_2) | instskip(NEXT) | instid1(VALU_DEP_2)
	v_fma_f64 v[46:47], s[8:9], v[40:41], -v[46:47]
	v_fmac_f64_e32 v[42:43], s[10:11], v[40:41]
	s_delay_alu instid0(VALU_DEP_2) | instskip(NEXT) | instid1(VALU_DEP_2)
	v_add_f64_e32 v[40:41], v[2:3], v[46:47]
	v_add_f64_e32 v[42:43], v[4:5], v[42:43]
	flat_store_b128 v[34:35], v[40:43]
.LBB407_19:                             ;   in Loop: Header=BB407_7 Depth=1
	s_and_not1_b32 vcc_lo, exec_lo, s34
	s_cbranch_vccnz .LBB407_21
; %bb.20:                               ;   in Loop: Header=BB407_7 Depth=1
	flat_store_b128 v[34:35], v[2:5]
.LBB407_21:                             ;   in Loop: Header=BB407_7 Depth=1
	s_wait_xcnt 0x0
	s_or_b32 exec_lo, exec_lo, s31
	s_and_saveexec_b32 s31, s33
	s_cbranch_execz .LBB407_26
; %bb.22:                               ;   in Loop: Header=BB407_7 Depth=1
	v_mul_f64_e32 v[2:3], s[14:15], v[38:39]
	v_mul_f64_e32 v[4:5], s[12:13], v[38:39]
	v_lshl_add_u64 v[32:33], v[14:15], 4, v[32:33]
	s_and_not1_b32 vcc_lo, exec_lo, s22
	s_mov_b32 s34, -1
	s_delay_alu instid0(VALU_DEP_3) | instskip(NEXT) | instid1(VALU_DEP_3)
	v_fma_f64 v[2:3], s[12:13], v[36:37], -v[2:3]
	v_fmac_f64_e32 v[4:5], s[14:15], v[36:37]
	s_cbranch_vccnz .LBB407_24
; %bb.23:                               ;   in Loop: Header=BB407_7 Depth=1
	flat_load_b128 v[34:37], v[32:33]
	s_mov_b32 s34, 0
	s_wait_loadcnt_dscnt 0x0
	v_mul_f64_e32 v[38:39], s[10:11], v[36:37]
	v_mul_f64_e32 v[36:37], s[8:9], v[36:37]
	s_delay_alu instid0(VALU_DEP_2) | instskip(NEXT) | instid1(VALU_DEP_2)
	v_fma_f64 v[38:39], s[8:9], v[34:35], -v[38:39]
	v_fmac_f64_e32 v[36:37], s[10:11], v[34:35]
	s_delay_alu instid0(VALU_DEP_2) | instskip(NEXT) | instid1(VALU_DEP_2)
	v_add_f64_e32 v[34:35], v[2:3], v[38:39]
	v_add_f64_e32 v[36:37], v[4:5], v[36:37]
	flat_store_b128 v[32:33], v[34:37]
.LBB407_24:                             ;   in Loop: Header=BB407_7 Depth=1
	s_and_not1_b32 vcc_lo, exec_lo, s34
	s_cbranch_vccnz .LBB407_26
; %bb.25:                               ;   in Loop: Header=BB407_7 Depth=1
	flat_store_b128 v[32:33], v[2:5]
.LBB407_26:                             ;   in Loop: Header=BB407_7 Depth=1
	s_wait_xcnt 0x0
	s_or_b32 exec_lo, exec_lo, s31
	v_lshl_add_u64 v[26:27], v[16:17], 4, v[26:27]
	s_and_saveexec_b32 s31, s1
	s_cbranch_execz .LBB407_31
; %bb.27:                               ;   in Loop: Header=BB407_7 Depth=1
	v_mul_f64_e32 v[2:3], s[14:15], v[30:31]
	v_mul_f64_e32 v[4:5], s[12:13], v[30:31]
	s_and_not1_b32 vcc_lo, exec_lo, s22
	s_mov_b32 s34, -1
	s_delay_alu instid0(VALU_DEP_2) | instskip(NEXT) | instid1(VALU_DEP_2)
	v_fma_f64 v[2:3], s[12:13], v[28:29], -v[2:3]
	v_fmac_f64_e32 v[4:5], s[14:15], v[28:29]
	v_lshl_add_u64 v[28:29], v[10:11], 4, v[26:27]
	s_cbranch_vccnz .LBB407_29
; %bb.28:                               ;   in Loop: Header=BB407_7 Depth=1
	flat_load_b128 v[30:33], v[28:29]
	s_mov_b32 s34, 0
	s_wait_loadcnt_dscnt 0x0
	v_mul_f64_e32 v[34:35], s[10:11], v[32:33]
	v_mul_f64_e32 v[32:33], s[8:9], v[32:33]
	s_delay_alu instid0(VALU_DEP_2) | instskip(NEXT) | instid1(VALU_DEP_2)
	v_fma_f64 v[34:35], s[8:9], v[30:31], -v[34:35]
	v_fmac_f64_e32 v[32:33], s[10:11], v[30:31]
	s_delay_alu instid0(VALU_DEP_2) | instskip(NEXT) | instid1(VALU_DEP_2)
	v_add_f64_e32 v[30:31], v[2:3], v[34:35]
	v_add_f64_e32 v[32:33], v[4:5], v[32:33]
	flat_store_b128 v[28:29], v[30:33]
.LBB407_29:                             ;   in Loop: Header=BB407_7 Depth=1
	s_and_not1_b32 vcc_lo, exec_lo, s34
	s_cbranch_vccnz .LBB407_31
; %bb.30:                               ;   in Loop: Header=BB407_7 Depth=1
	flat_store_b128 v[28:29], v[2:5]
.LBB407_31:                             ;   in Loop: Header=BB407_7 Depth=1
	s_wait_xcnt 0x0
	s_or_b32 exec_lo, exec_lo, s31
	s_and_saveexec_b32 s31, s20
	s_cbranch_execz .LBB407_6
; %bb.32:                               ;   in Loop: Header=BB407_7 Depth=1
	s_delay_alu instid0(VALU_DEP_4) | instskip(SKIP_3) | instid1(VALU_DEP_2)
	v_mul_f64_e32 v[2:3], s[14:15], v[24:25]
	v_mul_f64_e32 v[4:5], s[12:13], v[24:25]
	s_and_not1_b32 vcc_lo, exec_lo, s22
	s_mov_b32 s34, -1
	v_fma_f64 v[2:3], s[12:13], v[22:23], -v[2:3]
	s_delay_alu instid0(VALU_DEP_2)
	v_fmac_f64_e32 v[4:5], s[14:15], v[22:23]
	v_lshl_add_u64 v[22:23], v[14:15], 4, v[26:27]
	s_cbranch_vccnz .LBB407_34
; %bb.33:                               ;   in Loop: Header=BB407_7 Depth=1
	flat_load_b128 v[24:27], v[22:23]
	s_mov_b32 s34, 0
	s_wait_loadcnt_dscnt 0x0
	v_mul_f64_e32 v[28:29], s[10:11], v[26:27]
	v_mul_f64_e32 v[26:27], s[8:9], v[26:27]
	s_delay_alu instid0(VALU_DEP_2) | instskip(NEXT) | instid1(VALU_DEP_2)
	v_fma_f64 v[28:29], s[8:9], v[24:25], -v[28:29]
	v_fmac_f64_e32 v[26:27], s[10:11], v[24:25]
	s_delay_alu instid0(VALU_DEP_2) | instskip(NEXT) | instid1(VALU_DEP_2)
	v_add_f64_e32 v[24:25], v[2:3], v[28:29]
	v_add_f64_e32 v[26:27], v[4:5], v[26:27]
	flat_store_b128 v[22:23], v[24:27]
.LBB407_34:                             ;   in Loop: Header=BB407_7 Depth=1
	s_and_not1_b32 vcc_lo, exec_lo, s34
	s_cbranch_vccnz .LBB407_6
; %bb.35:                               ;   in Loop: Header=BB407_7 Depth=1
	flat_store_b128 v[22:23], v[2:5]
	s_branch .LBB407_6
.LBB407_36:
.LBB407_37:
	s_sendmsg sendmsg(MSG_DEALLOC_VGPRS)
	s_endpgm
	.section	.rodata,"a",@progbits
	.p2align	6, 0x0
	.amdhsa_kernel _ZL29rocblas_internal_gemmt_kernelIiLi16ELi32ELi8ELc78ELc67ELc76ELb0ELb1E19rocblas_complex_numIdEPKS1_PKS3_PKPS1_EviT_T9_T10_S9_lSB_S9_lSA_T11_S9_li
		.amdhsa_group_segment_fixed_size 8192
		.amdhsa_private_segment_fixed_size 0
		.amdhsa_kernarg_size 100
		.amdhsa_user_sgpr_count 2
		.amdhsa_user_sgpr_dispatch_ptr 0
		.amdhsa_user_sgpr_queue_ptr 0
		.amdhsa_user_sgpr_kernarg_segment_ptr 1
		.amdhsa_user_sgpr_dispatch_id 0
		.amdhsa_user_sgpr_kernarg_preload_length 0
		.amdhsa_user_sgpr_kernarg_preload_offset 0
		.amdhsa_user_sgpr_private_segment_size 0
		.amdhsa_wavefront_size32 1
		.amdhsa_uses_dynamic_stack 0
		.amdhsa_enable_private_segment 0
		.amdhsa_system_sgpr_workgroup_id_x 1
		.amdhsa_system_sgpr_workgroup_id_y 1
		.amdhsa_system_sgpr_workgroup_id_z 1
		.amdhsa_system_sgpr_workgroup_info 0
		.amdhsa_system_vgpr_workitem_id 1
		.amdhsa_next_free_vgpr 132
		.amdhsa_next_free_sgpr 41
		.amdhsa_named_barrier_count 0
		.amdhsa_reserve_vcc 1
		.amdhsa_float_round_mode_32 0
		.amdhsa_float_round_mode_16_64 0
		.amdhsa_float_denorm_mode_32 3
		.amdhsa_float_denorm_mode_16_64 3
		.amdhsa_fp16_overflow 0
		.amdhsa_memory_ordered 1
		.amdhsa_forward_progress 1
		.amdhsa_inst_pref_size 24
		.amdhsa_round_robin_scheduling 0
		.amdhsa_exception_fp_ieee_invalid_op 0
		.amdhsa_exception_fp_denorm_src 0
		.amdhsa_exception_fp_ieee_div_zero 0
		.amdhsa_exception_fp_ieee_overflow 0
		.amdhsa_exception_fp_ieee_underflow 0
		.amdhsa_exception_fp_ieee_inexact 0
		.amdhsa_exception_int_div_zero 0
	.end_amdhsa_kernel
	.section	.text._ZL29rocblas_internal_gemmt_kernelIiLi16ELi32ELi8ELc78ELc67ELc76ELb0ELb1E19rocblas_complex_numIdEPKS1_PKS3_PKPS1_EviT_T9_T10_S9_lSB_S9_lSA_T11_S9_li,"axG",@progbits,_ZL29rocblas_internal_gemmt_kernelIiLi16ELi32ELi8ELc78ELc67ELc76ELb0ELb1E19rocblas_complex_numIdEPKS1_PKS3_PKPS1_EviT_T9_T10_S9_lSB_S9_lSA_T11_S9_li,comdat
.Lfunc_end407:
	.size	_ZL29rocblas_internal_gemmt_kernelIiLi16ELi32ELi8ELc78ELc67ELc76ELb0ELb1E19rocblas_complex_numIdEPKS1_PKS3_PKPS1_EviT_T9_T10_S9_lSB_S9_lSA_T11_S9_li, .Lfunc_end407-_ZL29rocblas_internal_gemmt_kernelIiLi16ELi32ELi8ELc78ELc67ELc76ELb0ELb1E19rocblas_complex_numIdEPKS1_PKS3_PKPS1_EviT_T9_T10_S9_lSB_S9_lSA_T11_S9_li
                                        ; -- End function
	.set _ZL29rocblas_internal_gemmt_kernelIiLi16ELi32ELi8ELc78ELc67ELc76ELb0ELb1E19rocblas_complex_numIdEPKS1_PKS3_PKPS1_EviT_T9_T10_S9_lSB_S9_lSA_T11_S9_li.num_vgpr, 132
	.set _ZL29rocblas_internal_gemmt_kernelIiLi16ELi32ELi8ELc78ELc67ELc76ELb0ELb1E19rocblas_complex_numIdEPKS1_PKS3_PKPS1_EviT_T9_T10_S9_lSB_S9_lSA_T11_S9_li.num_agpr, 0
	.set _ZL29rocblas_internal_gemmt_kernelIiLi16ELi32ELi8ELc78ELc67ELc76ELb0ELb1E19rocblas_complex_numIdEPKS1_PKS3_PKPS1_EviT_T9_T10_S9_lSB_S9_lSA_T11_S9_li.numbered_sgpr, 41
	.set _ZL29rocblas_internal_gemmt_kernelIiLi16ELi32ELi8ELc78ELc67ELc76ELb0ELb1E19rocblas_complex_numIdEPKS1_PKS3_PKPS1_EviT_T9_T10_S9_lSB_S9_lSA_T11_S9_li.num_named_barrier, 0
	.set _ZL29rocblas_internal_gemmt_kernelIiLi16ELi32ELi8ELc78ELc67ELc76ELb0ELb1E19rocblas_complex_numIdEPKS1_PKS3_PKPS1_EviT_T9_T10_S9_lSB_S9_lSA_T11_S9_li.private_seg_size, 0
	.set _ZL29rocblas_internal_gemmt_kernelIiLi16ELi32ELi8ELc78ELc67ELc76ELb0ELb1E19rocblas_complex_numIdEPKS1_PKS3_PKPS1_EviT_T9_T10_S9_lSB_S9_lSA_T11_S9_li.uses_vcc, 1
	.set _ZL29rocblas_internal_gemmt_kernelIiLi16ELi32ELi8ELc78ELc67ELc76ELb0ELb1E19rocblas_complex_numIdEPKS1_PKS3_PKPS1_EviT_T9_T10_S9_lSB_S9_lSA_T11_S9_li.uses_flat_scratch, 0
	.set _ZL29rocblas_internal_gemmt_kernelIiLi16ELi32ELi8ELc78ELc67ELc76ELb0ELb1E19rocblas_complex_numIdEPKS1_PKS3_PKPS1_EviT_T9_T10_S9_lSB_S9_lSA_T11_S9_li.has_dyn_sized_stack, 0
	.set _ZL29rocblas_internal_gemmt_kernelIiLi16ELi32ELi8ELc78ELc67ELc76ELb0ELb1E19rocblas_complex_numIdEPKS1_PKS3_PKPS1_EviT_T9_T10_S9_lSB_S9_lSA_T11_S9_li.has_recursion, 0
	.set _ZL29rocblas_internal_gemmt_kernelIiLi16ELi32ELi8ELc78ELc67ELc76ELb0ELb1E19rocblas_complex_numIdEPKS1_PKS3_PKPS1_EviT_T9_T10_S9_lSB_S9_lSA_T11_S9_li.has_indirect_call, 0
	.section	.AMDGPU.csdata,"",@progbits
; Kernel info:
; codeLenInByte = 2992
; TotalNumSgprs: 43
; NumVgprs: 132
; ScratchSize: 0
; MemoryBound: 1
; FloatMode: 240
; IeeeMode: 1
; LDSByteSize: 8192 bytes/workgroup (compile time only)
; SGPRBlocks: 0
; VGPRBlocks: 8
; NumSGPRsForWavesPerEU: 43
; NumVGPRsForWavesPerEU: 132
; NamedBarCnt: 0
; Occupancy: 7
; WaveLimiterHint : 1
; COMPUTE_PGM_RSRC2:SCRATCH_EN: 0
; COMPUTE_PGM_RSRC2:USER_SGPR: 2
; COMPUTE_PGM_RSRC2:TRAP_HANDLER: 0
; COMPUTE_PGM_RSRC2:TGID_X_EN: 1
; COMPUTE_PGM_RSRC2:TGID_Y_EN: 1
; COMPUTE_PGM_RSRC2:TGID_Z_EN: 1
; COMPUTE_PGM_RSRC2:TIDIG_COMP_CNT: 1
	.section	.text._ZL29rocblas_internal_gemmt_kernelIiLi16ELi32ELi8ELc84ELc78ELc76ELb0ELb0E19rocblas_complex_numIdEPKS1_PKS3_PKPS1_EviT_T9_T10_S9_lSB_S9_lSA_T11_S9_li,"axG",@progbits,_ZL29rocblas_internal_gemmt_kernelIiLi16ELi32ELi8ELc84ELc78ELc76ELb0ELb0E19rocblas_complex_numIdEPKS1_PKS3_PKPS1_EviT_T9_T10_S9_lSB_S9_lSA_T11_S9_li,comdat
	.globl	_ZL29rocblas_internal_gemmt_kernelIiLi16ELi32ELi8ELc84ELc78ELc76ELb0ELb0E19rocblas_complex_numIdEPKS1_PKS3_PKPS1_EviT_T9_T10_S9_lSB_S9_lSA_T11_S9_li ; -- Begin function _ZL29rocblas_internal_gemmt_kernelIiLi16ELi32ELi8ELc84ELc78ELc76ELb0ELb0E19rocblas_complex_numIdEPKS1_PKS3_PKPS1_EviT_T9_T10_S9_lSB_S9_lSA_T11_S9_li
	.p2align	8
	.type	_ZL29rocblas_internal_gemmt_kernelIiLi16ELi32ELi8ELc84ELc78ELc76ELb0ELb0E19rocblas_complex_numIdEPKS1_PKS3_PKPS1_EviT_T9_T10_S9_lSB_S9_lSA_T11_S9_li,@function
_ZL29rocblas_internal_gemmt_kernelIiLi16ELi32ELi8ELc84ELc78ELc76ELb0ELb0E19rocblas_complex_numIdEPKS1_PKS3_PKPS1_EviT_T9_T10_S9_lSB_S9_lSA_T11_S9_li: ; @_ZL29rocblas_internal_gemmt_kernelIiLi16ELi32ELi8ELc84ELc78ELc76ELb0ELb0E19rocblas_complex_numIdEPKS1_PKS3_PKPS1_EviT_T9_T10_S9_lSB_S9_lSA_T11_S9_li
; %bb.0:
	s_load_b128 s[20:23], s[0:1], 0x38
	s_wait_kmcnt 0x0
	s_load_b128 s[8:11], s[22:23], 0x0
	s_load_b128 s[4:7], s[0:1], 0x8
	s_wait_xcnt 0x0
	s_load_b64 s[22:23], s[0:1], 0x0
	s_wait_kmcnt 0x0
	v_cmp_eq_f64_e64 s2, s[8:9], 1.0
	v_cmp_eq_f64_e64 s33, s[10:11], 0
	s_load_b128 s[12:15], s[4:5], 0x0
	s_and_b32 s2, s2, s33
	s_delay_alu instid0(SALU_CYCLE_1)
	s_and_not1_b32 vcc_lo, exec_lo, s2
	s_mov_b32 s2, -1
	s_cbranch_vccnz .LBB408_3
; %bb.1:
	s_cmp_lg_u32 s23, 0
	s_cbranch_scc0 .LBB408_38
; %bb.2:
	s_wait_kmcnt 0x0
	v_cmp_neq_f64_e64 s2, s[12:13], 0
	v_cmp_neq_f64_e64 s3, s[14:15], 0
	s_or_b32 s2, s2, s3
.LBB408_3:
	s_delay_alu instid0(SALU_CYCLE_1)
	s_and_b32 vcc_lo, exec_lo, s2
	s_cbranch_vccz .LBB408_39
; %bb.4:
	s_load_b32 s27, s[0:1], 0x60
	s_bfe_u32 s2, ttmp6, 0x40014
	s_lshr_b32 s3, ttmp7, 16
	s_add_co_i32 s2, s2, 1
	s_wait_xcnt 0x0
	s_bfe_u32 s4, ttmp6, 0x40008
	s_mul_i32 s2, s3, s2
	s_getreg_b32 s34, hwreg(HW_REG_IB_STS2, 6, 4)
	s_add_co_i32 s4, s4, s2
	s_cmp_eq_u32 s34, 0
	s_mov_b32 s29, 0
	s_cselect_b32 s28, s3, s4
	s_wait_kmcnt 0x0
	s_cmp_ge_u32 s28, s27
	s_cbranch_scc1 .LBB408_39
; %bb.5:
	s_clause 0x4
	s_load_b32 s4, s[0:1], 0x18
	s_load_b32 s2, s[0:1], 0x30
	s_load_b96 s[24:26], s[0:1], 0x48
	s_load_b128 s[16:19], s[0:1], 0x20
	s_load_b64 s[30:31], s[0:1], 0x58
	s_wait_xcnt 0x0
	s_bfe_u32 s1, ttmp6, 0x4000c
	s_bfe_u32 s3, ttmp6, 0x40010
	v_and_b32_e32 v7, 0x3ff, v0
	v_bfe_u32 v11, v0, 10, 10
	s_and_b32 s38, ttmp7, 0xffff
	s_add_co_i32 s1, s1, 1
	s_add_co_i32 s39, s3, 1
	s_and_b32 s0, ttmp6, 15
	s_mul_i32 s1, ttmp9, s1
	s_mul_i32 s39, s38, s39
	s_bfe_u32 s40, ttmp6, 0x40004
	v_lshl_add_u32 v1, v11, 4, v7
	s_add_co_i32 s0, s0, s1
	s_add_co_i32 s40, s40, s39
	v_and_b32_e32 v39, 7, v0
	v_cmp_neq_f64_e64 s36, s[12:13], 0
	s_wait_kmcnt 0x0
	s_ashr_i32 s5, s4, 31
	s_ashr_i32 s3, s2, 31
	;; [unrolled: 1-line block ×3, first 2 shown]
	s_cmp_eq_u32 s34, 0
	v_dual_lshrrev_b32 v38, 5, v1 :: v_dual_lshrrev_b32 v6, 3, v1
	s_cselect_b32 s0, ttmp9, s0
	s_cselect_b32 s1, s38, s40
	s_lshl_b32 s38, s0, 5
	s_lshl_b32 s0, s1, 5
	s_delay_alu instid0(SALU_CYCLE_1)
	v_dual_add_nc_u32 v2, s0, v6 :: v_dual_bitop2_b32 v8, 31, v1 bitop3:0x40
	v_cmp_neq_f64_e64 s37, s[14:15], 0
	v_cmp_neq_f64_e64 s39, s[8:9], 0
	s_mov_b32 s34, s26
	v_dual_ashrrev_i32 v3, 31, v2 :: v_dual_bitop2_b32 v0, s38, v8 bitop3:0x54
	v_lshl_add_u32 v43, v11, 7, 0x1000
	v_add_nc_u32_e32 v14, s0, v11
	v_cmp_gt_i32_e64 s0, s22, v2
	s_delay_alu instid0(VALU_DEP_4) | instskip(SKIP_1) | instid1(VALU_DEP_4)
	v_ashrrev_i32_e32 v1, 31, v0
	v_mul_u64_e32 v[18:19], s[2:3], v[2:3]
	v_dual_lshlrev_b32 v16, 4, v39 :: v_dual_add_nc_u32 v20, 16, v14
	v_ashrrev_i32_e32 v15, 31, v14
	s_delay_alu instid0(VALU_DEP_4)
	v_mul_u64_e32 v[4:5], s[4:5], v[0:1]
	v_lshlrev_b32_e32 v1, 4, v8
	v_cmp_gt_i32_e32 vcc_lo, s22, v0
	v_lshl_or_b32 v0, v6, 7, v16
	v_dual_add_nc_u32 v6, s38, v7 :: v_dual_ashrrev_i32 v21, 31, v20
	v_lshlrev_b32_e32 v42, 4, v7
	v_mul_u64_e32 v[8:9], s[34:35], v[14:15]
	s_delay_alu instid0(VALU_DEP_4) | instskip(NEXT) | instid1(VALU_DEP_4)
	v_dual_mov_b32 v0, 0 :: v_dual_add_nc_u32 v41, 0x1000, v0
	v_dual_add_nc_u32 v10, 16, v6 :: v_dual_ashrrev_i32 v7, 31, v6
	v_mul_u64_e32 v[12:13], s[34:35], v[20:21]
	v_cmp_le_i32_e64 s1, v14, v6
	v_cmp_gt_i32_e64 s2, s22, v6
	s_delay_alu instid0(VALU_DEP_4)
	v_cmp_le_i32_e64 s3, v14, v10
	v_cmp_gt_i32_e64 s4, s22, v10
	v_dual_mov_b32 v17, v0 :: v_dual_ashrrev_i32 v11, 31, v10
	s_or_b32 s36, s36, s37
	s_cmp_gt_i32 s23, 0
	v_lshl_or_b32 v40, v38, 9, v1
	s_cselect_b32 s37, -1, 0
	s_lshl_b64 s[16:17], s[16:17], 4
	s_and_b32 s22, s1, s2
	s_and_b32 s26, s3, s4
	v_cmp_le_i32_e64 s1, v20, v6
	v_cmp_le_i32_e64 s3, v20, v10
	s_xor_b32 s5, s33, -1
	s_delay_alu instid0(SALU_CYCLE_1)
	s_or_b32 s5, s39, s5
	s_and_b32 s2, s1, s2
	v_lshl_add_u64 v[2:3], v[4:5], 4, s[16:17]
	s_lshl_b64 s[16:17], s[20:21], 4
	v_dual_mov_b32 v5, v0 :: v_dual_lshlrev_b32 v4, 4, v38
	v_lshl_add_u64 v[18:19], v[18:19], 4, s[16:17]
	s_and_b32 s3, s3, s4
	s_and_b32 s4, s36, s37
	s_xor_b32 s16, vcc_lo, -1
	v_add_nc_u64_e32 v[14:15], v[2:3], v[4:5]
	v_add_nc_u64_e32 v[16:17], v[18:19], v[16:17]
	s_xor_b32 s17, s0, -1
	s_lshl_b64 s[0:1], s[30:31], 4
	s_branch .LBB408_7
.LBB408_6:                              ;   in Loop: Header=BB408_7 Depth=1
	s_wait_xcnt 0x0
	s_or_b32 exec_lo, exec_lo, s20
	s_add_co_i32 s28, s28, 0x10000
	s_delay_alu instid0(SALU_CYCLE_1)
	s_cmp_lt_u32 s28, s27
	s_cbranch_scc0 .LBB408_39
.LBB408_7:                              ; =>This Loop Header: Depth=1
                                        ;     Child Loop BB408_10 Depth 2
	v_mov_b32_e32 v1, s28
	v_mov_b64_e32 v[34:35], 0
	v_mov_b64_e32 v[36:37], 0
	;; [unrolled: 1-line block ×4, first 2 shown]
	global_load_b64 v[4:5], v1, s[24:25] scale_offset
	v_mov_b64_e32 v[22:23], 0
	v_mov_b64_e32 v[24:25], 0
	;; [unrolled: 1-line block ×4, first 2 shown]
	s_and_not1_b32 vcc_lo, exec_lo, s4
	s_cbranch_vccnz .LBB408_18
; %bb.8:                                ;   in Loop: Header=BB408_7 Depth=1
	s_lshl_b64 s[20:21], s[28:29], 3
	v_mov_b64_e32 v[20:21], 0
	s_add_nc_u64 s[30:31], s[6:7], s[20:21]
	s_add_nc_u64 s[20:21], s[18:19], s[20:21]
	s_clause 0x1
	global_load_b64 v[2:3], v0, s[30:31]
	global_load_b64 v[28:29], v0, s[20:21]
	v_mov_b64_e32 v[18:19], 0
	v_mov_b64_e32 v[24:25], 0
	v_mov_b64_e32 v[22:23], 0
	v_mov_b64_e32 v[32:33], 0
	v_mov_b64_e32 v[30:31], 0
	v_mov_b64_e32 v[36:37], 0
	v_mov_b64_e32 v[34:35], 0
	s_wait_xcnt 0x0
	s_mov_b32 s20, 0
	s_wait_loadcnt 0x1
	v_add_nc_u64_e32 v[26:27], v[2:3], v[14:15]
	s_wait_loadcnt 0x0
	v_add_nc_u64_e32 v[28:29], v[28:29], v[16:17]
	s_branch .LBB408_10
.LBB408_9:                              ;   in Loop: Header=BB408_10 Depth=2
	s_wait_xcnt 0x0
	s_or_b32 exec_lo, exec_lo, s21
	s_wait_dscnt 0x0
	s_barrier_signal -1
	s_barrier_wait -1
	ds_load_b128 v[44:47], v43
	ds_load_b128 v[48:51], v42
	ds_load_b128 v[52:55], v42 offset:256
	ds_load_b128 v[56:59], v43 offset:2048
	;; [unrolled: 1-line block ×10, first 2 shown]
	v_add_nc_u64_e32 v[26:27], 0x80, v[26:27]
	v_add_nc_u64_e32 v[28:29], 0x80, v[28:29]
	s_add_co_i32 s20, s20, 8
	s_delay_alu instid0(SALU_CYCLE_1)
	s_cmp_lt_i32 s20, s23
	s_wait_dscnt 0xa
	v_mul_f64_e32 v[2:3], v[46:47], v[50:51]
	v_mul_f64_e32 v[92:93], v[44:45], v[50:51]
	s_wait_dscnt 0x9
	v_mul_f64_e32 v[94:95], v[46:47], v[54:55]
	v_mul_f64_e32 v[96:97], v[44:45], v[54:55]
	s_wait_dscnt 0x8
	v_mul_f64_e32 v[98:99], v[58:59], v[50:51]
	v_mul_f64_e32 v[100:101], v[56:57], v[50:51]
	v_mul_f64_e32 v[50:51], v[58:59], v[54:55]
	v_mul_f64_e32 v[102:103], v[56:57], v[54:55]
	s_wait_dscnt 0x6
	v_mul_f64_e32 v[104:105], v[62:63], v[66:67]
	v_mul_f64_e32 v[106:107], v[60:61], v[66:67]
	s_wait_dscnt 0x5
	v_mul_f64_e32 v[108:109], v[62:63], v[70:71]
	v_mul_f64_e32 v[110:111], v[60:61], v[70:71]
	s_wait_dscnt 0x4
	v_mul_f64_e32 v[112:113], v[74:75], v[66:67]
	v_mul_f64_e32 v[66:67], v[72:73], v[66:67]
	v_mul_f64_e32 v[114:115], v[74:75], v[70:71]
	v_mul_f64_e32 v[70:71], v[72:73], v[70:71]
	;; [unrolled: 11-line block ×3, first 2 shown]
	v_fma_f64 v[2:3], v[44:45], v[48:49], -v[2:3]
	v_fmac_f64_e32 v[92:93], v[46:47], v[48:49]
	v_fma_f64 v[94:95], v[44:45], v[52:53], -v[94:95]
	v_fmac_f64_e32 v[96:97], v[46:47], v[52:53]
	v_fma_f64 v[98:99], v[56:57], v[48:49], -v[98:99]
	v_fmac_f64_e32 v[100:101], v[58:59], v[48:49]
	v_fma_f64 v[116:117], v[56:57], v[52:53], -v[50:51]
	v_fmac_f64_e32 v[102:103], v[58:59], v[52:53]
	v_fma_f64 v[104:105], v[60:61], v[64:65], -v[104:105]
	v_fmac_f64_e32 v[106:107], v[62:63], v[64:65]
	v_fma_f64 v[60:61], v[60:61], v[68:69], -v[108:109]
	v_fmac_f64_e32 v[110:111], v[62:63], v[68:69]
	v_fma_f64 v[62:63], v[72:73], v[64:65], -v[112:113]
	v_fmac_f64_e32 v[66:67], v[74:75], v[64:65]
	v_fma_f64 v[64:65], v[72:73], v[68:69], -v[114:115]
	v_fmac_f64_e32 v[70:71], v[74:75], v[68:69]
	ds_load_b128 v[44:47], v43 offset:48
	ds_load_b128 v[48:51], v43 offset:2096
	;; [unrolled: 1-line block ×4, first 2 shown]
	v_fma_f64 v[118:119], v[76:77], v[80:81], -v[118:119]
	v_fmac_f64_e32 v[120:121], v[78:79], v[80:81]
	v_fma_f64 v[76:77], v[76:77], v[84:85], -v[122:123]
	v_fmac_f64_e32 v[124:125], v[78:79], v[84:85]
	;; [unrolled: 2-line block ×4, first 2 shown]
	v_add_f64_e32 v[2:3], v[34:35], v[2:3]
	v_add_f64_e32 v[68:69], v[92:93], v[36:37]
	;; [unrolled: 1-line block ×8, first 2 shown]
	s_wait_dscnt 0x1
	v_mul_f64_e32 v[100:101], v[46:47], v[54:55]
	v_mul_f64_e32 v[102:103], v[44:45], v[54:55]
	s_wait_dscnt 0x0
	v_mul_f64_e32 v[108:109], v[46:47], v[58:59]
	v_mul_f64_e32 v[112:113], v[44:45], v[58:59]
	;; [unrolled: 1-line block ×6, first 2 shown]
	ds_load_b128 v[18:21], v43 offset:64
	ds_load_b128 v[22:25], v42 offset:2048
	;; [unrolled: 1-line block ×4, first 2 shown]
	v_add_f64_e32 v[2:3], v[2:3], v[104:105]
	v_add_f64_e32 v[84:85], v[106:107], v[68:69]
	;; [unrolled: 1-line block ×8, first 2 shown]
	s_wait_dscnt 0x2
	v_mul_f64_e32 v[98:99], v[20:21], v[24:25]
	v_mul_f64_e32 v[104:105], v[18:19], v[24:25]
	s_wait_dscnt 0x1
	v_mul_f64_e32 v[106:107], v[20:21], v[32:33]
	v_mul_f64_e32 v[110:111], v[18:19], v[32:33]
	;; [unrolled: 3-line block ×3, first 2 shown]
	v_mul_f64_e32 v[24:25], v[36:37], v[32:33]
	v_mul_f64_e32 v[128:129], v[34:35], v[32:33]
	v_fma_f64 v[32:33], v[44:45], v[52:53], -v[100:101]
	v_fmac_f64_e32 v[102:103], v[46:47], v[52:53]
	v_fma_f64 v[100:101], v[44:45], v[56:57], -v[108:109]
	v_fmac_f64_e32 v[112:113], v[46:47], v[56:57]
	;; [unrolled: 2-line block ×4, first 2 shown]
	ds_load_b128 v[58:61], v43 offset:80
	ds_load_b128 v[62:65], v43 offset:2128
	;; [unrolled: 1-line block ×4, first 2 shown]
	v_add_f64_e32 v[2:3], v[2:3], v[118:119]
	v_add_f64_e32 v[56:57], v[120:121], v[84:85]
	;; [unrolled: 1-line block ×8, first 2 shown]
	v_fma_f64 v[98:99], v[18:19], v[22:23], -v[98:99]
	v_fmac_f64_e32 v[104:105], v[20:21], v[22:23]
	v_fma_f64 v[106:107], v[18:19], v[30:31], -v[106:107]
	s_wait_dscnt 0x1
	v_mul_f64_e32 v[90:91], v[60:61], v[68:69]
	v_mul_f64_e32 v[92:93], v[58:59], v[68:69]
	s_wait_dscnt 0x0
	v_mul_f64_e32 v[94:95], v[60:61], v[72:73]
	v_mul_f64_e32 v[96:97], v[58:59], v[72:73]
	;; [unrolled: 1-line block ×6, first 2 shown]
	v_fmac_f64_e32 v[110:111], v[20:21], v[30:31]
	v_fma_f64 v[122:123], v[34:35], v[22:23], -v[122:123]
	v_fmac_f64_e32 v[126:127], v[36:37], v[22:23]
	v_fma_f64 v[124:125], v[34:35], v[30:31], -v[24:25]
	v_fmac_f64_e32 v[128:129], v[36:37], v[30:31]
	ds_load_b128 v[44:47], v43 offset:96
	ds_load_b128 v[48:51], v42 offset:3072
	;; [unrolled: 1-line block ×4, first 2 shown]
	v_add_f64_e32 v[2:3], v[2:3], v[32:33]
	v_add_f64_e32 v[56:57], v[102:103], v[56:57]
	;; [unrolled: 1-line block ×8, first 2 shown]
	ds_load_b128 v[18:21], v43 offset:112
	ds_load_b128 v[22:25], v43 offset:2160
	;; [unrolled: 1-line block ×4, first 2 shown]
	s_wait_dscnt 0x0
	v_mul_f64_e32 v[100:101], v[46:47], v[50:51]
	v_mul_f64_e32 v[102:103], v[44:45], v[50:51]
	;; [unrolled: 1-line block ×8, first 2 shown]
	v_fma_f64 v[90:91], v[58:59], v[66:67], -v[90:91]
	v_fmac_f64_e32 v[92:93], v[60:61], v[66:67]
	v_fma_f64 v[58:59], v[58:59], v[70:71], -v[94:95]
	v_fmac_f64_e32 v[96:97], v[60:61], v[70:71]
	;; [unrolled: 2-line block ×4, first 2 shown]
	s_barrier_signal -1
	s_barrier_wait -1
	v_mul_f64_e32 v[94:95], v[18:19], v[36:37]
	v_add_f64_e32 v[2:3], v[2:3], v[98:99]
	v_add_f64_e32 v[56:57], v[104:105], v[56:57]
	;; [unrolled: 1-line block ×8, first 2 shown]
	v_mul_f64_e32 v[84:85], v[20:21], v[32:33]
	v_mul_f64_e32 v[86:87], v[18:19], v[32:33]
	;; [unrolled: 1-line block ×7, first 2 shown]
	v_fma_f64 v[36:37], v[44:45], v[48:49], -v[100:101]
	v_fmac_f64_e32 v[102:103], v[46:47], v[48:49]
	v_fma_f64 v[44:45], v[44:45], v[52:53], -v[108:109]
	v_fmac_f64_e32 v[112:113], v[46:47], v[52:53]
	;; [unrolled: 2-line block ×4, first 2 shown]
	v_fmac_f64_e32 v[94:95], v[20:21], v[34:35]
	v_add_f64_e32 v[2:3], v[2:3], v[90:91]
	v_add_f64_e32 v[52:53], v[92:93], v[56:57]
	;; [unrolled: 1-line block ×8, first 2 shown]
	v_fma_f64 v[68:69], v[18:19], v[30:31], -v[84:85]
	v_fmac_f64_e32 v[86:87], v[20:21], v[30:31]
	v_fma_f64 v[18:19], v[18:19], v[34:35], -v[88:89]
	v_fma_f64 v[20:21], v[22:23], v[30:31], -v[98:99]
	v_fmac_f64_e32 v[104:105], v[24:25], v[30:31]
	v_fma_f64 v[70:71], v[22:23], v[34:35], -v[32:33]
	v_fmac_f64_e32 v[106:107], v[24:25], v[34:35]
	v_add_f64_e32 v[2:3], v[2:3], v[36:37]
	v_add_f64_e32 v[22:23], v[102:103], v[52:53]
	;; [unrolled: 1-line block ×16, first 2 shown]
	s_cbranch_scc0 .LBB408_18
.LBB408_10:                             ;   Parent Loop BB408_7 Depth=1
                                        ; =>  This Inner Loop Header: Depth=2
	v_add_nc_u32_e32 v1, s20, v38
	s_delay_alu instid0(VALU_DEP_1) | instskip(SKIP_1) | instid1(SALU_CYCLE_1)
	v_cmp_le_i32_e32 vcc_lo, s23, v1
	s_or_b32 s21, s16, vcc_lo
	s_and_saveexec_b32 s30, s21
	s_delay_alu instid0(SALU_CYCLE_1)
	s_xor_b32 s21, exec_lo, s30
; %bb.11:                               ;   in Loop: Header=BB408_10 Depth=2
	v_dual_mov_b32 v1, v0 :: v_dual_mov_b32 v2, v0
	v_mov_b32_e32 v3, v0
	ds_store_b128 v40, v[0:3]
; %bb.12:                               ;   in Loop: Header=BB408_10 Depth=2
	s_and_not1_saveexec_b32 s21, s21
	s_cbranch_execz .LBB408_14
; %bb.13:                               ;   in Loop: Header=BB408_10 Depth=2
	flat_load_b128 v[44:47], v[26:27]
	s_wait_loadcnt_dscnt 0x0
	ds_store_2addr_b64 v40, v[44:45], v[46:47] offset1:1
.LBB408_14:                             ;   in Loop: Header=BB408_10 Depth=2
	s_wait_xcnt 0x0
	s_or_b32 exec_lo, exec_lo, s21
	v_add_nc_u32_e32 v1, s20, v39
	s_delay_alu instid0(VALU_DEP_1) | instskip(SKIP_1) | instid1(SALU_CYCLE_1)
	v_cmp_le_i32_e32 vcc_lo, s23, v1
	s_or_b32 s21, vcc_lo, s17
	s_and_saveexec_b32 s30, s21
	s_delay_alu instid0(SALU_CYCLE_1)
	s_xor_b32 s21, exec_lo, s30
; %bb.15:                               ;   in Loop: Header=BB408_10 Depth=2
	v_dual_mov_b32 v1, v0 :: v_dual_mov_b32 v2, v0
	v_mov_b32_e32 v3, v0
	ds_store_b128 v41, v[0:3]
; %bb.16:                               ;   in Loop: Header=BB408_10 Depth=2
	s_and_not1_saveexec_b32 s21, s21
	s_cbranch_execz .LBB408_9
; %bb.17:                               ;   in Loop: Header=BB408_10 Depth=2
	flat_load_b128 v[44:47], v[28:29]
	s_wait_loadcnt_dscnt 0x0
	ds_store_2addr_b64 v41, v[44:45], v[46:47] offset1:1
	s_branch .LBB408_9
.LBB408_18:                             ;   in Loop: Header=BB408_7 Depth=1
	s_wait_loadcnt 0x0
	v_add_nc_u64_e32 v[26:27], s[0:1], v[4:5]
	s_delay_alu instid0(VALU_DEP_1)
	v_lshl_add_u64 v[28:29], v[8:9], 4, v[26:27]
	s_wait_xcnt 0x0
	s_and_saveexec_b32 s20, s22
	s_cbranch_execz .LBB408_23
; %bb.19:                               ;   in Loop: Header=BB408_7 Depth=1
	v_mul_f64_e32 v[2:3], s[14:15], v[36:37]
	v_mul_f64_e32 v[4:5], s[12:13], v[36:37]
	s_and_b32 vcc_lo, exec_lo, s5
	s_mov_b32 s21, -1
	s_delay_alu instid0(VALU_DEP_2) | instskip(NEXT) | instid1(VALU_DEP_2)
	v_fma_f64 v[2:3], s[12:13], v[34:35], -v[2:3]
	v_fmac_f64_e32 v[4:5], s[14:15], v[34:35]
	v_lshl_add_u64 v[34:35], v[6:7], 4, v[28:29]
	s_cbranch_vccz .LBB408_21
; %bb.20:                               ;   in Loop: Header=BB408_7 Depth=1
	flat_load_b128 v[44:47], v[34:35]
	s_mov_b32 s21, 0
	s_wait_loadcnt_dscnt 0x0
	v_mul_f64_e32 v[36:37], s[10:11], v[46:47]
	v_mul_f64_e32 v[46:47], s[8:9], v[46:47]
	s_delay_alu instid0(VALU_DEP_2) | instskip(NEXT) | instid1(VALU_DEP_2)
	v_fma_f64 v[36:37], s[8:9], v[44:45], -v[36:37]
	v_fmac_f64_e32 v[46:47], s[10:11], v[44:45]
	s_delay_alu instid0(VALU_DEP_2) | instskip(NEXT) | instid1(VALU_DEP_2)
	v_add_f64_e32 v[44:45], v[2:3], v[36:37]
	v_add_f64_e32 v[46:47], v[4:5], v[46:47]
	flat_store_b128 v[34:35], v[44:47]
.LBB408_21:                             ;   in Loop: Header=BB408_7 Depth=1
	s_and_not1_b32 vcc_lo, exec_lo, s21
	s_cbranch_vccnz .LBB408_23
; %bb.22:                               ;   in Loop: Header=BB408_7 Depth=1
	flat_store_b128 v[34:35], v[2:5]
.LBB408_23:                             ;   in Loop: Header=BB408_7 Depth=1
	s_wait_xcnt 0x0
	s_or_b32 exec_lo, exec_lo, s20
	s_and_saveexec_b32 s20, s26
	s_cbranch_execz .LBB408_28
; %bb.24:                               ;   in Loop: Header=BB408_7 Depth=1
	v_mul_f64_e32 v[2:3], s[14:15], v[32:33]
	v_mul_f64_e32 v[4:5], s[12:13], v[32:33]
	v_lshl_add_u64 v[28:29], v[10:11], 4, v[28:29]
	s_and_not1_b32 vcc_lo, exec_lo, s5
	s_mov_b32 s21, -1
	s_delay_alu instid0(VALU_DEP_3) | instskip(NEXT) | instid1(VALU_DEP_3)
	v_fma_f64 v[2:3], s[12:13], v[30:31], -v[2:3]
	v_fmac_f64_e32 v[4:5], s[14:15], v[30:31]
	s_cbranch_vccnz .LBB408_26
; %bb.25:                               ;   in Loop: Header=BB408_7 Depth=1
	flat_load_b128 v[30:33], v[28:29]
	s_mov_b32 s21, 0
	s_wait_loadcnt_dscnt 0x0
	v_mul_f64_e32 v[34:35], s[10:11], v[32:33]
	v_mul_f64_e32 v[32:33], s[8:9], v[32:33]
	s_delay_alu instid0(VALU_DEP_2) | instskip(NEXT) | instid1(VALU_DEP_2)
	v_fma_f64 v[34:35], s[8:9], v[30:31], -v[34:35]
	v_fmac_f64_e32 v[32:33], s[10:11], v[30:31]
	s_delay_alu instid0(VALU_DEP_2) | instskip(NEXT) | instid1(VALU_DEP_2)
	v_add_f64_e32 v[30:31], v[2:3], v[34:35]
	v_add_f64_e32 v[32:33], v[4:5], v[32:33]
	flat_store_b128 v[28:29], v[30:33]
.LBB408_26:                             ;   in Loop: Header=BB408_7 Depth=1
	s_and_not1_b32 vcc_lo, exec_lo, s21
	s_cbranch_vccnz .LBB408_28
; %bb.27:                               ;   in Loop: Header=BB408_7 Depth=1
	flat_store_b128 v[28:29], v[2:5]
.LBB408_28:                             ;   in Loop: Header=BB408_7 Depth=1
	s_wait_xcnt 0x0
	s_or_b32 exec_lo, exec_lo, s20
	v_lshl_add_u64 v[26:27], v[12:13], 4, v[26:27]
	s_and_saveexec_b32 s20, s2
	s_cbranch_execz .LBB408_33
; %bb.29:                               ;   in Loop: Header=BB408_7 Depth=1
	v_mul_f64_e32 v[2:3], s[14:15], v[24:25]
	v_mul_f64_e32 v[4:5], s[12:13], v[24:25]
	s_and_not1_b32 vcc_lo, exec_lo, s5
	s_mov_b32 s21, -1
	s_delay_alu instid0(VALU_DEP_2) | instskip(NEXT) | instid1(VALU_DEP_2)
	v_fma_f64 v[2:3], s[12:13], v[22:23], -v[2:3]
	v_fmac_f64_e32 v[4:5], s[14:15], v[22:23]
	v_lshl_add_u64 v[22:23], v[6:7], 4, v[26:27]
	s_cbranch_vccnz .LBB408_31
; %bb.30:                               ;   in Loop: Header=BB408_7 Depth=1
	flat_load_b128 v[28:31], v[22:23]
	s_mov_b32 s21, 0
	s_wait_loadcnt_dscnt 0x0
	v_mul_f64_e32 v[24:25], s[10:11], v[30:31]
	v_mul_f64_e32 v[30:31], s[8:9], v[30:31]
	s_delay_alu instid0(VALU_DEP_2) | instskip(NEXT) | instid1(VALU_DEP_2)
	v_fma_f64 v[24:25], s[8:9], v[28:29], -v[24:25]
	v_fmac_f64_e32 v[30:31], s[10:11], v[28:29]
	s_delay_alu instid0(VALU_DEP_2) | instskip(NEXT) | instid1(VALU_DEP_2)
	v_add_f64_e32 v[28:29], v[2:3], v[24:25]
	v_add_f64_e32 v[30:31], v[4:5], v[30:31]
	flat_store_b128 v[22:23], v[28:31]
.LBB408_31:                             ;   in Loop: Header=BB408_7 Depth=1
	s_and_not1_b32 vcc_lo, exec_lo, s21
	s_cbranch_vccnz .LBB408_33
; %bb.32:                               ;   in Loop: Header=BB408_7 Depth=1
	flat_store_b128 v[22:23], v[2:5]
.LBB408_33:                             ;   in Loop: Header=BB408_7 Depth=1
	s_wait_xcnt 0x0
	s_or_b32 exec_lo, exec_lo, s20
	s_and_saveexec_b32 s20, s3
	s_cbranch_execz .LBB408_6
; %bb.34:                               ;   in Loop: Header=BB408_7 Depth=1
	s_delay_alu instid0(VALU_DEP_4) | instskip(SKIP_3) | instid1(VALU_DEP_2)
	v_mul_f64_e32 v[2:3], s[14:15], v[20:21]
	v_mul_f64_e32 v[4:5], s[12:13], v[20:21]
	s_and_not1_b32 vcc_lo, exec_lo, s5
	s_mov_b32 s21, -1
	v_fma_f64 v[2:3], s[12:13], v[18:19], -v[2:3]
	s_delay_alu instid0(VALU_DEP_2)
	v_fmac_f64_e32 v[4:5], s[14:15], v[18:19]
	v_lshl_add_u64 v[18:19], v[10:11], 4, v[26:27]
	s_cbranch_vccnz .LBB408_36
; %bb.35:                               ;   in Loop: Header=BB408_7 Depth=1
	flat_load_b128 v[20:23], v[18:19]
	s_mov_b32 s21, 0
	s_wait_loadcnt_dscnt 0x0
	v_mul_f64_e32 v[24:25], s[10:11], v[22:23]
	v_mul_f64_e32 v[22:23], s[8:9], v[22:23]
	s_delay_alu instid0(VALU_DEP_2) | instskip(NEXT) | instid1(VALU_DEP_2)
	v_fma_f64 v[24:25], s[8:9], v[20:21], -v[24:25]
	v_fmac_f64_e32 v[22:23], s[10:11], v[20:21]
	s_delay_alu instid0(VALU_DEP_2) | instskip(NEXT) | instid1(VALU_DEP_2)
	v_add_f64_e32 v[20:21], v[2:3], v[24:25]
	v_add_f64_e32 v[22:23], v[4:5], v[22:23]
	flat_store_b128 v[18:19], v[20:23]
.LBB408_36:                             ;   in Loop: Header=BB408_7 Depth=1
	s_and_not1_b32 vcc_lo, exec_lo, s21
	s_cbranch_vccnz .LBB408_6
; %bb.37:                               ;   in Loop: Header=BB408_7 Depth=1
	flat_store_b128 v[18:19], v[2:5]
	s_branch .LBB408_6
.LBB408_38:
.LBB408_39:
	s_sendmsg sendmsg(MSG_DEALLOC_VGPRS)
	s_endpgm
	.section	.rodata,"a",@progbits
	.p2align	6, 0x0
	.amdhsa_kernel _ZL29rocblas_internal_gemmt_kernelIiLi16ELi32ELi8ELc84ELc78ELc76ELb0ELb0E19rocblas_complex_numIdEPKS1_PKS3_PKPS1_EviT_T9_T10_S9_lSB_S9_lSA_T11_S9_li
		.amdhsa_group_segment_fixed_size 8192
		.amdhsa_private_segment_fixed_size 0
		.amdhsa_kernarg_size 100
		.amdhsa_user_sgpr_count 2
		.amdhsa_user_sgpr_dispatch_ptr 0
		.amdhsa_user_sgpr_queue_ptr 0
		.amdhsa_user_sgpr_kernarg_segment_ptr 1
		.amdhsa_user_sgpr_dispatch_id 0
		.amdhsa_user_sgpr_kernarg_preload_length 0
		.amdhsa_user_sgpr_kernarg_preload_offset 0
		.amdhsa_user_sgpr_private_segment_size 0
		.amdhsa_wavefront_size32 1
		.amdhsa_uses_dynamic_stack 0
		.amdhsa_enable_private_segment 0
		.amdhsa_system_sgpr_workgroup_id_x 1
		.amdhsa_system_sgpr_workgroup_id_y 1
		.amdhsa_system_sgpr_workgroup_id_z 1
		.amdhsa_system_sgpr_workgroup_info 0
		.amdhsa_system_vgpr_workitem_id 1
		.amdhsa_next_free_vgpr 132
		.amdhsa_next_free_sgpr 41
		.amdhsa_named_barrier_count 0
		.amdhsa_reserve_vcc 1
		.amdhsa_float_round_mode_32 0
		.amdhsa_float_round_mode_16_64 0
		.amdhsa_float_denorm_mode_32 3
		.amdhsa_float_denorm_mode_16_64 3
		.amdhsa_fp16_overflow 0
		.amdhsa_memory_ordered 1
		.amdhsa_forward_progress 1
		.amdhsa_inst_pref_size 24
		.amdhsa_round_robin_scheduling 0
		.amdhsa_exception_fp_ieee_invalid_op 0
		.amdhsa_exception_fp_denorm_src 0
		.amdhsa_exception_fp_ieee_div_zero 0
		.amdhsa_exception_fp_ieee_overflow 0
		.amdhsa_exception_fp_ieee_underflow 0
		.amdhsa_exception_fp_ieee_inexact 0
		.amdhsa_exception_int_div_zero 0
	.end_amdhsa_kernel
	.section	.text._ZL29rocblas_internal_gemmt_kernelIiLi16ELi32ELi8ELc84ELc78ELc76ELb0ELb0E19rocblas_complex_numIdEPKS1_PKS3_PKPS1_EviT_T9_T10_S9_lSB_S9_lSA_T11_S9_li,"axG",@progbits,_ZL29rocblas_internal_gemmt_kernelIiLi16ELi32ELi8ELc84ELc78ELc76ELb0ELb0E19rocblas_complex_numIdEPKS1_PKS3_PKPS1_EviT_T9_T10_S9_lSB_S9_lSA_T11_S9_li,comdat
.Lfunc_end408:
	.size	_ZL29rocblas_internal_gemmt_kernelIiLi16ELi32ELi8ELc84ELc78ELc76ELb0ELb0E19rocblas_complex_numIdEPKS1_PKS3_PKPS1_EviT_T9_T10_S9_lSB_S9_lSA_T11_S9_li, .Lfunc_end408-_ZL29rocblas_internal_gemmt_kernelIiLi16ELi32ELi8ELc84ELc78ELc76ELb0ELb0E19rocblas_complex_numIdEPKS1_PKS3_PKPS1_EviT_T9_T10_S9_lSB_S9_lSA_T11_S9_li
                                        ; -- End function
	.set _ZL29rocblas_internal_gemmt_kernelIiLi16ELi32ELi8ELc84ELc78ELc76ELb0ELb0E19rocblas_complex_numIdEPKS1_PKS3_PKPS1_EviT_T9_T10_S9_lSB_S9_lSA_T11_S9_li.num_vgpr, 132
	.set _ZL29rocblas_internal_gemmt_kernelIiLi16ELi32ELi8ELc84ELc78ELc76ELb0ELb0E19rocblas_complex_numIdEPKS1_PKS3_PKPS1_EviT_T9_T10_S9_lSB_S9_lSA_T11_S9_li.num_agpr, 0
	.set _ZL29rocblas_internal_gemmt_kernelIiLi16ELi32ELi8ELc84ELc78ELc76ELb0ELb0E19rocblas_complex_numIdEPKS1_PKS3_PKPS1_EviT_T9_T10_S9_lSB_S9_lSA_T11_S9_li.numbered_sgpr, 41
	.set _ZL29rocblas_internal_gemmt_kernelIiLi16ELi32ELi8ELc84ELc78ELc76ELb0ELb0E19rocblas_complex_numIdEPKS1_PKS3_PKPS1_EviT_T9_T10_S9_lSB_S9_lSA_T11_S9_li.num_named_barrier, 0
	.set _ZL29rocblas_internal_gemmt_kernelIiLi16ELi32ELi8ELc84ELc78ELc76ELb0ELb0E19rocblas_complex_numIdEPKS1_PKS3_PKPS1_EviT_T9_T10_S9_lSB_S9_lSA_T11_S9_li.private_seg_size, 0
	.set _ZL29rocblas_internal_gemmt_kernelIiLi16ELi32ELi8ELc84ELc78ELc76ELb0ELb0E19rocblas_complex_numIdEPKS1_PKS3_PKPS1_EviT_T9_T10_S9_lSB_S9_lSA_T11_S9_li.uses_vcc, 1
	.set _ZL29rocblas_internal_gemmt_kernelIiLi16ELi32ELi8ELc84ELc78ELc76ELb0ELb0E19rocblas_complex_numIdEPKS1_PKS3_PKPS1_EviT_T9_T10_S9_lSB_S9_lSA_T11_S9_li.uses_flat_scratch, 0
	.set _ZL29rocblas_internal_gemmt_kernelIiLi16ELi32ELi8ELc84ELc78ELc76ELb0ELb0E19rocblas_complex_numIdEPKS1_PKS3_PKPS1_EviT_T9_T10_S9_lSB_S9_lSA_T11_S9_li.has_dyn_sized_stack, 0
	.set _ZL29rocblas_internal_gemmt_kernelIiLi16ELi32ELi8ELc84ELc78ELc76ELb0ELb0E19rocblas_complex_numIdEPKS1_PKS3_PKPS1_EviT_T9_T10_S9_lSB_S9_lSA_T11_S9_li.has_recursion, 0
	.set _ZL29rocblas_internal_gemmt_kernelIiLi16ELi32ELi8ELc84ELc78ELc76ELb0ELb0E19rocblas_complex_numIdEPKS1_PKS3_PKPS1_EviT_T9_T10_S9_lSB_S9_lSA_T11_S9_li.has_indirect_call, 0
	.section	.AMDGPU.csdata,"",@progbits
; Kernel info:
; codeLenInByte = 3012
; TotalNumSgprs: 43
; NumVgprs: 132
; ScratchSize: 0
; MemoryBound: 0
; FloatMode: 240
; IeeeMode: 1
; LDSByteSize: 8192 bytes/workgroup (compile time only)
; SGPRBlocks: 0
; VGPRBlocks: 8
; NumSGPRsForWavesPerEU: 43
; NumVGPRsForWavesPerEU: 132
; NamedBarCnt: 0
; Occupancy: 7
; WaveLimiterHint : 1
; COMPUTE_PGM_RSRC2:SCRATCH_EN: 0
; COMPUTE_PGM_RSRC2:USER_SGPR: 2
; COMPUTE_PGM_RSRC2:TRAP_HANDLER: 0
; COMPUTE_PGM_RSRC2:TGID_X_EN: 1
; COMPUTE_PGM_RSRC2:TGID_Y_EN: 1
; COMPUTE_PGM_RSRC2:TGID_Z_EN: 1
; COMPUTE_PGM_RSRC2:TIDIG_COMP_CNT: 1
	.section	.text._ZL29rocblas_internal_gemmt_kernelIiLi16ELi32ELi8ELc84ELc84ELc76ELb0ELb0E19rocblas_complex_numIdEPKS1_PKS3_PKPS1_EviT_T9_T10_S9_lSB_S9_lSA_T11_S9_li,"axG",@progbits,_ZL29rocblas_internal_gemmt_kernelIiLi16ELi32ELi8ELc84ELc84ELc76ELb0ELb0E19rocblas_complex_numIdEPKS1_PKS3_PKPS1_EviT_T9_T10_S9_lSB_S9_lSA_T11_S9_li,comdat
	.globl	_ZL29rocblas_internal_gemmt_kernelIiLi16ELi32ELi8ELc84ELc84ELc76ELb0ELb0E19rocblas_complex_numIdEPKS1_PKS3_PKPS1_EviT_T9_T10_S9_lSB_S9_lSA_T11_S9_li ; -- Begin function _ZL29rocblas_internal_gemmt_kernelIiLi16ELi32ELi8ELc84ELc84ELc76ELb0ELb0E19rocblas_complex_numIdEPKS1_PKS3_PKPS1_EviT_T9_T10_S9_lSB_S9_lSA_T11_S9_li
	.p2align	8
	.type	_ZL29rocblas_internal_gemmt_kernelIiLi16ELi32ELi8ELc84ELc84ELc76ELb0ELb0E19rocblas_complex_numIdEPKS1_PKS3_PKPS1_EviT_T9_T10_S9_lSB_S9_lSA_T11_S9_li,@function
_ZL29rocblas_internal_gemmt_kernelIiLi16ELi32ELi8ELc84ELc84ELc76ELb0ELb0E19rocblas_complex_numIdEPKS1_PKS3_PKPS1_EviT_T9_T10_S9_lSB_S9_lSA_T11_S9_li: ; @_ZL29rocblas_internal_gemmt_kernelIiLi16ELi32ELi8ELc84ELc84ELc76ELb0ELb0E19rocblas_complex_numIdEPKS1_PKS3_PKPS1_EviT_T9_T10_S9_lSB_S9_lSA_T11_S9_li
; %bb.0:
	s_load_b128 s[20:23], s[0:1], 0x38
	s_wait_kmcnt 0x0
	s_load_b128 s[8:11], s[22:23], 0x0
	s_load_b128 s[4:7], s[0:1], 0x8
	s_wait_xcnt 0x0
	s_load_b64 s[22:23], s[0:1], 0x0
	s_wait_kmcnt 0x0
	v_cmp_eq_f64_e64 s2, s[8:9], 1.0
	v_cmp_eq_f64_e64 s27, s[10:11], 0
	s_load_b128 s[12:15], s[4:5], 0x0
	s_and_b32 s2, s2, s27
	s_delay_alu instid0(SALU_CYCLE_1)
	s_and_not1_b32 vcc_lo, exec_lo, s2
	s_mov_b32 s2, -1
	s_cbranch_vccnz .LBB409_3
; %bb.1:
	s_cmp_lg_u32 s23, 0
	s_cbranch_scc0 .LBB409_38
; %bb.2:
	s_wait_kmcnt 0x0
	v_cmp_neq_f64_e64 s2, s[12:13], 0
	v_cmp_neq_f64_e64 s3, s[14:15], 0
	s_or_b32 s2, s2, s3
.LBB409_3:
	s_delay_alu instid0(SALU_CYCLE_1)
	s_and_b32 vcc_lo, exec_lo, s2
	s_cbranch_vccz .LBB409_39
; %bb.4:
	s_wait_xcnt 0x0
	s_load_b32 s5, s[0:1], 0x60
	s_bfe_u32 s2, ttmp6, 0x40014
	s_lshr_b32 s3, ttmp7, 16
	s_add_co_i32 s2, s2, 1
	s_bfe_u32 s16, ttmp6, 0x40008
	s_mul_i32 s2, s3, s2
	s_getreg_b32 s4, hwreg(HW_REG_IB_STS2, 6, 4)
	s_add_co_i32 s16, s16, s2
	s_cmp_eq_u32 s4, 0
	s_mov_b32 s29, 0
	s_cselect_b32 s28, s3, s16
	s_wait_kmcnt 0x0
	s_cmp_ge_u32 s28, s5
	s_cbranch_scc1 .LBB409_39
; %bb.5:
	s_clause 0x2
	s_load_b32 s2, s[0:1], 0x18
	s_load_b32 s30, s[0:1], 0x30
	s_load_b96 s[24:26], s[0:1], 0x48
	v_and_b32_e32 v1, 0x3ff, v0
	v_bfe_u32 v9, v0, 10, 10
	s_clause 0x1
	s_load_b128 s[16:19], s[0:1], 0x20
	s_load_b64 s[34:35], s[0:1], 0x58
	s_wait_xcnt 0x0
	s_bfe_u32 s1, ttmp6, 0x4000c
	s_bfe_u32 s40, ttmp6, 0x40010
	s_and_b32 s39, ttmp7, 0xffff
	s_add_co_i32 s1, s1, 1
	s_add_co_i32 s40, s40, 1
	v_and_b32_e32 v6, 7, v0
	v_lshl_add_u32 v0, v9, 4, v1
	s_and_b32 s0, ttmp6, 15
	s_mul_i32 s1, ttmp9, s1
	v_cmp_neq_f64_e64 s33, s[12:13], 0
	s_add_co_i32 s0, s0, s1
	v_dual_lshrrev_b32 v8, 3, v0 :: v_dual_bitop2_b32 v5, 31, v0 bitop3:0x40
	s_wait_kmcnt 0x0
	s_ashr_i32 s3, s2, 31
	s_ashr_i32 s31, s30, 31
	s_ashr_i32 s37, s26, 31
	s_mov_b32 s36, s26
	s_mul_i32 s26, s39, s40
	s_bfe_u32 s40, ttmp6, 0x40004
	v_lshrrev_b32_e32 v40, 5, v0
	s_add_co_i32 s40, s40, s26
	s_cmp_eq_u32 s4, 0
	v_cmp_neq_f64_e64 s38, s[14:15], 0
	s_cselect_b32 s0, ttmp9, s0
	s_cselect_b32 s1, s39, s40
	s_lshl_b32 s4, s0, 5
	s_delay_alu instid0(SALU_CYCLE_1) | instskip(SKIP_2) | instid1(VALU_DEP_2)
	v_dual_mov_b32 v0, 0 :: v_dual_bitop2_b32 v2, s4, v5 bitop3:0x54
	s_lshl_b32 s0, s1, 5
	v_cmp_neq_f64_e64 s26, s[8:9], 0
	v_dual_mov_b32 v7, v0 :: v_dual_add_nc_u32 v18, s0, v9
	s_delay_alu instid0(VALU_DEP_3) | instskip(SKIP_3) | instid1(VALU_DEP_4)
	v_dual_ashrrev_i32 v3, 31, v2 :: v_dual_add_nc_u32 v4, s0, v8
	v_cmp_gt_i32_e32 vcc_lo, s22, v2
	v_lshl_add_u32 v43, v9, 7, 0x1000
	v_lshlrev_b32_e32 v42, 4, v1
	v_mul_u64_e32 v[16:17], s[2:3], v[2:3]
	v_dual_lshlrev_b32 v3, 4, v5 :: v_dual_lshlrev_b32 v5, 4, v6
	v_mul_u64_e32 v[20:21], s[30:31], v[6:7]
	v_dual_add_nc_u32 v2, 16, v18 :: v_dual_ashrrev_i32 v19, 31, v18
	s_delay_alu instid0(VALU_DEP_3) | instskip(NEXT) | instid1(VALU_DEP_4)
	v_lshl_or_b32 v7, v40, 9, v3
	v_lshl_or_b32 v5, v8, 7, v5
	s_delay_alu instid0(VALU_DEP_3) | instskip(NEXT) | instid1(VALU_DEP_4)
	v_dual_add_nc_u32 v8, s4, v1 :: v_dual_ashrrev_i32 v3, 31, v2
	v_mul_u64_e32 v[10:11], s[36:37], v[18:19]
	v_cmp_gt_i32_e64 s0, s22, v4
	s_delay_alu instid0(VALU_DEP_4) | instskip(NEXT) | instid1(VALU_DEP_4)
	v_add_nc_u32_e32 v41, 0x1000, v5
	v_dual_add_nc_u32 v12, 16, v8 :: v_dual_ashrrev_i32 v9, 31, v8
	v_mul_u64_e32 v[14:15], s[36:37], v[2:3]
	v_cmp_le_i32_e64 s1, v18, v8
	s_or_b32 s33, s33, s38
	v_cmp_gt_i32_e64 s2, s22, v8
	v_cmp_le_i32_e64 s3, v18, v12
	v_cmp_gt_i32_e64 s4, s22, v12
	s_cmp_gt_i32 s23, 0
	v_ashrrev_i32_e32 v5, 31, v4
	s_cselect_b32 s38, -1, 0
	s_xor_b32 s27, s27, -1
	s_lshl_b64 s[16:17], s[16:17], 4
	s_or_b32 s22, s26, s27
	s_and_b32 s26, s1, s2
	s_and_b32 s27, s3, s4
	v_cmp_le_i32_e64 s1, v2, v8
	v_cmp_le_i32_e64 s3, v2, v12
	v_ashrrev_i32_e32 v13, 31, v12
	v_lshl_add_u64 v[2:3], v[16:17], 4, s[16:17]
	v_dual_mov_b32 v17, v0 :: v_dual_lshlrev_b32 v16, 4, v40
	s_lshl_b64 s[16:17], s[20:21], 4
	s_and_b32 s4, s3, s4
	v_lshl_add_u64 v[18:19], v[20:21], 4, s[16:17]
	s_and_b32 s16, s1, s2
	v_add_nc_u64_e32 v[16:17], v[2:3], v[16:17]
	s_lshl_b64 s[2:3], s[30:31], 7
	s_and_b32 s17, s33, s38
	v_lshl_add_u64 v[18:19], v[4:5], 4, v[18:19]
	s_xor_b32 s20, vcc_lo, -1
	s_xor_b32 s21, s0, -1
	s_lshl_b64 s[0:1], s[34:35], 4
	s_branch .LBB409_7
.LBB409_6:                              ;   in Loop: Header=BB409_7 Depth=1
	s_wait_xcnt 0x0
	s_or_b32 exec_lo, exec_lo, s30
	s_add_co_i32 s28, s28, 0x10000
	s_delay_alu instid0(SALU_CYCLE_1)
	s_cmp_lt_u32 s28, s5
	s_cbranch_scc0 .LBB409_39
.LBB409_7:                              ; =>This Loop Header: Depth=1
                                        ;     Child Loop BB409_10 Depth 2
	v_mov_b32_e32 v1, s28
	v_mov_b64_e32 v[36:37], 0
	v_mov_b64_e32 v[38:39], 0
	;; [unrolled: 1-line block ×4, first 2 shown]
	global_load_b64 v[4:5], v1, s[24:25] scale_offset
	v_mov_b64_e32 v[24:25], 0
	v_mov_b64_e32 v[26:27], 0
	;; [unrolled: 1-line block ×4, first 2 shown]
	s_and_not1_b32 vcc_lo, exec_lo, s17
	s_cbranch_vccnz .LBB409_18
; %bb.8:                                ;   in Loop: Header=BB409_7 Depth=1
	s_lshl_b64 s[30:31], s[28:29], 3
	v_mov_b64_e32 v[22:23], 0
	s_add_nc_u64 s[34:35], s[6:7], s[30:31]
	s_add_nc_u64 s[30:31], s[18:19], s[30:31]
	s_clause 0x1
	global_load_b64 v[2:3], v0, s[34:35]
	global_load_b64 v[30:31], v0, s[30:31]
	v_mov_b64_e32 v[20:21], 0
	v_mov_b64_e32 v[26:27], 0
	;; [unrolled: 1-line block ×7, first 2 shown]
	s_wait_xcnt 0x0
	s_mov_b32 s30, 0
	s_wait_loadcnt 0x1
	v_add_nc_u64_e32 v[28:29], v[2:3], v[16:17]
	s_wait_loadcnt 0x0
	v_add_nc_u64_e32 v[30:31], v[30:31], v[18:19]
	s_branch .LBB409_10
.LBB409_9:                              ;   in Loop: Header=BB409_10 Depth=2
	s_wait_xcnt 0x0
	s_or_b32 exec_lo, exec_lo, s31
	s_wait_dscnt 0x0
	s_barrier_signal -1
	s_barrier_wait -1
	ds_load_b128 v[44:47], v43
	ds_load_b128 v[48:51], v42
	ds_load_b128 v[52:55], v42 offset:256
	ds_load_b128 v[56:59], v43 offset:2048
	;; [unrolled: 1-line block ×10, first 2 shown]
	v_add_nc_u64_e32 v[28:29], 0x80, v[28:29]
	v_add_nc_u64_e32 v[30:31], s[2:3], v[30:31]
	s_add_co_i32 s30, s30, 8
	s_delay_alu instid0(SALU_CYCLE_1)
	s_cmp_lt_i32 s30, s23
	s_wait_dscnt 0xa
	v_mul_f64_e32 v[2:3], v[46:47], v[50:51]
	v_mul_f64_e32 v[92:93], v[44:45], v[50:51]
	s_wait_dscnt 0x9
	v_mul_f64_e32 v[94:95], v[46:47], v[54:55]
	v_mul_f64_e32 v[96:97], v[44:45], v[54:55]
	s_wait_dscnt 0x8
	v_mul_f64_e32 v[98:99], v[58:59], v[50:51]
	v_mul_f64_e32 v[100:101], v[56:57], v[50:51]
	v_mul_f64_e32 v[50:51], v[58:59], v[54:55]
	v_mul_f64_e32 v[102:103], v[56:57], v[54:55]
	s_wait_dscnt 0x6
	v_mul_f64_e32 v[104:105], v[62:63], v[66:67]
	v_mul_f64_e32 v[106:107], v[60:61], v[66:67]
	s_wait_dscnt 0x5
	v_mul_f64_e32 v[108:109], v[62:63], v[70:71]
	v_mul_f64_e32 v[110:111], v[60:61], v[70:71]
	s_wait_dscnt 0x4
	v_mul_f64_e32 v[112:113], v[74:75], v[66:67]
	v_mul_f64_e32 v[66:67], v[72:73], v[66:67]
	v_mul_f64_e32 v[114:115], v[74:75], v[70:71]
	v_mul_f64_e32 v[70:71], v[72:73], v[70:71]
	;; [unrolled: 11-line block ×3, first 2 shown]
	v_fma_f64 v[2:3], v[44:45], v[48:49], -v[2:3]
	v_fmac_f64_e32 v[92:93], v[46:47], v[48:49]
	v_fma_f64 v[94:95], v[44:45], v[52:53], -v[94:95]
	v_fmac_f64_e32 v[96:97], v[46:47], v[52:53]
	;; [unrolled: 2-line block ×8, first 2 shown]
	ds_load_b128 v[44:47], v43 offset:48
	ds_load_b128 v[48:51], v43 offset:2096
	;; [unrolled: 1-line block ×4, first 2 shown]
	v_fma_f64 v[118:119], v[76:77], v[80:81], -v[118:119]
	v_fmac_f64_e32 v[120:121], v[78:79], v[80:81]
	v_fma_f64 v[76:77], v[76:77], v[84:85], -v[122:123]
	v_fmac_f64_e32 v[124:125], v[78:79], v[84:85]
	;; [unrolled: 2-line block ×4, first 2 shown]
	v_add_f64_e32 v[2:3], v[36:37], v[2:3]
	v_add_f64_e32 v[68:69], v[92:93], v[38:39]
	;; [unrolled: 1-line block ×8, first 2 shown]
	s_wait_dscnt 0x1
	v_mul_f64_e32 v[100:101], v[46:47], v[54:55]
	v_mul_f64_e32 v[102:103], v[44:45], v[54:55]
	s_wait_dscnt 0x0
	v_mul_f64_e32 v[108:109], v[46:47], v[58:59]
	v_mul_f64_e32 v[112:113], v[44:45], v[58:59]
	;; [unrolled: 1-line block ×6, first 2 shown]
	ds_load_b128 v[20:23], v43 offset:64
	ds_load_b128 v[24:27], v42 offset:2048
	;; [unrolled: 1-line block ×4, first 2 shown]
	v_add_f64_e32 v[2:3], v[2:3], v[104:105]
	v_add_f64_e32 v[84:85], v[106:107], v[68:69]
	;; [unrolled: 1-line block ×8, first 2 shown]
	s_wait_dscnt 0x2
	v_mul_f64_e32 v[98:99], v[22:23], v[26:27]
	v_mul_f64_e32 v[104:105], v[20:21], v[26:27]
	s_wait_dscnt 0x1
	v_mul_f64_e32 v[106:107], v[22:23], v[34:35]
	v_mul_f64_e32 v[110:111], v[20:21], v[34:35]
	;; [unrolled: 3-line block ×3, first 2 shown]
	v_mul_f64_e32 v[26:27], v[38:39], v[34:35]
	v_mul_f64_e32 v[128:129], v[36:37], v[34:35]
	v_fma_f64 v[34:35], v[44:45], v[52:53], -v[100:101]
	v_fmac_f64_e32 v[102:103], v[46:47], v[52:53]
	v_fma_f64 v[100:101], v[44:45], v[56:57], -v[108:109]
	v_fmac_f64_e32 v[112:113], v[46:47], v[56:57]
	v_fma_f64 v[108:109], v[48:49], v[52:53], -v[114:115]
	v_fmac_f64_e32 v[116:117], v[50:51], v[52:53]
	v_fma_f64 v[114:115], v[48:49], v[56:57], -v[54:55]
	v_fmac_f64_e32 v[130:131], v[50:51], v[56:57]
	ds_load_b128 v[58:61], v43 offset:80
	ds_load_b128 v[62:65], v43 offset:2128
	;; [unrolled: 1-line block ×4, first 2 shown]
	v_add_f64_e32 v[2:3], v[2:3], v[118:119]
	v_add_f64_e32 v[56:57], v[120:121], v[84:85]
	v_add_f64_e32 v[84:85], v[88:89], v[76:77]
	v_add_f64_e32 v[88:89], v[124:125], v[74:75]
	v_add_f64_e32 v[78:79], v[90:91], v[78:79]
	v_add_f64_e32 v[82:83], v[82:83], v[92:93]
	v_add_f64_e32 v[80:81], v[94:95], v[80:81]
	v_add_f64_e32 v[86:87], v[86:87], v[96:97]
	v_fma_f64 v[98:99], v[20:21], v[24:25], -v[98:99]
	v_fmac_f64_e32 v[104:105], v[22:23], v[24:25]
	v_fma_f64 v[106:107], v[20:21], v[32:33], -v[106:107]
	s_wait_dscnt 0x1
	v_mul_f64_e32 v[90:91], v[60:61], v[68:69]
	v_mul_f64_e32 v[92:93], v[58:59], v[68:69]
	s_wait_dscnt 0x0
	v_mul_f64_e32 v[94:95], v[60:61], v[72:73]
	v_mul_f64_e32 v[96:97], v[58:59], v[72:73]
	;; [unrolled: 1-line block ×6, first 2 shown]
	v_fmac_f64_e32 v[110:111], v[22:23], v[32:33]
	v_fma_f64 v[122:123], v[36:37], v[24:25], -v[122:123]
	v_fmac_f64_e32 v[126:127], v[38:39], v[24:25]
	v_fma_f64 v[124:125], v[36:37], v[32:33], -v[26:27]
	v_fmac_f64_e32 v[128:129], v[38:39], v[32:33]
	ds_load_b128 v[44:47], v43 offset:96
	ds_load_b128 v[48:51], v42 offset:3072
	;; [unrolled: 1-line block ×4, first 2 shown]
	v_add_f64_e32 v[2:3], v[2:3], v[34:35]
	v_add_f64_e32 v[56:57], v[102:103], v[56:57]
	;; [unrolled: 1-line block ×8, first 2 shown]
	ds_load_b128 v[20:23], v43 offset:112
	ds_load_b128 v[24:27], v43 offset:2160
	;; [unrolled: 1-line block ×4, first 2 shown]
	s_wait_dscnt 0x0
	v_mul_f64_e32 v[100:101], v[46:47], v[50:51]
	v_mul_f64_e32 v[102:103], v[44:45], v[50:51]
	;; [unrolled: 1-line block ×8, first 2 shown]
	v_fma_f64 v[90:91], v[58:59], v[66:67], -v[90:91]
	v_fmac_f64_e32 v[92:93], v[60:61], v[66:67]
	v_fma_f64 v[58:59], v[58:59], v[70:71], -v[94:95]
	v_fmac_f64_e32 v[96:97], v[60:61], v[70:71]
	;; [unrolled: 2-line block ×4, first 2 shown]
	s_barrier_signal -1
	s_barrier_wait -1
	v_mul_f64_e32 v[94:95], v[20:21], v[38:39]
	v_add_f64_e32 v[2:3], v[2:3], v[98:99]
	v_add_f64_e32 v[56:57], v[104:105], v[56:57]
	;; [unrolled: 1-line block ×8, first 2 shown]
	v_mul_f64_e32 v[84:85], v[22:23], v[34:35]
	v_mul_f64_e32 v[86:87], v[20:21], v[34:35]
	v_mul_f64_e32 v[88:89], v[22:23], v[38:39]
	v_mul_f64_e32 v[98:99], v[26:27], v[34:35]
	v_mul_f64_e32 v[104:105], v[24:25], v[34:35]
	v_mul_f64_e32 v[34:35], v[26:27], v[38:39]
	v_mul_f64_e32 v[106:107], v[24:25], v[38:39]
	v_fma_f64 v[38:39], v[44:45], v[48:49], -v[100:101]
	v_fmac_f64_e32 v[102:103], v[46:47], v[48:49]
	v_fma_f64 v[44:45], v[44:45], v[52:53], -v[108:109]
	v_fmac_f64_e32 v[112:113], v[46:47], v[52:53]
	;; [unrolled: 2-line block ×4, first 2 shown]
	v_fmac_f64_e32 v[94:95], v[22:23], v[36:37]
	v_add_f64_e32 v[2:3], v[2:3], v[90:91]
	v_add_f64_e32 v[52:53], v[92:93], v[56:57]
	;; [unrolled: 1-line block ×8, first 2 shown]
	v_fma_f64 v[68:69], v[20:21], v[32:33], -v[84:85]
	v_fmac_f64_e32 v[86:87], v[22:23], v[32:33]
	v_fma_f64 v[20:21], v[20:21], v[36:37], -v[88:89]
	v_fma_f64 v[22:23], v[24:25], v[32:33], -v[98:99]
	v_fmac_f64_e32 v[104:105], v[26:27], v[32:33]
	v_fma_f64 v[70:71], v[24:25], v[36:37], -v[34:35]
	v_fmac_f64_e32 v[106:107], v[26:27], v[36:37]
	v_add_f64_e32 v[2:3], v[2:3], v[38:39]
	v_add_f64_e32 v[24:25], v[102:103], v[52:53]
	;; [unrolled: 1-line block ×16, first 2 shown]
	s_cbranch_scc0 .LBB409_18
.LBB409_10:                             ;   Parent Loop BB409_7 Depth=1
                                        ; =>  This Inner Loop Header: Depth=2
	v_add_nc_u32_e32 v1, s30, v40
	s_delay_alu instid0(VALU_DEP_1) | instskip(SKIP_1) | instid1(SALU_CYCLE_1)
	v_cmp_le_i32_e32 vcc_lo, s23, v1
	s_or_b32 s31, s20, vcc_lo
	s_and_saveexec_b32 s33, s31
	s_delay_alu instid0(SALU_CYCLE_1)
	s_xor_b32 s31, exec_lo, s33
; %bb.11:                               ;   in Loop: Header=BB409_10 Depth=2
	v_dual_mov_b32 v1, v0 :: v_dual_mov_b32 v2, v0
	v_mov_b32_e32 v3, v0
	ds_store_b128 v7, v[0:3]
; %bb.12:                               ;   in Loop: Header=BB409_10 Depth=2
	s_and_not1_saveexec_b32 s31, s31
	s_cbranch_execz .LBB409_14
; %bb.13:                               ;   in Loop: Header=BB409_10 Depth=2
	flat_load_b128 v[44:47], v[28:29]
	s_wait_loadcnt_dscnt 0x0
	ds_store_2addr_b64 v7, v[44:45], v[46:47] offset1:1
.LBB409_14:                             ;   in Loop: Header=BB409_10 Depth=2
	s_wait_xcnt 0x0
	s_or_b32 exec_lo, exec_lo, s31
	v_add_nc_u32_e32 v1, s30, v6
	s_delay_alu instid0(VALU_DEP_1) | instskip(SKIP_1) | instid1(SALU_CYCLE_1)
	v_cmp_le_i32_e32 vcc_lo, s23, v1
	s_or_b32 s31, vcc_lo, s21
	s_and_saveexec_b32 s33, s31
	s_delay_alu instid0(SALU_CYCLE_1)
	s_xor_b32 s31, exec_lo, s33
; %bb.15:                               ;   in Loop: Header=BB409_10 Depth=2
	v_dual_mov_b32 v1, v0 :: v_dual_mov_b32 v2, v0
	v_mov_b32_e32 v3, v0
	ds_store_b128 v41, v[0:3]
; %bb.16:                               ;   in Loop: Header=BB409_10 Depth=2
	s_and_not1_saveexec_b32 s31, s31
	s_cbranch_execz .LBB409_9
; %bb.17:                               ;   in Loop: Header=BB409_10 Depth=2
	flat_load_b128 v[44:47], v[30:31]
	s_wait_loadcnt_dscnt 0x0
	ds_store_2addr_b64 v41, v[44:45], v[46:47] offset1:1
	s_branch .LBB409_9
.LBB409_18:                             ;   in Loop: Header=BB409_7 Depth=1
	s_wait_loadcnt 0x0
	v_add_nc_u64_e32 v[28:29], s[0:1], v[4:5]
	s_delay_alu instid0(VALU_DEP_1)
	v_lshl_add_u64 v[30:31], v[10:11], 4, v[28:29]
	s_wait_xcnt 0x0
	s_and_saveexec_b32 s30, s26
	s_cbranch_execz .LBB409_23
; %bb.19:                               ;   in Loop: Header=BB409_7 Depth=1
	v_mul_f64_e32 v[2:3], s[14:15], v[38:39]
	v_mul_f64_e32 v[4:5], s[12:13], v[38:39]
	s_and_b32 vcc_lo, exec_lo, s22
	s_mov_b32 s31, -1
	s_delay_alu instid0(VALU_DEP_2) | instskip(NEXT) | instid1(VALU_DEP_2)
	v_fma_f64 v[2:3], s[12:13], v[36:37], -v[2:3]
	v_fmac_f64_e32 v[4:5], s[14:15], v[36:37]
	v_lshl_add_u64 v[36:37], v[8:9], 4, v[30:31]
	s_cbranch_vccz .LBB409_21
; %bb.20:                               ;   in Loop: Header=BB409_7 Depth=1
	flat_load_b128 v[44:47], v[36:37]
	s_mov_b32 s31, 0
	s_wait_loadcnt_dscnt 0x0
	v_mul_f64_e32 v[38:39], s[10:11], v[46:47]
	v_mul_f64_e32 v[46:47], s[8:9], v[46:47]
	s_delay_alu instid0(VALU_DEP_2) | instskip(NEXT) | instid1(VALU_DEP_2)
	v_fma_f64 v[38:39], s[8:9], v[44:45], -v[38:39]
	v_fmac_f64_e32 v[46:47], s[10:11], v[44:45]
	s_delay_alu instid0(VALU_DEP_2) | instskip(NEXT) | instid1(VALU_DEP_2)
	v_add_f64_e32 v[44:45], v[2:3], v[38:39]
	v_add_f64_e32 v[46:47], v[4:5], v[46:47]
	flat_store_b128 v[36:37], v[44:47]
.LBB409_21:                             ;   in Loop: Header=BB409_7 Depth=1
	s_and_not1_b32 vcc_lo, exec_lo, s31
	s_cbranch_vccnz .LBB409_23
; %bb.22:                               ;   in Loop: Header=BB409_7 Depth=1
	flat_store_b128 v[36:37], v[2:5]
.LBB409_23:                             ;   in Loop: Header=BB409_7 Depth=1
	s_wait_xcnt 0x0
	s_or_b32 exec_lo, exec_lo, s30
	s_and_saveexec_b32 s30, s27
	s_cbranch_execz .LBB409_28
; %bb.24:                               ;   in Loop: Header=BB409_7 Depth=1
	v_mul_f64_e32 v[2:3], s[14:15], v[34:35]
	v_mul_f64_e32 v[4:5], s[12:13], v[34:35]
	v_lshl_add_u64 v[30:31], v[12:13], 4, v[30:31]
	s_and_not1_b32 vcc_lo, exec_lo, s22
	s_mov_b32 s31, -1
	s_delay_alu instid0(VALU_DEP_3) | instskip(NEXT) | instid1(VALU_DEP_3)
	v_fma_f64 v[2:3], s[12:13], v[32:33], -v[2:3]
	v_fmac_f64_e32 v[4:5], s[14:15], v[32:33]
	s_cbranch_vccnz .LBB409_26
; %bb.25:                               ;   in Loop: Header=BB409_7 Depth=1
	flat_load_b128 v[32:35], v[30:31]
	s_mov_b32 s31, 0
	s_wait_loadcnt_dscnt 0x0
	v_mul_f64_e32 v[36:37], s[10:11], v[34:35]
	v_mul_f64_e32 v[34:35], s[8:9], v[34:35]
	s_delay_alu instid0(VALU_DEP_2) | instskip(NEXT) | instid1(VALU_DEP_2)
	v_fma_f64 v[36:37], s[8:9], v[32:33], -v[36:37]
	v_fmac_f64_e32 v[34:35], s[10:11], v[32:33]
	s_delay_alu instid0(VALU_DEP_2) | instskip(NEXT) | instid1(VALU_DEP_2)
	v_add_f64_e32 v[32:33], v[2:3], v[36:37]
	v_add_f64_e32 v[34:35], v[4:5], v[34:35]
	flat_store_b128 v[30:31], v[32:35]
.LBB409_26:                             ;   in Loop: Header=BB409_7 Depth=1
	s_and_not1_b32 vcc_lo, exec_lo, s31
	s_cbranch_vccnz .LBB409_28
; %bb.27:                               ;   in Loop: Header=BB409_7 Depth=1
	flat_store_b128 v[30:31], v[2:5]
.LBB409_28:                             ;   in Loop: Header=BB409_7 Depth=1
	s_wait_xcnt 0x0
	s_or_b32 exec_lo, exec_lo, s30
	v_lshl_add_u64 v[28:29], v[14:15], 4, v[28:29]
	s_and_saveexec_b32 s30, s16
	s_cbranch_execz .LBB409_33
; %bb.29:                               ;   in Loop: Header=BB409_7 Depth=1
	v_mul_f64_e32 v[2:3], s[14:15], v[26:27]
	v_mul_f64_e32 v[4:5], s[12:13], v[26:27]
	s_and_not1_b32 vcc_lo, exec_lo, s22
	s_mov_b32 s31, -1
	s_delay_alu instid0(VALU_DEP_2) | instskip(NEXT) | instid1(VALU_DEP_2)
	v_fma_f64 v[2:3], s[12:13], v[24:25], -v[2:3]
	v_fmac_f64_e32 v[4:5], s[14:15], v[24:25]
	v_lshl_add_u64 v[24:25], v[8:9], 4, v[28:29]
	s_cbranch_vccnz .LBB409_31
; %bb.30:                               ;   in Loop: Header=BB409_7 Depth=1
	flat_load_b128 v[30:33], v[24:25]
	s_mov_b32 s31, 0
	s_wait_loadcnt_dscnt 0x0
	v_mul_f64_e32 v[26:27], s[10:11], v[32:33]
	v_mul_f64_e32 v[32:33], s[8:9], v[32:33]
	s_delay_alu instid0(VALU_DEP_2) | instskip(NEXT) | instid1(VALU_DEP_2)
	v_fma_f64 v[26:27], s[8:9], v[30:31], -v[26:27]
	v_fmac_f64_e32 v[32:33], s[10:11], v[30:31]
	s_delay_alu instid0(VALU_DEP_2) | instskip(NEXT) | instid1(VALU_DEP_2)
	v_add_f64_e32 v[30:31], v[2:3], v[26:27]
	v_add_f64_e32 v[32:33], v[4:5], v[32:33]
	flat_store_b128 v[24:25], v[30:33]
.LBB409_31:                             ;   in Loop: Header=BB409_7 Depth=1
	s_and_not1_b32 vcc_lo, exec_lo, s31
	s_cbranch_vccnz .LBB409_33
; %bb.32:                               ;   in Loop: Header=BB409_7 Depth=1
	flat_store_b128 v[24:25], v[2:5]
.LBB409_33:                             ;   in Loop: Header=BB409_7 Depth=1
	s_wait_xcnt 0x0
	s_or_b32 exec_lo, exec_lo, s30
	s_and_saveexec_b32 s30, s4
	s_cbranch_execz .LBB409_6
; %bb.34:                               ;   in Loop: Header=BB409_7 Depth=1
	s_delay_alu instid0(VALU_DEP_4) | instskip(SKIP_3) | instid1(VALU_DEP_2)
	v_mul_f64_e32 v[2:3], s[14:15], v[22:23]
	v_mul_f64_e32 v[4:5], s[12:13], v[22:23]
	s_and_not1_b32 vcc_lo, exec_lo, s22
	s_mov_b32 s31, -1
	v_fma_f64 v[2:3], s[12:13], v[20:21], -v[2:3]
	s_delay_alu instid0(VALU_DEP_2)
	v_fmac_f64_e32 v[4:5], s[14:15], v[20:21]
	v_lshl_add_u64 v[20:21], v[12:13], 4, v[28:29]
	s_cbranch_vccnz .LBB409_36
; %bb.35:                               ;   in Loop: Header=BB409_7 Depth=1
	flat_load_b128 v[22:25], v[20:21]
	s_mov_b32 s31, 0
	s_wait_loadcnt_dscnt 0x0
	v_mul_f64_e32 v[26:27], s[10:11], v[24:25]
	v_mul_f64_e32 v[24:25], s[8:9], v[24:25]
	s_delay_alu instid0(VALU_DEP_2) | instskip(NEXT) | instid1(VALU_DEP_2)
	v_fma_f64 v[26:27], s[8:9], v[22:23], -v[26:27]
	v_fmac_f64_e32 v[24:25], s[10:11], v[22:23]
	s_delay_alu instid0(VALU_DEP_2) | instskip(NEXT) | instid1(VALU_DEP_2)
	v_add_f64_e32 v[22:23], v[2:3], v[26:27]
	v_add_f64_e32 v[24:25], v[4:5], v[24:25]
	flat_store_b128 v[20:21], v[22:25]
.LBB409_36:                             ;   in Loop: Header=BB409_7 Depth=1
	s_and_not1_b32 vcc_lo, exec_lo, s31
	s_cbranch_vccnz .LBB409_6
; %bb.37:                               ;   in Loop: Header=BB409_7 Depth=1
	flat_store_b128 v[20:21], v[2:5]
	s_branch .LBB409_6
.LBB409_38:
.LBB409_39:
	s_sendmsg sendmsg(MSG_DEALLOC_VGPRS)
	s_endpgm
	.section	.rodata,"a",@progbits
	.p2align	6, 0x0
	.amdhsa_kernel _ZL29rocblas_internal_gemmt_kernelIiLi16ELi32ELi8ELc84ELc84ELc76ELb0ELb0E19rocblas_complex_numIdEPKS1_PKS3_PKPS1_EviT_T9_T10_S9_lSB_S9_lSA_T11_S9_li
		.amdhsa_group_segment_fixed_size 8192
		.amdhsa_private_segment_fixed_size 0
		.amdhsa_kernarg_size 100
		.amdhsa_user_sgpr_count 2
		.amdhsa_user_sgpr_dispatch_ptr 0
		.amdhsa_user_sgpr_queue_ptr 0
		.amdhsa_user_sgpr_kernarg_segment_ptr 1
		.amdhsa_user_sgpr_dispatch_id 0
		.amdhsa_user_sgpr_kernarg_preload_length 0
		.amdhsa_user_sgpr_kernarg_preload_offset 0
		.amdhsa_user_sgpr_private_segment_size 0
		.amdhsa_wavefront_size32 1
		.amdhsa_uses_dynamic_stack 0
		.amdhsa_enable_private_segment 0
		.amdhsa_system_sgpr_workgroup_id_x 1
		.amdhsa_system_sgpr_workgroup_id_y 1
		.amdhsa_system_sgpr_workgroup_id_z 1
		.amdhsa_system_sgpr_workgroup_info 0
		.amdhsa_system_vgpr_workitem_id 1
		.amdhsa_next_free_vgpr 132
		.amdhsa_next_free_sgpr 41
		.amdhsa_named_barrier_count 0
		.amdhsa_reserve_vcc 1
		.amdhsa_float_round_mode_32 0
		.amdhsa_float_round_mode_16_64 0
		.amdhsa_float_denorm_mode_32 3
		.amdhsa_float_denorm_mode_16_64 3
		.amdhsa_fp16_overflow 0
		.amdhsa_memory_ordered 1
		.amdhsa_forward_progress 1
		.amdhsa_inst_pref_size 24
		.amdhsa_round_robin_scheduling 0
		.amdhsa_exception_fp_ieee_invalid_op 0
		.amdhsa_exception_fp_denorm_src 0
		.amdhsa_exception_fp_ieee_div_zero 0
		.amdhsa_exception_fp_ieee_overflow 0
		.amdhsa_exception_fp_ieee_underflow 0
		.amdhsa_exception_fp_ieee_inexact 0
		.amdhsa_exception_int_div_zero 0
	.end_amdhsa_kernel
	.section	.text._ZL29rocblas_internal_gemmt_kernelIiLi16ELi32ELi8ELc84ELc84ELc76ELb0ELb0E19rocblas_complex_numIdEPKS1_PKS3_PKPS1_EviT_T9_T10_S9_lSB_S9_lSA_T11_S9_li,"axG",@progbits,_ZL29rocblas_internal_gemmt_kernelIiLi16ELi32ELi8ELc84ELc84ELc76ELb0ELb0E19rocblas_complex_numIdEPKS1_PKS3_PKPS1_EviT_T9_T10_S9_lSB_S9_lSA_T11_S9_li,comdat
.Lfunc_end409:
	.size	_ZL29rocblas_internal_gemmt_kernelIiLi16ELi32ELi8ELc84ELc84ELc76ELb0ELb0E19rocblas_complex_numIdEPKS1_PKS3_PKPS1_EviT_T9_T10_S9_lSB_S9_lSA_T11_S9_li, .Lfunc_end409-_ZL29rocblas_internal_gemmt_kernelIiLi16ELi32ELi8ELc84ELc84ELc76ELb0ELb0E19rocblas_complex_numIdEPKS1_PKS3_PKPS1_EviT_T9_T10_S9_lSB_S9_lSA_T11_S9_li
                                        ; -- End function
	.set _ZL29rocblas_internal_gemmt_kernelIiLi16ELi32ELi8ELc84ELc84ELc76ELb0ELb0E19rocblas_complex_numIdEPKS1_PKS3_PKPS1_EviT_T9_T10_S9_lSB_S9_lSA_T11_S9_li.num_vgpr, 132
	.set _ZL29rocblas_internal_gemmt_kernelIiLi16ELi32ELi8ELc84ELc84ELc76ELb0ELb0E19rocblas_complex_numIdEPKS1_PKS3_PKPS1_EviT_T9_T10_S9_lSB_S9_lSA_T11_S9_li.num_agpr, 0
	.set _ZL29rocblas_internal_gemmt_kernelIiLi16ELi32ELi8ELc84ELc84ELc76ELb0ELb0E19rocblas_complex_numIdEPKS1_PKS3_PKPS1_EviT_T9_T10_S9_lSB_S9_lSA_T11_S9_li.numbered_sgpr, 41
	.set _ZL29rocblas_internal_gemmt_kernelIiLi16ELi32ELi8ELc84ELc84ELc76ELb0ELb0E19rocblas_complex_numIdEPKS1_PKS3_PKPS1_EviT_T9_T10_S9_lSB_S9_lSA_T11_S9_li.num_named_barrier, 0
	.set _ZL29rocblas_internal_gemmt_kernelIiLi16ELi32ELi8ELc84ELc84ELc76ELb0ELb0E19rocblas_complex_numIdEPKS1_PKS3_PKPS1_EviT_T9_T10_S9_lSB_S9_lSA_T11_S9_li.private_seg_size, 0
	.set _ZL29rocblas_internal_gemmt_kernelIiLi16ELi32ELi8ELc84ELc84ELc76ELb0ELb0E19rocblas_complex_numIdEPKS1_PKS3_PKPS1_EviT_T9_T10_S9_lSB_S9_lSA_T11_S9_li.uses_vcc, 1
	.set _ZL29rocblas_internal_gemmt_kernelIiLi16ELi32ELi8ELc84ELc84ELc76ELb0ELb0E19rocblas_complex_numIdEPKS1_PKS3_PKPS1_EviT_T9_T10_S9_lSB_S9_lSA_T11_S9_li.uses_flat_scratch, 0
	.set _ZL29rocblas_internal_gemmt_kernelIiLi16ELi32ELi8ELc84ELc84ELc76ELb0ELb0E19rocblas_complex_numIdEPKS1_PKS3_PKPS1_EviT_T9_T10_S9_lSB_S9_lSA_T11_S9_li.has_dyn_sized_stack, 0
	.set _ZL29rocblas_internal_gemmt_kernelIiLi16ELi32ELi8ELc84ELc84ELc76ELb0ELb0E19rocblas_complex_numIdEPKS1_PKS3_PKPS1_EviT_T9_T10_S9_lSB_S9_lSA_T11_S9_li.has_recursion, 0
	.set _ZL29rocblas_internal_gemmt_kernelIiLi16ELi32ELi8ELc84ELc84ELc76ELb0ELb0E19rocblas_complex_numIdEPKS1_PKS3_PKPS1_EviT_T9_T10_S9_lSB_S9_lSA_T11_S9_li.has_indirect_call, 0
	.section	.AMDGPU.csdata,"",@progbits
; Kernel info:
; codeLenInByte = 3016
; TotalNumSgprs: 43
; NumVgprs: 132
; ScratchSize: 0
; MemoryBound: 0
; FloatMode: 240
; IeeeMode: 1
; LDSByteSize: 8192 bytes/workgroup (compile time only)
; SGPRBlocks: 0
; VGPRBlocks: 8
; NumSGPRsForWavesPerEU: 43
; NumVGPRsForWavesPerEU: 132
; NamedBarCnt: 0
; Occupancy: 7
; WaveLimiterHint : 1
; COMPUTE_PGM_RSRC2:SCRATCH_EN: 0
; COMPUTE_PGM_RSRC2:USER_SGPR: 2
; COMPUTE_PGM_RSRC2:TRAP_HANDLER: 0
; COMPUTE_PGM_RSRC2:TGID_X_EN: 1
; COMPUTE_PGM_RSRC2:TGID_Y_EN: 1
; COMPUTE_PGM_RSRC2:TGID_Z_EN: 1
; COMPUTE_PGM_RSRC2:TIDIG_COMP_CNT: 1
	.section	.text._ZL29rocblas_internal_gemmt_kernelIiLi16ELi32ELi8ELc84ELc67ELc76ELb0ELb1E19rocblas_complex_numIdEPKS1_PKS3_PKPS1_EviT_T9_T10_S9_lSB_S9_lSA_T11_S9_li,"axG",@progbits,_ZL29rocblas_internal_gemmt_kernelIiLi16ELi32ELi8ELc84ELc67ELc76ELb0ELb1E19rocblas_complex_numIdEPKS1_PKS3_PKPS1_EviT_T9_T10_S9_lSB_S9_lSA_T11_S9_li,comdat
	.globl	_ZL29rocblas_internal_gemmt_kernelIiLi16ELi32ELi8ELc84ELc67ELc76ELb0ELb1E19rocblas_complex_numIdEPKS1_PKS3_PKPS1_EviT_T9_T10_S9_lSB_S9_lSA_T11_S9_li ; -- Begin function _ZL29rocblas_internal_gemmt_kernelIiLi16ELi32ELi8ELc84ELc67ELc76ELb0ELb1E19rocblas_complex_numIdEPKS1_PKS3_PKPS1_EviT_T9_T10_S9_lSB_S9_lSA_T11_S9_li
	.p2align	8
	.type	_ZL29rocblas_internal_gemmt_kernelIiLi16ELi32ELi8ELc84ELc67ELc76ELb0ELb1E19rocblas_complex_numIdEPKS1_PKS3_PKPS1_EviT_T9_T10_S9_lSB_S9_lSA_T11_S9_li,@function
_ZL29rocblas_internal_gemmt_kernelIiLi16ELi32ELi8ELc84ELc67ELc76ELb0ELb1E19rocblas_complex_numIdEPKS1_PKS3_PKPS1_EviT_T9_T10_S9_lSB_S9_lSA_T11_S9_li: ; @_ZL29rocblas_internal_gemmt_kernelIiLi16ELi32ELi8ELc84ELc67ELc76ELb0ELb1E19rocblas_complex_numIdEPKS1_PKS3_PKPS1_EviT_T9_T10_S9_lSB_S9_lSA_T11_S9_li
; %bb.0:
	s_load_b128 s[20:23], s[0:1], 0x38
	s_wait_kmcnt 0x0
	s_load_b128 s[8:11], s[22:23], 0x0
	s_load_b128 s[4:7], s[0:1], 0x8
	s_wait_xcnt 0x0
	s_load_b64 s[22:23], s[0:1], 0x0
	s_wait_kmcnt 0x0
	v_cmp_eq_f64_e64 s2, s[8:9], 1.0
	v_cmp_eq_f64_e64 s33, s[10:11], 0
	s_load_b128 s[12:15], s[4:5], 0x0
	s_and_b32 s2, s2, s33
	s_delay_alu instid0(SALU_CYCLE_1)
	s_and_not1_b32 vcc_lo, exec_lo, s2
	s_mov_b32 s2, -1
	s_cbranch_vccnz .LBB410_3
; %bb.1:
	s_cmp_lg_u32 s23, 0
	s_cbranch_scc0 .LBB410_36
; %bb.2:
	s_wait_kmcnt 0x0
	v_cmp_neq_f64_e64 s2, s[12:13], 0
	v_cmp_neq_f64_e64 s3, s[14:15], 0
	s_or_b32 s2, s2, s3
.LBB410_3:
	s_delay_alu instid0(SALU_CYCLE_1)
	s_and_b32 vcc_lo, exec_lo, s2
	s_cbranch_vccz .LBB410_37
; %bb.4:
	s_load_b32 s27, s[0:1], 0x60
	s_bfe_u32 s2, ttmp6, 0x40014
	s_lshr_b32 s3, ttmp7, 16
	s_add_co_i32 s2, s2, 1
	s_wait_xcnt 0x0
	s_bfe_u32 s5, ttmp6, 0x40008
	s_mul_i32 s2, s3, s2
	s_getreg_b32 s4, hwreg(HW_REG_IB_STS2, 6, 4)
	s_add_co_i32 s5, s5, s2
	s_cmp_eq_u32 s4, 0
	s_mov_b32 s29, 0
	s_cselect_b32 s28, s3, s5
	s_wait_kmcnt 0x0
	s_cmp_ge_u32 s28, s27
	s_cbranch_scc1 .LBB410_37
; %bb.5:
	s_clause 0x3
	s_load_b32 s2, s[0:1], 0x18
	s_load_b32 s30, s[0:1], 0x30
	s_load_b96 s[24:26], s[0:1], 0x48
	s_load_b128 s[16:19], s[0:1], 0x20
	v_and_b32_e32 v1, 0x3ff, v0
	v_bfe_u32 v9, v0, 10, 10
	s_load_b64 s[34:35], s[0:1], 0x58
	s_wait_xcnt 0x0
	s_bfe_u32 s1, ttmp6, 0x4000c
	s_bfe_u32 s39, ttmp6, 0x40010
	s_add_co_i32 s1, s1, 1
	s_add_co_i32 s39, s39, 1
	v_and_b32_e32 v6, 7, v0
	v_lshl_add_u32 v0, v9, 4, v1
	s_and_b32 s0, ttmp6, 15
	s_mul_i32 s1, ttmp9, s1
	s_bfe_u32 s40, ttmp6, 0x40004
	s_add_co_i32 s0, s0, s1
	v_dual_lshrrev_b32 v5, 3, v0 :: v_dual_bitop2_b32 v8, 31, v0 bitop3:0x40
	v_lshrrev_b32_e32 v42, 5, v0
	s_wait_kmcnt 0x0
	s_ashr_i32 s3, s2, 31
	s_ashr_i32 s31, s30, 31
	;; [unrolled: 1-line block ×3, first 2 shown]
	s_mov_b32 s36, s26
	s_and_b32 s26, ttmp7, 0xffff
	v_cmp_neq_f64_e64 s5, s[12:13], 0
	s_mul_i32 s39, s26, s39
	v_cmp_neq_f64_e64 s38, s[14:15], 0
	s_add_co_i32 s40, s40, s39
	s_cmp_eq_u32 s4, 0
	v_lshl_add_u32 v45, v9, 7, 0x1000
	s_cselect_b32 s0, ttmp9, s0
	s_cselect_b32 s1, s26, s40
	s_lshl_b32 s4, s0, 5
	s_delay_alu instid0(SALU_CYCLE_1) | instskip(SKIP_2) | instid1(VALU_DEP_2)
	v_dual_mov_b32 v0, 0 :: v_dual_bitop2_b32 v2, s4, v8 bitop3:0x54
	s_lshl_b32 s0, s1, 5
	v_cmp_neq_f64_e64 s26, s[8:9], 0
	v_dual_mov_b32 v7, v0 :: v_dual_add_nc_u32 v4, s0, v5
	s_delay_alu instid0(VALU_DEP_3) | instskip(SKIP_2) | instid1(VALU_DEP_4)
	v_dual_ashrrev_i32 v3, 31, v2 :: v_dual_lshlrev_b32 v8, 4, v8
	v_add_nc_u32_e32 v18, s0, v9
	v_cmp_gt_i32_e32 vcc_lo, s22, v2
	v_mul_u64_e32 v[16:17], s[30:31], v[6:7]
	s_delay_alu instid0(VALU_DEP_4) | instskip(SKIP_4) | instid1(VALU_DEP_4)
	v_mul_u64_e32 v[20:21], s[2:3], v[2:3]
	v_lshlrev_b32_e32 v3, 4, v6
	v_dual_add_nc_u32 v2, 16, v18 :: v_dual_ashrrev_i32 v19, 31, v18
	v_lshl_or_b32 v7, v42, 9, v8
	v_add_nc_u32_e32 v8, s4, v1
	v_lshl_or_b32 v5, v5, 7, v3
	s_delay_alu instid0(VALU_DEP_4) | instskip(SKIP_3) | instid1(VALU_DEP_4)
	v_ashrrev_i32_e32 v3, 31, v2
	v_mul_u64_e32 v[10:11], s[36:37], v[18:19]
	v_cmp_gt_i32_e64 s0, s22, v4
	v_dual_add_nc_u32 v12, 16, v8 :: v_dual_ashrrev_i32 v9, 31, v8
	v_mul_u64_e32 v[14:15], s[36:37], v[2:3]
	v_cmp_le_i32_e64 s1, v18, v8
	s_or_b32 s5, s5, s38
	s_cmp_gt_i32 s23, 0
	v_cmp_gt_i32_e64 s2, s22, v8
	s_cselect_b32 s38, -1, 0
	v_cmp_le_i32_e64 s3, v18, v12
	v_cmp_gt_i32_e64 s4, s22, v12
	s_lshl_b64 s[20:21], s[20:21], 4
	v_add_nc_u32_e32 v43, 0x1000, v5
	v_dual_ashrrev_i32 v5, 31, v4 :: v_dual_lshlrev_b32 v44, 4, v1
	s_xor_b32 s33, s33, -1
	s_lshl_b64 s[16:17], s[16:17], 4
	s_or_b32 s22, s26, s33
	s_and_b32 s26, s1, s2
	s_and_b32 s33, s3, s4
	v_cmp_le_i32_e64 s1, v2, v8
	v_cmp_le_i32_e64 s3, v2, v12
	v_lshl_add_u64 v[16:17], v[16:17], 4, s[20:21]
	v_lshl_add_u64 v[2:3], v[20:21], 4, s[16:17]
	v_dual_mov_b32 v19, v0 :: v_dual_lshlrev_b32 v18, 4, v42
	v_ashrrev_i32_e32 v13, 31, v12
	s_delay_alu instid0(VALU_DEP_4)
	v_lshl_add_u64 v[16:17], v[4:5], 4, v[16:17]
	s_and_b32 s1, s1, s2
	s_and_b32 s16, s3, s4
	v_add_nc_u64_e32 v[18:19], v[2:3], v[18:19]
	s_and_b32 s17, s5, s38
	v_or_b32_e32 v16, 8, v16
	s_lshl_b64 s[2:3], s[30:31], 7
	s_xor_b32 s20, vcc_lo, -1
	s_lshl_b64 s[4:5], s[34:35], 4
	s_branch .LBB410_7
.LBB410_6:                              ;   in Loop: Header=BB410_7 Depth=1
	s_wait_xcnt 0x0
	s_or_b32 exec_lo, exec_lo, s21
	s_add_co_i32 s28, s28, 0x10000
	s_delay_alu instid0(SALU_CYCLE_1)
	s_cmp_lt_u32 s28, s27
	s_cbranch_scc0 .LBB410_37
.LBB410_7:                              ; =>This Loop Header: Depth=1
                                        ;     Child Loop BB410_10 Depth 2
	v_mov_b32_e32 v1, s28
	v_mov_b64_e32 v[38:39], 0
	v_mov_b64_e32 v[40:41], 0
	;; [unrolled: 1-line block ×4, first 2 shown]
	global_load_b64 v[24:25], v1, s[24:25] scale_offset
	v_mov_b64_e32 v[26:27], 0
	v_mov_b64_e32 v[28:29], 0
	;; [unrolled: 1-line block ×4, first 2 shown]
	s_and_not1_b32 vcc_lo, exec_lo, s17
	s_cbranch_vccnz .LBB410_16
; %bb.8:                                ;   in Loop: Header=BB410_7 Depth=1
	s_lshl_b64 s[30:31], s[28:29], 3
	v_mov_b64_e32 v[22:23], 0
	s_add_nc_u64 s[34:35], s[6:7], s[30:31]
	s_add_nc_u64 s[30:31], s[18:19], s[30:31]
	s_clause 0x1
	global_load_b64 v[2:3], v0, s[34:35]
	global_load_b64 v[4:5], v0, s[30:31]
	v_mov_b64_e32 v[20:21], 0
	v_mov_b64_e32 v[28:29], 0
	;; [unrolled: 1-line block ×7, first 2 shown]
	s_mov_b32 s21, 0
	s_wait_loadcnt 0x1
	v_add_nc_u64_e32 v[30:31], v[2:3], v[18:19]
	s_wait_loadcnt 0x0
	v_add_nc_u64_e32 v[32:33], v[4:5], v[16:17]
	s_branch .LBB410_10
.LBB410_9:                              ;   in Loop: Header=BB410_10 Depth=2
	s_wait_xcnt 0x0
	s_or_b32 exec_lo, exec_lo, s30
	ds_store_b128 v43, v[2:5]
	s_wait_dscnt 0x0
	s_barrier_signal -1
	s_barrier_wait -1
	ds_load_b128 v[2:5], v45
	ds_load_b128 v[46:49], v44
	ds_load_b128 v[50:53], v44 offset:256
	ds_load_b128 v[54:57], v45 offset:2048
	;; [unrolled: 1-line block ×10, first 2 shown]
	v_add_nc_u64_e32 v[30:31], 0x80, v[30:31]
	v_add_nc_u64_e32 v[32:33], s[2:3], v[32:33]
	s_add_co_i32 s21, s21, 8
	s_delay_alu instid0(SALU_CYCLE_1)
	s_cmp_lt_i32 s21, s23
	s_wait_dscnt 0xa
	v_mul_f64_e32 v[90:91], v[4:5], v[48:49]
	v_mul_f64_e32 v[92:93], v[2:3], v[48:49]
	s_wait_dscnt 0x9
	v_mul_f64_e32 v[94:95], v[4:5], v[52:53]
	v_mul_f64_e32 v[96:97], v[2:3], v[52:53]
	s_wait_dscnt 0x8
	v_mul_f64_e32 v[98:99], v[56:57], v[48:49]
	v_mul_f64_e32 v[100:101], v[54:55], v[48:49]
	v_mul_f64_e32 v[48:49], v[56:57], v[52:53]
	v_mul_f64_e32 v[102:103], v[54:55], v[52:53]
	s_wait_dscnt 0x6
	v_mul_f64_e32 v[104:105], v[60:61], v[64:65]
	v_mul_f64_e32 v[106:107], v[58:59], v[64:65]
	s_wait_dscnt 0x5
	v_mul_f64_e32 v[108:109], v[60:61], v[68:69]
	v_mul_f64_e32 v[110:111], v[58:59], v[68:69]
	s_wait_dscnt 0x4
	v_mul_f64_e32 v[112:113], v[72:73], v[64:65]
	v_mul_f64_e32 v[64:65], v[70:71], v[64:65]
	v_mul_f64_e32 v[114:115], v[72:73], v[68:69]
	v_mul_f64_e32 v[68:69], v[70:71], v[68:69]
	;; [unrolled: 11-line block ×3, first 2 shown]
	v_fma_f64 v[90:91], v[2:3], v[46:47], -v[90:91]
	v_fmac_f64_e32 v[92:93], v[4:5], v[46:47]
	v_fma_f64 v[94:95], v[2:3], v[50:51], -v[94:95]
	v_fmac_f64_e32 v[96:97], v[4:5], v[50:51]
	;; [unrolled: 2-line block ×8, first 2 shown]
	ds_load_b128 v[2:5], v45 offset:48
	ds_load_b128 v[46:49], v45 offset:2096
	;; [unrolled: 1-line block ×4, first 2 shown]
	v_fma_f64 v[118:119], v[74:75], v[78:79], -v[118:119]
	v_fmac_f64_e32 v[120:121], v[76:77], v[78:79]
	v_fma_f64 v[74:75], v[74:75], v[82:83], -v[122:123]
	v_fmac_f64_e32 v[124:125], v[76:77], v[82:83]
	;; [unrolled: 2-line block ×4, first 2 shown]
	v_add_f64_e32 v[66:67], v[38:39], v[90:91]
	v_add_f64_e32 v[70:71], v[92:93], v[40:41]
	;; [unrolled: 1-line block ×8, first 2 shown]
	s_wait_dscnt 0x1
	v_mul_f64_e32 v[100:101], v[4:5], v[52:53]
	v_mul_f64_e32 v[102:103], v[2:3], v[52:53]
	s_wait_dscnt 0x0
	v_mul_f64_e32 v[108:109], v[4:5], v[56:57]
	v_mul_f64_e32 v[112:113], v[2:3], v[56:57]
	;; [unrolled: 1-line block ×6, first 2 shown]
	ds_load_b128 v[20:23], v45 offset:64
	ds_load_b128 v[26:29], v44 offset:2048
	;; [unrolled: 1-line block ×4, first 2 shown]
	v_add_f64_e32 v[82:83], v[66:67], v[104:105]
	v_add_f64_e32 v[86:87], v[106:107], v[70:71]
	;; [unrolled: 1-line block ×8, first 2 shown]
	s_wait_dscnt 0x2
	v_mul_f64_e32 v[98:99], v[22:23], v[28:29]
	v_mul_f64_e32 v[104:105], v[20:21], v[28:29]
	s_wait_dscnt 0x1
	v_mul_f64_e32 v[106:107], v[22:23], v[36:37]
	v_mul_f64_e32 v[110:111], v[20:21], v[36:37]
	;; [unrolled: 3-line block ×3, first 2 shown]
	v_mul_f64_e32 v[28:29], v[40:41], v[36:37]
	v_mul_f64_e32 v[128:129], v[38:39], v[36:37]
	v_fma_f64 v[36:37], v[2:3], v[50:51], -v[100:101]
	v_fmac_f64_e32 v[102:103], v[4:5], v[50:51]
	v_fma_f64 v[100:101], v[2:3], v[54:55], -v[108:109]
	v_fmac_f64_e32 v[112:113], v[4:5], v[54:55]
	;; [unrolled: 2-line block ×4, first 2 shown]
	ds_load_b128 v[56:59], v45 offset:80
	ds_load_b128 v[60:63], v45 offset:2128
	;; [unrolled: 1-line block ×4, first 2 shown]
	v_add_f64_e32 v[54:55], v[82:83], v[118:119]
	v_add_f64_e32 v[82:83], v[120:121], v[86:87]
	v_add_f64_e32 v[86:87], v[72:73], v[74:75]
	v_add_f64_e32 v[88:89], v[124:125], v[88:89]
	v_add_f64_e32 v[76:77], v[90:91], v[76:77]
	v_add_f64_e32 v[80:81], v[80:81], v[92:93]
	v_add_f64_e32 v[78:79], v[94:95], v[78:79]
	v_add_f64_e32 v[84:85], v[84:85], v[96:97]
	v_fma_f64 v[98:99], v[20:21], v[26:27], -v[98:99]
	v_fmac_f64_e32 v[104:105], v[22:23], v[26:27]
	v_fma_f64 v[106:107], v[20:21], v[34:35], -v[106:107]
	s_wait_dscnt 0x1
	v_mul_f64_e32 v[90:91], v[58:59], v[66:67]
	v_mul_f64_e32 v[92:93], v[56:57], v[66:67]
	s_wait_dscnt 0x0
	v_mul_f64_e32 v[94:95], v[58:59], v[70:71]
	v_mul_f64_e32 v[96:97], v[56:57], v[70:71]
	;; [unrolled: 1-line block ×6, first 2 shown]
	v_fmac_f64_e32 v[110:111], v[22:23], v[34:35]
	v_fma_f64 v[122:123], v[38:39], v[26:27], -v[122:123]
	v_fmac_f64_e32 v[126:127], v[40:41], v[26:27]
	v_fma_f64 v[124:125], v[38:39], v[34:35], -v[28:29]
	v_fmac_f64_e32 v[128:129], v[40:41], v[34:35]
	ds_load_b128 v[2:5], v45 offset:96
	ds_load_b128 v[46:49], v44 offset:3072
	;; [unrolled: 1-line block ×4, first 2 shown]
	v_add_f64_e32 v[54:55], v[54:55], v[36:37]
	v_add_f64_e32 v[82:83], v[102:103], v[82:83]
	;; [unrolled: 1-line block ×8, first 2 shown]
	ds_load_b128 v[20:23], v45 offset:112
	ds_load_b128 v[26:29], v45 offset:2160
	ds_load_b128 v[34:37], v44 offset:3584
	ds_load_b128 v[38:41], v44 offset:3840
	s_wait_dscnt 0x0
	v_mul_f64_e32 v[100:101], v[4:5], v[48:49]
	v_mul_f64_e32 v[102:103], v[2:3], v[48:49]
	;; [unrolled: 1-line block ×8, first 2 shown]
	v_fma_f64 v[90:91], v[56:57], v[64:65], -v[90:91]
	v_fmac_f64_e32 v[92:93], v[58:59], v[64:65]
	v_fma_f64 v[56:57], v[56:57], v[68:69], -v[94:95]
	v_fmac_f64_e32 v[96:97], v[58:59], v[68:69]
	;; [unrolled: 2-line block ×4, first 2 shown]
	s_barrier_signal -1
	s_barrier_wait -1
	v_mul_f64_e32 v[94:95], v[20:21], v[40:41]
	v_add_f64_e32 v[54:55], v[54:55], v[98:99]
	v_add_f64_e32 v[62:63], v[104:105], v[82:83]
	;; [unrolled: 1-line block ×8, first 2 shown]
	v_mul_f64_e32 v[84:85], v[22:23], v[36:37]
	v_mul_f64_e32 v[86:87], v[20:21], v[36:37]
	;; [unrolled: 1-line block ×7, first 2 shown]
	v_fma_f64 v[40:41], v[2:3], v[46:47], -v[100:101]
	v_fmac_f64_e32 v[102:103], v[4:5], v[46:47]
	v_fma_f64 v[2:3], v[2:3], v[50:51], -v[108:109]
	v_fmac_f64_e32 v[112:113], v[4:5], v[50:51]
	;; [unrolled: 2-line block ×4, first 2 shown]
	v_fmac_f64_e32 v[94:95], v[22:23], v[38:39]
	v_add_f64_e32 v[50:51], v[54:55], v[90:91]
	v_add_f64_e32 v[54:55], v[92:93], v[62:63]
	v_add_f64_e32 v[56:57], v[64:65], v[56:57]
	v_add_f64_e32 v[62:63], v[96:97], v[68:69]
	v_add_f64_e32 v[58:59], v[76:77], v[58:59]
	v_add_f64_e32 v[64:65], v[66:67], v[80:81]
	v_add_f64_e32 v[60:61], v[78:79], v[60:61]
	v_add_f64_e32 v[66:67], v[70:71], v[82:83]
	v_fma_f64 v[68:69], v[20:21], v[34:35], -v[84:85]
	v_fmac_f64_e32 v[86:87], v[22:23], v[34:35]
	v_fma_f64 v[20:21], v[20:21], v[38:39], -v[88:89]
	v_fma_f64 v[22:23], v[26:27], v[34:35], -v[98:99]
	v_fmac_f64_e32 v[104:105], v[28:29], v[34:35]
	v_fma_f64 v[70:71], v[26:27], v[38:39], -v[36:37]
	v_fmac_f64_e32 v[106:107], v[28:29], v[38:39]
	v_add_f64_e32 v[26:27], v[50:51], v[40:41]
	v_add_f64_e32 v[28:29], v[102:103], v[54:55]
	;; [unrolled: 1-line block ×16, first 2 shown]
	s_cbranch_scc0 .LBB410_16
.LBB410_10:                             ;   Parent Loop BB410_7 Depth=1
                                        ; =>  This Inner Loop Header: Depth=2
	s_wait_xcnt 0x2
	v_add_nc_u32_e32 v1, s21, v42
	s_delay_alu instid0(VALU_DEP_1) | instskip(SKIP_2) | instid1(SALU_CYCLE_1)
	v_cmp_le_i32_e32 vcc_lo, s23, v1
	s_wait_xcnt 0x0
	s_or_b32 s30, s20, vcc_lo
	s_and_saveexec_b32 s31, s30
	s_delay_alu instid0(SALU_CYCLE_1)
	s_xor_b32 s30, exec_lo, s31
; %bb.11:                               ;   in Loop: Header=BB410_10 Depth=2
	v_dual_mov_b32 v1, v0 :: v_dual_mov_b32 v2, v0
	v_mov_b32_e32 v3, v0
	ds_store_b128 v7, v[0:3]
; %bb.12:                               ;   in Loop: Header=BB410_10 Depth=2
	s_and_not1_saveexec_b32 s30, s30
	s_cbranch_execz .LBB410_14
; %bb.13:                               ;   in Loop: Header=BB410_10 Depth=2
	flat_load_b128 v[2:5], v[30:31]
	s_wait_loadcnt_dscnt 0x0
	ds_store_2addr_b64 v7, v[2:3], v[4:5] offset1:1
.LBB410_14:                             ;   in Loop: Header=BB410_10 Depth=2
	s_wait_xcnt 0x0
	s_or_b32 exec_lo, exec_lo, s30
	v_add_nc_u32_e32 v1, s21, v6
	v_mov_b64_e32 v[2:3], 0
	v_mov_b64_e32 v[4:5], 0
	s_delay_alu instid0(VALU_DEP_3) | instskip(SKIP_1) | instid1(SALU_CYCLE_1)
	v_cmp_gt_i32_e32 vcc_lo, s23, v1
	s_and_b32 s31, vcc_lo, s0
	s_and_saveexec_b32 s30, s31
	s_cbranch_execz .LBB410_9
; %bb.15:                               ;   in Loop: Header=BB410_10 Depth=2
	flat_load_b128 v[2:5], v[32:33] offset:-8
	s_wait_loadcnt_dscnt 0x0
	v_xor_b32_e32 v5, 0x80000000, v5
	s_branch .LBB410_9
.LBB410_16:                             ;   in Loop: Header=BB410_7 Depth=1
	s_wait_loadcnt 0x0
	v_add_nc_u64_e32 v[24:25], s[4:5], v[24:25]
	s_delay_alu instid0(VALU_DEP_1)
	v_lshl_add_u64 v[30:31], v[10:11], 4, v[24:25]
	s_wait_xcnt 0x0
	s_and_saveexec_b32 s21, s26
	s_cbranch_execz .LBB410_21
; %bb.17:                               ;   in Loop: Header=BB410_7 Depth=1
	v_mul_f64_e32 v[2:3], s[14:15], v[40:41]
	v_mul_f64_e32 v[4:5], s[12:13], v[40:41]
	v_lshl_add_u64 v[32:33], v[8:9], 4, v[30:31]
	s_and_b32 vcc_lo, exec_lo, s22
	s_mov_b32 s30, -1
	s_delay_alu instid0(VALU_DEP_3) | instskip(NEXT) | instid1(VALU_DEP_3)
	v_fma_f64 v[2:3], s[12:13], v[38:39], -v[2:3]
	v_fmac_f64_e32 v[4:5], s[14:15], v[38:39]
	s_cbranch_vccz .LBB410_19
; %bb.18:                               ;   in Loop: Header=BB410_7 Depth=1
	flat_load_b128 v[38:41], v[32:33]
	s_mov_b32 s30, 0
	s_wait_loadcnt_dscnt 0x0
	v_mul_f64_e32 v[46:47], s[10:11], v[40:41]
	v_mul_f64_e32 v[40:41], s[8:9], v[40:41]
	s_delay_alu instid0(VALU_DEP_2) | instskip(NEXT) | instid1(VALU_DEP_2)
	v_fma_f64 v[46:47], s[8:9], v[38:39], -v[46:47]
	v_fmac_f64_e32 v[40:41], s[10:11], v[38:39]
	s_delay_alu instid0(VALU_DEP_2) | instskip(NEXT) | instid1(VALU_DEP_2)
	v_add_f64_e32 v[38:39], v[2:3], v[46:47]
	v_add_f64_e32 v[40:41], v[4:5], v[40:41]
	flat_store_b128 v[32:33], v[38:41]
.LBB410_19:                             ;   in Loop: Header=BB410_7 Depth=1
	s_and_not1_b32 vcc_lo, exec_lo, s30
	s_cbranch_vccnz .LBB410_21
; %bb.20:                               ;   in Loop: Header=BB410_7 Depth=1
	flat_store_b128 v[32:33], v[2:5]
.LBB410_21:                             ;   in Loop: Header=BB410_7 Depth=1
	s_wait_xcnt 0x0
	s_or_b32 exec_lo, exec_lo, s21
	s_and_saveexec_b32 s21, s33
	s_cbranch_execz .LBB410_26
; %bb.22:                               ;   in Loop: Header=BB410_7 Depth=1
	v_mul_f64_e32 v[2:3], s[14:15], v[36:37]
	v_mul_f64_e32 v[4:5], s[12:13], v[36:37]
	v_lshl_add_u64 v[30:31], v[12:13], 4, v[30:31]
	s_and_not1_b32 vcc_lo, exec_lo, s22
	s_mov_b32 s30, -1
	s_delay_alu instid0(VALU_DEP_3) | instskip(NEXT) | instid1(VALU_DEP_3)
	v_fma_f64 v[2:3], s[12:13], v[34:35], -v[2:3]
	v_fmac_f64_e32 v[4:5], s[14:15], v[34:35]
	s_cbranch_vccnz .LBB410_24
; %bb.23:                               ;   in Loop: Header=BB410_7 Depth=1
	flat_load_b128 v[32:35], v[30:31]
	s_mov_b32 s30, 0
	s_wait_loadcnt_dscnt 0x0
	v_mul_f64_e32 v[36:37], s[10:11], v[34:35]
	v_mul_f64_e32 v[34:35], s[8:9], v[34:35]
	s_delay_alu instid0(VALU_DEP_2) | instskip(NEXT) | instid1(VALU_DEP_2)
	v_fma_f64 v[36:37], s[8:9], v[32:33], -v[36:37]
	v_fmac_f64_e32 v[34:35], s[10:11], v[32:33]
	s_delay_alu instid0(VALU_DEP_2) | instskip(NEXT) | instid1(VALU_DEP_2)
	v_add_f64_e32 v[32:33], v[2:3], v[36:37]
	v_add_f64_e32 v[34:35], v[4:5], v[34:35]
	flat_store_b128 v[30:31], v[32:35]
.LBB410_24:                             ;   in Loop: Header=BB410_7 Depth=1
	s_and_not1_b32 vcc_lo, exec_lo, s30
	s_cbranch_vccnz .LBB410_26
; %bb.25:                               ;   in Loop: Header=BB410_7 Depth=1
	flat_store_b128 v[30:31], v[2:5]
.LBB410_26:                             ;   in Loop: Header=BB410_7 Depth=1
	s_wait_xcnt 0x0
	s_or_b32 exec_lo, exec_lo, s21
	v_lshl_add_u64 v[24:25], v[14:15], 4, v[24:25]
	s_and_saveexec_b32 s21, s1
	s_cbranch_execz .LBB410_31
; %bb.27:                               ;   in Loop: Header=BB410_7 Depth=1
	v_mul_f64_e32 v[2:3], s[14:15], v[28:29]
	v_mul_f64_e32 v[4:5], s[12:13], v[28:29]
	s_and_not1_b32 vcc_lo, exec_lo, s22
	s_mov_b32 s30, -1
	s_delay_alu instid0(VALU_DEP_2) | instskip(NEXT) | instid1(VALU_DEP_2)
	v_fma_f64 v[2:3], s[12:13], v[26:27], -v[2:3]
	v_fmac_f64_e32 v[4:5], s[14:15], v[26:27]
	v_lshl_add_u64 v[26:27], v[8:9], 4, v[24:25]
	s_cbranch_vccnz .LBB410_29
; %bb.28:                               ;   in Loop: Header=BB410_7 Depth=1
	flat_load_b128 v[28:31], v[26:27]
	s_mov_b32 s30, 0
	s_wait_loadcnt_dscnt 0x0
	v_mul_f64_e32 v[32:33], s[10:11], v[30:31]
	v_mul_f64_e32 v[30:31], s[8:9], v[30:31]
	s_delay_alu instid0(VALU_DEP_2) | instskip(NEXT) | instid1(VALU_DEP_2)
	v_fma_f64 v[32:33], s[8:9], v[28:29], -v[32:33]
	v_fmac_f64_e32 v[30:31], s[10:11], v[28:29]
	s_delay_alu instid0(VALU_DEP_2) | instskip(NEXT) | instid1(VALU_DEP_2)
	v_add_f64_e32 v[28:29], v[2:3], v[32:33]
	v_add_f64_e32 v[30:31], v[4:5], v[30:31]
	flat_store_b128 v[26:27], v[28:31]
.LBB410_29:                             ;   in Loop: Header=BB410_7 Depth=1
	s_and_not1_b32 vcc_lo, exec_lo, s30
	s_cbranch_vccnz .LBB410_31
; %bb.30:                               ;   in Loop: Header=BB410_7 Depth=1
	flat_store_b128 v[26:27], v[2:5]
.LBB410_31:                             ;   in Loop: Header=BB410_7 Depth=1
	s_wait_xcnt 0x0
	s_or_b32 exec_lo, exec_lo, s21
	s_and_saveexec_b32 s21, s16
	s_cbranch_execz .LBB410_6
; %bb.32:                               ;   in Loop: Header=BB410_7 Depth=1
	s_delay_alu instid0(VALU_DEP_4) | instskip(SKIP_3) | instid1(VALU_DEP_2)
	v_mul_f64_e32 v[2:3], s[14:15], v[22:23]
	v_mul_f64_e32 v[4:5], s[12:13], v[22:23]
	s_and_not1_b32 vcc_lo, exec_lo, s22
	s_mov_b32 s30, -1
	v_fma_f64 v[2:3], s[12:13], v[20:21], -v[2:3]
	s_delay_alu instid0(VALU_DEP_2)
	v_fmac_f64_e32 v[4:5], s[14:15], v[20:21]
	v_lshl_add_u64 v[20:21], v[12:13], 4, v[24:25]
	s_cbranch_vccnz .LBB410_34
; %bb.33:                               ;   in Loop: Header=BB410_7 Depth=1
	flat_load_b128 v[22:25], v[20:21]
	s_mov_b32 s30, 0
	s_wait_loadcnt_dscnt 0x0
	v_mul_f64_e32 v[26:27], s[10:11], v[24:25]
	v_mul_f64_e32 v[24:25], s[8:9], v[24:25]
	s_delay_alu instid0(VALU_DEP_2) | instskip(NEXT) | instid1(VALU_DEP_2)
	v_fma_f64 v[26:27], s[8:9], v[22:23], -v[26:27]
	v_fmac_f64_e32 v[24:25], s[10:11], v[22:23]
	s_delay_alu instid0(VALU_DEP_2) | instskip(NEXT) | instid1(VALU_DEP_2)
	v_add_f64_e32 v[22:23], v[2:3], v[26:27]
	v_add_f64_e32 v[24:25], v[4:5], v[24:25]
	flat_store_b128 v[20:21], v[22:25]
.LBB410_34:                             ;   in Loop: Header=BB410_7 Depth=1
	s_and_not1_b32 vcc_lo, exec_lo, s30
	s_cbranch_vccnz .LBB410_6
; %bb.35:                               ;   in Loop: Header=BB410_7 Depth=1
	flat_store_b128 v[20:21], v[2:5]
	s_branch .LBB410_6
.LBB410_36:
.LBB410_37:
	s_sendmsg sendmsg(MSG_DEALLOC_VGPRS)
	s_endpgm
	.section	.rodata,"a",@progbits
	.p2align	6, 0x0
	.amdhsa_kernel _ZL29rocblas_internal_gemmt_kernelIiLi16ELi32ELi8ELc84ELc67ELc76ELb0ELb1E19rocblas_complex_numIdEPKS1_PKS3_PKPS1_EviT_T9_T10_S9_lSB_S9_lSA_T11_S9_li
		.amdhsa_group_segment_fixed_size 8192
		.amdhsa_private_segment_fixed_size 0
		.amdhsa_kernarg_size 100
		.amdhsa_user_sgpr_count 2
		.amdhsa_user_sgpr_dispatch_ptr 0
		.amdhsa_user_sgpr_queue_ptr 0
		.amdhsa_user_sgpr_kernarg_segment_ptr 1
		.amdhsa_user_sgpr_dispatch_id 0
		.amdhsa_user_sgpr_kernarg_preload_length 0
		.amdhsa_user_sgpr_kernarg_preload_offset 0
		.amdhsa_user_sgpr_private_segment_size 0
		.amdhsa_wavefront_size32 1
		.amdhsa_uses_dynamic_stack 0
		.amdhsa_enable_private_segment 0
		.amdhsa_system_sgpr_workgroup_id_x 1
		.amdhsa_system_sgpr_workgroup_id_y 1
		.amdhsa_system_sgpr_workgroup_id_z 1
		.amdhsa_system_sgpr_workgroup_info 0
		.amdhsa_system_vgpr_workitem_id 1
		.amdhsa_next_free_vgpr 132
		.amdhsa_next_free_sgpr 41
		.amdhsa_named_barrier_count 0
		.amdhsa_reserve_vcc 1
		.amdhsa_float_round_mode_32 0
		.amdhsa_float_round_mode_16_64 0
		.amdhsa_float_denorm_mode_32 3
		.amdhsa_float_denorm_mode_16_64 3
		.amdhsa_fp16_overflow 0
		.amdhsa_memory_ordered 1
		.amdhsa_forward_progress 1
		.amdhsa_inst_pref_size 24
		.amdhsa_round_robin_scheduling 0
		.amdhsa_exception_fp_ieee_invalid_op 0
		.amdhsa_exception_fp_denorm_src 0
		.amdhsa_exception_fp_ieee_div_zero 0
		.amdhsa_exception_fp_ieee_overflow 0
		.amdhsa_exception_fp_ieee_underflow 0
		.amdhsa_exception_fp_ieee_inexact 0
		.amdhsa_exception_int_div_zero 0
	.end_amdhsa_kernel
	.section	.text._ZL29rocblas_internal_gemmt_kernelIiLi16ELi32ELi8ELc84ELc67ELc76ELb0ELb1E19rocblas_complex_numIdEPKS1_PKS3_PKPS1_EviT_T9_T10_S9_lSB_S9_lSA_T11_S9_li,"axG",@progbits,_ZL29rocblas_internal_gemmt_kernelIiLi16ELi32ELi8ELc84ELc67ELc76ELb0ELb1E19rocblas_complex_numIdEPKS1_PKS3_PKPS1_EviT_T9_T10_S9_lSB_S9_lSA_T11_S9_li,comdat
.Lfunc_end410:
	.size	_ZL29rocblas_internal_gemmt_kernelIiLi16ELi32ELi8ELc84ELc67ELc76ELb0ELb1E19rocblas_complex_numIdEPKS1_PKS3_PKPS1_EviT_T9_T10_S9_lSB_S9_lSA_T11_S9_li, .Lfunc_end410-_ZL29rocblas_internal_gemmt_kernelIiLi16ELi32ELi8ELc84ELc67ELc76ELb0ELb1E19rocblas_complex_numIdEPKS1_PKS3_PKPS1_EviT_T9_T10_S9_lSB_S9_lSA_T11_S9_li
                                        ; -- End function
	.set _ZL29rocblas_internal_gemmt_kernelIiLi16ELi32ELi8ELc84ELc67ELc76ELb0ELb1E19rocblas_complex_numIdEPKS1_PKS3_PKPS1_EviT_T9_T10_S9_lSB_S9_lSA_T11_S9_li.num_vgpr, 132
	.set _ZL29rocblas_internal_gemmt_kernelIiLi16ELi32ELi8ELc84ELc67ELc76ELb0ELb1E19rocblas_complex_numIdEPKS1_PKS3_PKPS1_EviT_T9_T10_S9_lSB_S9_lSA_T11_S9_li.num_agpr, 0
	.set _ZL29rocblas_internal_gemmt_kernelIiLi16ELi32ELi8ELc84ELc67ELc76ELb0ELb1E19rocblas_complex_numIdEPKS1_PKS3_PKPS1_EviT_T9_T10_S9_lSB_S9_lSA_T11_S9_li.numbered_sgpr, 41
	.set _ZL29rocblas_internal_gemmt_kernelIiLi16ELi32ELi8ELc84ELc67ELc76ELb0ELb1E19rocblas_complex_numIdEPKS1_PKS3_PKPS1_EviT_T9_T10_S9_lSB_S9_lSA_T11_S9_li.num_named_barrier, 0
	.set _ZL29rocblas_internal_gemmt_kernelIiLi16ELi32ELi8ELc84ELc67ELc76ELb0ELb1E19rocblas_complex_numIdEPKS1_PKS3_PKPS1_EviT_T9_T10_S9_lSB_S9_lSA_T11_S9_li.private_seg_size, 0
	.set _ZL29rocblas_internal_gemmt_kernelIiLi16ELi32ELi8ELc84ELc67ELc76ELb0ELb1E19rocblas_complex_numIdEPKS1_PKS3_PKPS1_EviT_T9_T10_S9_lSB_S9_lSA_T11_S9_li.uses_vcc, 1
	.set _ZL29rocblas_internal_gemmt_kernelIiLi16ELi32ELi8ELc84ELc67ELc76ELb0ELb1E19rocblas_complex_numIdEPKS1_PKS3_PKPS1_EviT_T9_T10_S9_lSB_S9_lSA_T11_S9_li.uses_flat_scratch, 0
	.set _ZL29rocblas_internal_gemmt_kernelIiLi16ELi32ELi8ELc84ELc67ELc76ELb0ELb1E19rocblas_complex_numIdEPKS1_PKS3_PKPS1_EviT_T9_T10_S9_lSB_S9_lSA_T11_S9_li.has_dyn_sized_stack, 0
	.set _ZL29rocblas_internal_gemmt_kernelIiLi16ELi32ELi8ELc84ELc67ELc76ELb0ELb1E19rocblas_complex_numIdEPKS1_PKS3_PKPS1_EviT_T9_T10_S9_lSB_S9_lSA_T11_S9_li.has_recursion, 0
	.set _ZL29rocblas_internal_gemmt_kernelIiLi16ELi32ELi8ELc84ELc67ELc76ELb0ELb1E19rocblas_complex_numIdEPKS1_PKS3_PKPS1_EviT_T9_T10_S9_lSB_S9_lSA_T11_S9_li.has_indirect_call, 0
	.section	.AMDGPU.csdata,"",@progbits
; Kernel info:
; codeLenInByte = 2996
; TotalNumSgprs: 43
; NumVgprs: 132
; ScratchSize: 0
; MemoryBound: 1
; FloatMode: 240
; IeeeMode: 1
; LDSByteSize: 8192 bytes/workgroup (compile time only)
; SGPRBlocks: 0
; VGPRBlocks: 8
; NumSGPRsForWavesPerEU: 43
; NumVGPRsForWavesPerEU: 132
; NamedBarCnt: 0
; Occupancy: 7
; WaveLimiterHint : 1
; COMPUTE_PGM_RSRC2:SCRATCH_EN: 0
; COMPUTE_PGM_RSRC2:USER_SGPR: 2
; COMPUTE_PGM_RSRC2:TRAP_HANDLER: 0
; COMPUTE_PGM_RSRC2:TGID_X_EN: 1
; COMPUTE_PGM_RSRC2:TGID_Y_EN: 1
; COMPUTE_PGM_RSRC2:TGID_Z_EN: 1
; COMPUTE_PGM_RSRC2:TIDIG_COMP_CNT: 1
	.section	.text._ZL29rocblas_internal_gemmt_kernelIiLi16ELi32ELi8ELc67ELc78ELc76ELb1ELb0E19rocblas_complex_numIdEPKS1_PKS3_PKPS1_EviT_T9_T10_S9_lSB_S9_lSA_T11_S9_li,"axG",@progbits,_ZL29rocblas_internal_gemmt_kernelIiLi16ELi32ELi8ELc67ELc78ELc76ELb1ELb0E19rocblas_complex_numIdEPKS1_PKS3_PKPS1_EviT_T9_T10_S9_lSB_S9_lSA_T11_S9_li,comdat
	.globl	_ZL29rocblas_internal_gemmt_kernelIiLi16ELi32ELi8ELc67ELc78ELc76ELb1ELb0E19rocblas_complex_numIdEPKS1_PKS3_PKPS1_EviT_T9_T10_S9_lSB_S9_lSA_T11_S9_li ; -- Begin function _ZL29rocblas_internal_gemmt_kernelIiLi16ELi32ELi8ELc67ELc78ELc76ELb1ELb0E19rocblas_complex_numIdEPKS1_PKS3_PKPS1_EviT_T9_T10_S9_lSB_S9_lSA_T11_S9_li
	.p2align	8
	.type	_ZL29rocblas_internal_gemmt_kernelIiLi16ELi32ELi8ELc67ELc78ELc76ELb1ELb0E19rocblas_complex_numIdEPKS1_PKS3_PKPS1_EviT_T9_T10_S9_lSB_S9_lSA_T11_S9_li,@function
_ZL29rocblas_internal_gemmt_kernelIiLi16ELi32ELi8ELc67ELc78ELc76ELb1ELb0E19rocblas_complex_numIdEPKS1_PKS3_PKPS1_EviT_T9_T10_S9_lSB_S9_lSA_T11_S9_li: ; @_ZL29rocblas_internal_gemmt_kernelIiLi16ELi32ELi8ELc67ELc78ELc76ELb1ELb0E19rocblas_complex_numIdEPKS1_PKS3_PKPS1_EviT_T9_T10_S9_lSB_S9_lSA_T11_S9_li
; %bb.0:
	s_load_b128 s[20:23], s[0:1], 0x38
	s_wait_kmcnt 0x0
	s_load_b128 s[8:11], s[22:23], 0x0
	s_load_b128 s[4:7], s[0:1], 0x8
	s_wait_xcnt 0x0
	s_load_b64 s[22:23], s[0:1], 0x0
	s_wait_kmcnt 0x0
	v_cmp_eq_f64_e64 s2, s[8:9], 1.0
	v_cmp_eq_f64_e64 s33, s[10:11], 0
	s_load_b128 s[12:15], s[4:5], 0x0
	s_and_b32 s2, s2, s33
	s_delay_alu instid0(SALU_CYCLE_1)
	s_and_not1_b32 vcc_lo, exec_lo, s2
	s_mov_b32 s2, -1
	s_cbranch_vccnz .LBB411_3
; %bb.1:
	s_cmp_lg_u32 s23, 0
	s_cbranch_scc0 .LBB411_36
; %bb.2:
	s_wait_kmcnt 0x0
	v_cmp_neq_f64_e64 s2, s[12:13], 0
	v_cmp_neq_f64_e64 s3, s[14:15], 0
	s_or_b32 s2, s2, s3
.LBB411_3:
	s_delay_alu instid0(SALU_CYCLE_1)
	s_and_b32 vcc_lo, exec_lo, s2
	s_cbranch_vccz .LBB411_37
; %bb.4:
	s_load_b32 s27, s[0:1], 0x60
	s_bfe_u32 s2, ttmp6, 0x40014
	s_lshr_b32 s3, ttmp7, 16
	s_add_co_i32 s2, s2, 1
	s_wait_xcnt 0x0
	s_bfe_u32 s4, ttmp6, 0x40008
	s_mul_i32 s2, s3, s2
	s_getreg_b32 s34, hwreg(HW_REG_IB_STS2, 6, 4)
	s_add_co_i32 s4, s4, s2
	s_cmp_eq_u32 s34, 0
	s_mov_b32 s29, 0
	s_cselect_b32 s28, s3, s4
	s_wait_kmcnt 0x0
	s_cmp_ge_u32 s28, s27
	s_cbranch_scc1 .LBB411_37
; %bb.5:
	s_clause 0x3
	s_load_b32 s4, s[0:1], 0x18
	s_load_b32 s2, s[0:1], 0x30
	s_load_b96 s[24:26], s[0:1], 0x48
	s_load_b128 s[16:19], s[0:1], 0x20
	v_and_b32_e32 v1, 0x3ff, v0
	v_bfe_u32 v6, v0, 10, 10
	s_load_b64 s[30:31], s[0:1], 0x58
	s_wait_xcnt 0x0
	s_bfe_u32 s1, ttmp6, 0x4000c
	s_bfe_u32 s3, ttmp6, 0x40010
	s_and_b32 s36, ttmp7, 0xffff
	s_add_co_i32 s1, s1, 1
	s_add_co_i32 s3, s3, 1
	v_lshl_add_u32 v7, v6, 4, v1
	s_and_b32 s0, ttmp6, 15
	s_bfe_u32 s37, ttmp6, 0x40004
	s_mul_i32 s1, ttmp9, s1
	s_mul_i32 s38, s36, s3
	s_add_co_i32 s0, s0, s1
	s_add_co_i32 s37, s37, s38
	v_dual_lshrrev_b32 v9, 3, v7 :: v_dual_bitop2_b32 v8, 31, v7 bitop3:0x40
	s_wait_kmcnt 0x0
	s_ashr_i32 s5, s4, 31
	s_ashr_i32 s3, s2, 31
	;; [unrolled: 1-line block ×3, first 2 shown]
	s_cmp_eq_u32 s34, 0
	v_cmp_neq_f64_e64 s1, s[12:13], 0
	s_cselect_b32 s0, ttmp9, s0
	s_cselect_b32 s34, s36, s37
	s_lshl_b32 s0, s0, 5
	s_lshl_b32 s34, s34, 5
	v_or_b32_e32 v2, s0, v8
	v_cmp_neq_f64_e64 s38, s[14:15], 0
	v_dual_mov_b32 v0, 0 :: v_dual_bitop2_b32 v40, 7, v0 bitop3:0x40
	s_delay_alu instid0(VALU_DEP_3) | instskip(NEXT) | instid1(VALU_DEP_2)
	v_dual_lshrrev_b32 v43, 5, v7 :: v_dual_ashrrev_i32 v3, 31, v2
	v_dual_add_nc_u32 v4, s34, v9 :: v_dual_lshlrev_b32 v16, 4, v40
	v_lshlrev_b32_e32 v41, 4, v1
	v_cmp_neq_f64_e64 s36, s[8:9], 0
	s_delay_alu instid0(VALU_DEP_4) | instskip(NEXT) | instid1(VALU_DEP_4)
	v_mul_u64_e32 v[14:15], s[4:5], v[2:3]
	v_ashrrev_i32_e32 v5, 31, v4
	v_dual_lshlrev_b32 v3, 4, v8 :: v_dual_add_nc_u32 v18, s34, v6
	v_lshlrev_b32_e32 v22, 4, v43
	v_lshl_add_u32 v42, v6, 7, 0x1000
	s_delay_alu instid0(VALU_DEP_4)
	v_mul_u64_e32 v[20:21], s[2:3], v[4:5]
	v_lshl_or_b32 v6, v9, 7, v16
	v_add_nc_u32_e32 v24, 16, v18
	s_mov_b32 s34, s26
	v_lshl_or_b32 v44, v43, 9, v3
	v_mov_b32_e32 v23, v0
	v_add_nc_u32_e32 v45, 0x1000, v6
	v_dual_add_nc_u32 v6, s0, v1 :: v_dual_ashrrev_i32 v19, 31, v18
	v_ashrrev_i32_e32 v25, 31, v24
	v_cmp_gt_i32_e64 s0, s22, v2
	s_delay_alu instid0(VALU_DEP_3) | instskip(NEXT) | instid1(VALU_DEP_4)
	v_dual_mov_b32 v17, v0 :: v_dual_ashrrev_i32 v7, 31, v6
	v_mul_u64_e32 v[8:9], s[34:35], v[18:19]
	s_delay_alu instid0(VALU_DEP_4)
	v_mul_u64_e32 v[10:11], s[34:35], v[24:25]
	v_cmp_gt_i32_e64 s2, s22, v6
	v_add_nc_u32_e32 v12, 16, v6
	s_or_b32 s26, s1, s38
	s_cmp_gt_i32 s23, 0
	v_cmp_le_i32_e64 s1, v18, v6
	s_cselect_b32 s37, -1, 0
	s_lshl_b64 s[34:35], s[16:17], 4
	s_xor_b32 s3, s33, -1
	s_lshl_b64 s[20:21], s[20:21], 4
	s_and_b32 s16, s1, s2
	s_or_b32 s5, s36, s3
	v_lshl_add_u64 v[2:3], v[14:15], 4, s[34:35]
	v_cmp_le_i32_e64 s1, v18, v12
	v_cmp_gt_i32_e64 s3, s22, v12
	v_cmp_gt_i32_e32 vcc_lo, s22, v4
	v_cmp_le_i32_e64 s4, v24, v6
	v_add_nc_u64_e32 v[14:15], v[2:3], v[22:23]
	v_lshl_add_u64 v[2:3], v[20:21], 4, s[20:21]
	s_and_b32 s17, s1, s3
	v_cmp_le_i32_e64 s1, v24, v12
	v_ashrrev_i32_e32 v13, 31, v12
	s_and_b32 s4, s4, s2
	v_add_nc_u64_e32 v[16:17], v[2:3], v[16:17]
	v_or_b32_e32 v14, 8, v14
	s_and_b32 s20, s26, s37
	s_and_b32 s1, s1, s3
	s_xor_b32 s21, vcc_lo, -1
	s_lshl_b64 s[2:3], s[30:31], 4
	s_branch .LBB411_7
.LBB411_6:                              ;   in Loop: Header=BB411_7 Depth=1
	s_wait_xcnt 0x0
	s_or_b32 exec_lo, exec_lo, s22
	s_add_co_i32 s28, s28, 0x10000
	s_delay_alu instid0(SALU_CYCLE_1)
	s_cmp_lt_u32 s28, s27
	s_cbranch_scc0 .LBB411_37
.LBB411_7:                              ; =>This Loop Header: Depth=1
                                        ;     Child Loop BB411_10 Depth 2
	v_mov_b32_e32 v1, s28
	v_mov_b64_e32 v[36:37], 0
	v_mov_b64_e32 v[38:39], 0
	;; [unrolled: 1-line block ×4, first 2 shown]
	global_load_b64 v[22:23], v1, s[24:25] scale_offset
	v_mov_b64_e32 v[24:25], 0
	v_mov_b64_e32 v[26:27], 0
	;; [unrolled: 1-line block ×4, first 2 shown]
	s_and_not1_b32 vcc_lo, exec_lo, s20
	s_cbranch_vccnz .LBB411_16
; %bb.8:                                ;   in Loop: Header=BB411_7 Depth=1
	s_lshl_b64 s[30:31], s[28:29], 3
	v_mov_b64_e32 v[20:21], 0
	s_add_nc_u64 s[34:35], s[6:7], s[30:31]
	s_add_nc_u64 s[30:31], s[18:19], s[30:31]
	s_clause 0x1
	global_load_b64 v[2:3], v0, s[34:35]
	global_load_b64 v[4:5], v0, s[30:31]
	v_mov_b64_e32 v[18:19], 0
	v_mov_b64_e32 v[26:27], 0
	;; [unrolled: 1-line block ×7, first 2 shown]
	s_mov_b32 s22, 0
	s_wait_loadcnt 0x1
	v_add_nc_u64_e32 v[28:29], v[2:3], v[14:15]
	s_wait_loadcnt 0x0
	v_add_nc_u64_e32 v[30:31], v[4:5], v[16:17]
	s_branch .LBB411_10
.LBB411_9:                              ;   in Loop: Header=BB411_10 Depth=2
	s_wait_xcnt 0x0
	s_or_b32 exec_lo, exec_lo, s26
	s_wait_dscnt 0x0
	s_barrier_signal -1
	s_barrier_wait -1
	ds_load_b128 v[2:5], v42
	ds_load_b128 v[46:49], v41
	ds_load_b128 v[50:53], v41 offset:256
	ds_load_b128 v[54:57], v42 offset:2048
	;; [unrolled: 1-line block ×10, first 2 shown]
	v_add_nc_u64_e32 v[28:29], 0x80, v[28:29]
	v_add_nc_u64_e32 v[30:31], 0x80, v[30:31]
	s_add_co_i32 s22, s22, 8
	s_delay_alu instid0(SALU_CYCLE_1)
	s_cmp_lt_i32 s22, s23
	s_wait_dscnt 0xa
	v_mul_f64_e32 v[90:91], v[4:5], v[48:49]
	v_mul_f64_e32 v[92:93], v[2:3], v[48:49]
	s_wait_dscnt 0x9
	v_mul_f64_e32 v[94:95], v[4:5], v[52:53]
	v_mul_f64_e32 v[96:97], v[2:3], v[52:53]
	s_wait_dscnt 0x8
	v_mul_f64_e32 v[98:99], v[56:57], v[48:49]
	v_mul_f64_e32 v[100:101], v[54:55], v[48:49]
	v_mul_f64_e32 v[48:49], v[56:57], v[52:53]
	v_mul_f64_e32 v[102:103], v[54:55], v[52:53]
	s_wait_dscnt 0x6
	v_mul_f64_e32 v[104:105], v[60:61], v[64:65]
	v_mul_f64_e32 v[106:107], v[58:59], v[64:65]
	s_wait_dscnt 0x5
	v_mul_f64_e32 v[108:109], v[60:61], v[68:69]
	v_mul_f64_e32 v[110:111], v[58:59], v[68:69]
	s_wait_dscnt 0x4
	v_mul_f64_e32 v[112:113], v[72:73], v[64:65]
	v_mul_f64_e32 v[64:65], v[70:71], v[64:65]
	v_mul_f64_e32 v[114:115], v[72:73], v[68:69]
	v_mul_f64_e32 v[68:69], v[70:71], v[68:69]
	;; [unrolled: 11-line block ×3, first 2 shown]
	v_fma_f64 v[90:91], v[2:3], v[46:47], -v[90:91]
	v_fmac_f64_e32 v[92:93], v[4:5], v[46:47]
	v_fma_f64 v[94:95], v[2:3], v[50:51], -v[94:95]
	v_fmac_f64_e32 v[96:97], v[4:5], v[50:51]
	;; [unrolled: 2-line block ×8, first 2 shown]
	ds_load_b128 v[2:5], v42 offset:48
	ds_load_b128 v[46:49], v42 offset:2096
	;; [unrolled: 1-line block ×4, first 2 shown]
	v_fma_f64 v[118:119], v[74:75], v[78:79], -v[118:119]
	v_fmac_f64_e32 v[120:121], v[76:77], v[78:79]
	v_fma_f64 v[74:75], v[74:75], v[82:83], -v[122:123]
	v_fmac_f64_e32 v[124:125], v[76:77], v[82:83]
	;; [unrolled: 2-line block ×4, first 2 shown]
	v_add_f64_e32 v[66:67], v[36:37], v[90:91]
	v_add_f64_e32 v[70:71], v[92:93], v[38:39]
	;; [unrolled: 1-line block ×8, first 2 shown]
	s_wait_dscnt 0x1
	v_mul_f64_e32 v[100:101], v[4:5], v[52:53]
	v_mul_f64_e32 v[102:103], v[2:3], v[52:53]
	s_wait_dscnt 0x0
	v_mul_f64_e32 v[108:109], v[4:5], v[56:57]
	v_mul_f64_e32 v[112:113], v[2:3], v[56:57]
	v_mul_f64_e32 v[114:115], v[48:49], v[52:53]
	v_mul_f64_e32 v[116:117], v[46:47], v[52:53]
	v_mul_f64_e32 v[52:53], v[48:49], v[56:57]
	v_mul_f64_e32 v[130:131], v[46:47], v[56:57]
	ds_load_b128 v[18:21], v42 offset:64
	ds_load_b128 v[24:27], v41 offset:2048
	;; [unrolled: 1-line block ×4, first 2 shown]
	v_add_f64_e32 v[82:83], v[66:67], v[104:105]
	v_add_f64_e32 v[86:87], v[106:107], v[70:71]
	;; [unrolled: 1-line block ×8, first 2 shown]
	s_wait_dscnt 0x2
	v_mul_f64_e32 v[98:99], v[20:21], v[26:27]
	v_mul_f64_e32 v[104:105], v[18:19], v[26:27]
	s_wait_dscnt 0x1
	v_mul_f64_e32 v[106:107], v[20:21], v[34:35]
	v_mul_f64_e32 v[110:111], v[18:19], v[34:35]
	;; [unrolled: 3-line block ×3, first 2 shown]
	v_mul_f64_e32 v[26:27], v[38:39], v[34:35]
	v_mul_f64_e32 v[128:129], v[36:37], v[34:35]
	v_fma_f64 v[34:35], v[2:3], v[50:51], -v[100:101]
	v_fmac_f64_e32 v[102:103], v[4:5], v[50:51]
	v_fma_f64 v[100:101], v[2:3], v[54:55], -v[108:109]
	v_fmac_f64_e32 v[112:113], v[4:5], v[54:55]
	;; [unrolled: 2-line block ×4, first 2 shown]
	ds_load_b128 v[56:59], v42 offset:80
	ds_load_b128 v[60:63], v42 offset:2128
	;; [unrolled: 1-line block ×4, first 2 shown]
	v_add_f64_e32 v[54:55], v[82:83], v[118:119]
	v_add_f64_e32 v[82:83], v[120:121], v[86:87]
	;; [unrolled: 1-line block ×8, first 2 shown]
	v_fma_f64 v[98:99], v[18:19], v[24:25], -v[98:99]
	v_fmac_f64_e32 v[104:105], v[20:21], v[24:25]
	v_fma_f64 v[106:107], v[18:19], v[32:33], -v[106:107]
	s_wait_dscnt 0x1
	v_mul_f64_e32 v[90:91], v[58:59], v[66:67]
	v_mul_f64_e32 v[92:93], v[56:57], v[66:67]
	s_wait_dscnt 0x0
	v_mul_f64_e32 v[94:95], v[58:59], v[70:71]
	v_mul_f64_e32 v[96:97], v[56:57], v[70:71]
	;; [unrolled: 1-line block ×6, first 2 shown]
	v_fmac_f64_e32 v[110:111], v[20:21], v[32:33]
	v_fma_f64 v[122:123], v[36:37], v[24:25], -v[122:123]
	v_fmac_f64_e32 v[126:127], v[38:39], v[24:25]
	v_fma_f64 v[124:125], v[36:37], v[32:33], -v[26:27]
	v_fmac_f64_e32 v[128:129], v[38:39], v[32:33]
	ds_load_b128 v[2:5], v42 offset:96
	ds_load_b128 v[46:49], v41 offset:3072
	;; [unrolled: 1-line block ×4, first 2 shown]
	v_add_f64_e32 v[54:55], v[54:55], v[34:35]
	v_add_f64_e32 v[82:83], v[102:103], v[82:83]
	;; [unrolled: 1-line block ×8, first 2 shown]
	ds_load_b128 v[18:21], v42 offset:112
	ds_load_b128 v[24:27], v42 offset:2160
	;; [unrolled: 1-line block ×4, first 2 shown]
	s_wait_dscnt 0x0
	v_mul_f64_e32 v[100:101], v[4:5], v[48:49]
	v_mul_f64_e32 v[102:103], v[2:3], v[48:49]
	;; [unrolled: 1-line block ×8, first 2 shown]
	v_fma_f64 v[90:91], v[56:57], v[64:65], -v[90:91]
	v_fmac_f64_e32 v[92:93], v[58:59], v[64:65]
	v_fma_f64 v[56:57], v[56:57], v[68:69], -v[94:95]
	v_fmac_f64_e32 v[96:97], v[58:59], v[68:69]
	v_fma_f64 v[58:59], v[60:61], v[64:65], -v[118:119]
	v_fmac_f64_e32 v[66:67], v[62:63], v[64:65]
	v_fma_f64 v[60:61], v[60:61], v[68:69], -v[120:121]
	v_fmac_f64_e32 v[70:71], v[62:63], v[68:69]
	s_barrier_signal -1
	s_barrier_wait -1
	v_mul_f64_e32 v[94:95], v[18:19], v[38:39]
	v_add_f64_e32 v[54:55], v[54:55], v[98:99]
	v_add_f64_e32 v[62:63], v[104:105], v[82:83]
	;; [unrolled: 1-line block ×8, first 2 shown]
	v_mul_f64_e32 v[84:85], v[20:21], v[34:35]
	v_mul_f64_e32 v[86:87], v[18:19], v[34:35]
	;; [unrolled: 1-line block ×7, first 2 shown]
	v_fma_f64 v[38:39], v[2:3], v[46:47], -v[100:101]
	v_fmac_f64_e32 v[102:103], v[4:5], v[46:47]
	v_fma_f64 v[2:3], v[2:3], v[50:51], -v[108:109]
	v_fmac_f64_e32 v[112:113], v[4:5], v[50:51]
	;; [unrolled: 2-line block ×4, first 2 shown]
	v_fmac_f64_e32 v[94:95], v[20:21], v[36:37]
	v_add_f64_e32 v[50:51], v[54:55], v[90:91]
	v_add_f64_e32 v[54:55], v[92:93], v[62:63]
	;; [unrolled: 1-line block ×8, first 2 shown]
	v_fma_f64 v[68:69], v[18:19], v[32:33], -v[84:85]
	v_fmac_f64_e32 v[86:87], v[20:21], v[32:33]
	v_fma_f64 v[18:19], v[18:19], v[36:37], -v[88:89]
	v_fma_f64 v[20:21], v[24:25], v[32:33], -v[98:99]
	v_fmac_f64_e32 v[104:105], v[26:27], v[32:33]
	v_fma_f64 v[70:71], v[24:25], v[36:37], -v[34:35]
	v_fmac_f64_e32 v[106:107], v[26:27], v[36:37]
	v_add_f64_e32 v[24:25], v[50:51], v[38:39]
	v_add_f64_e32 v[26:27], v[102:103], v[54:55]
	;; [unrolled: 1-line block ×16, first 2 shown]
	s_cbranch_scc0 .LBB411_16
.LBB411_10:                             ;   Parent Loop BB411_7 Depth=1
                                        ; =>  This Inner Loop Header: Depth=2
	s_wait_xcnt 0x2
	v_add_nc_u32_e32 v1, s22, v43
	v_mov_b64_e32 v[2:3], 0
	v_mov_b64_e32 v[4:5], 0
	s_delay_alu instid0(VALU_DEP_3) | instskip(SKIP_2) | instid1(SALU_CYCLE_1)
	v_cmp_gt_i32_e32 vcc_lo, s23, v1
	s_wait_xcnt 0x0
	s_and_b32 s30, s0, vcc_lo
	s_and_saveexec_b32 s26, s30
	s_cbranch_execz .LBB411_12
; %bb.11:                               ;   in Loop: Header=BB411_10 Depth=2
	flat_load_b128 v[2:5], v[28:29] offset:-8
	s_wait_loadcnt_dscnt 0x0
	v_xor_b32_e32 v5, 0x80000000, v5
.LBB411_12:                             ;   in Loop: Header=BB411_10 Depth=2
	s_wait_xcnt 0x0
	s_or_b32 exec_lo, exec_lo, s26
	v_add_nc_u32_e32 v1, s22, v40
	ds_store_b128 v44, v[2:5]
	v_cmp_le_i32_e32 vcc_lo, s23, v1
	s_or_b32 s26, vcc_lo, s21
	s_delay_alu instid0(SALU_CYCLE_1) | instskip(NEXT) | instid1(SALU_CYCLE_1)
	s_and_saveexec_b32 s30, s26
	s_xor_b32 s26, exec_lo, s30
; %bb.13:                               ;   in Loop: Header=BB411_10 Depth=2
	v_dual_mov_b32 v1, v0 :: v_dual_mov_b32 v2, v0
	v_mov_b32_e32 v3, v0
	ds_store_b128 v45, v[0:3]
; %bb.14:                               ;   in Loop: Header=BB411_10 Depth=2
	s_and_not1_saveexec_b32 s26, s26
	s_cbranch_execz .LBB411_9
; %bb.15:                               ;   in Loop: Header=BB411_10 Depth=2
	flat_load_b128 v[2:5], v[30:31]
	s_wait_loadcnt_dscnt 0x0
	ds_store_2addr_b64 v45, v[2:3], v[4:5] offset1:1
	s_branch .LBB411_9
.LBB411_16:                             ;   in Loop: Header=BB411_7 Depth=1
	s_wait_loadcnt 0x0
	v_add_nc_u64_e32 v[22:23], s[2:3], v[22:23]
	s_delay_alu instid0(VALU_DEP_1)
	v_lshl_add_u64 v[28:29], v[8:9], 4, v[22:23]
	s_wait_xcnt 0x0
	s_and_saveexec_b32 s22, s16
	s_cbranch_execz .LBB411_21
; %bb.17:                               ;   in Loop: Header=BB411_7 Depth=1
	v_mul_f64_e32 v[2:3], s[14:15], v[38:39]
	v_mul_f64_e32 v[4:5], s[12:13], v[38:39]
	v_lshl_add_u64 v[30:31], v[6:7], 4, v[28:29]
	s_and_b32 vcc_lo, exec_lo, s5
	s_mov_b32 s26, -1
	s_delay_alu instid0(VALU_DEP_3) | instskip(NEXT) | instid1(VALU_DEP_3)
	v_fma_f64 v[2:3], s[12:13], v[36:37], -v[2:3]
	v_fmac_f64_e32 v[4:5], s[14:15], v[36:37]
	s_cbranch_vccz .LBB411_19
; %bb.18:                               ;   in Loop: Header=BB411_7 Depth=1
	flat_load_b128 v[36:39], v[30:31]
	s_mov_b32 s26, 0
	s_wait_loadcnt_dscnt 0x0
	v_mul_f64_e32 v[46:47], s[10:11], v[38:39]
	v_mul_f64_e32 v[38:39], s[8:9], v[38:39]
	s_delay_alu instid0(VALU_DEP_2) | instskip(NEXT) | instid1(VALU_DEP_2)
	v_fma_f64 v[46:47], s[8:9], v[36:37], -v[46:47]
	v_fmac_f64_e32 v[38:39], s[10:11], v[36:37]
	s_delay_alu instid0(VALU_DEP_2) | instskip(NEXT) | instid1(VALU_DEP_2)
	v_add_f64_e32 v[36:37], v[2:3], v[46:47]
	v_add_f64_e32 v[38:39], v[4:5], v[38:39]
	flat_store_b128 v[30:31], v[36:39]
.LBB411_19:                             ;   in Loop: Header=BB411_7 Depth=1
	s_and_not1_b32 vcc_lo, exec_lo, s26
	s_cbranch_vccnz .LBB411_21
; %bb.20:                               ;   in Loop: Header=BB411_7 Depth=1
	flat_store_b128 v[30:31], v[2:5]
.LBB411_21:                             ;   in Loop: Header=BB411_7 Depth=1
	s_wait_xcnt 0x0
	s_or_b32 exec_lo, exec_lo, s22
	s_and_saveexec_b32 s22, s17
	s_cbranch_execz .LBB411_26
; %bb.22:                               ;   in Loop: Header=BB411_7 Depth=1
	v_mul_f64_e32 v[2:3], s[14:15], v[34:35]
	v_mul_f64_e32 v[4:5], s[12:13], v[34:35]
	v_lshl_add_u64 v[28:29], v[12:13], 4, v[28:29]
	s_and_not1_b32 vcc_lo, exec_lo, s5
	s_mov_b32 s26, -1
	s_delay_alu instid0(VALU_DEP_3) | instskip(NEXT) | instid1(VALU_DEP_3)
	v_fma_f64 v[2:3], s[12:13], v[32:33], -v[2:3]
	v_fmac_f64_e32 v[4:5], s[14:15], v[32:33]
	s_cbranch_vccnz .LBB411_24
; %bb.23:                               ;   in Loop: Header=BB411_7 Depth=1
	flat_load_b128 v[30:33], v[28:29]
	s_mov_b32 s26, 0
	s_wait_loadcnt_dscnt 0x0
	v_mul_f64_e32 v[34:35], s[10:11], v[32:33]
	v_mul_f64_e32 v[32:33], s[8:9], v[32:33]
	s_delay_alu instid0(VALU_DEP_2) | instskip(NEXT) | instid1(VALU_DEP_2)
	v_fma_f64 v[34:35], s[8:9], v[30:31], -v[34:35]
	v_fmac_f64_e32 v[32:33], s[10:11], v[30:31]
	s_delay_alu instid0(VALU_DEP_2) | instskip(NEXT) | instid1(VALU_DEP_2)
	v_add_f64_e32 v[30:31], v[2:3], v[34:35]
	v_add_f64_e32 v[32:33], v[4:5], v[32:33]
	flat_store_b128 v[28:29], v[30:33]
.LBB411_24:                             ;   in Loop: Header=BB411_7 Depth=1
	s_and_not1_b32 vcc_lo, exec_lo, s26
	s_cbranch_vccnz .LBB411_26
; %bb.25:                               ;   in Loop: Header=BB411_7 Depth=1
	flat_store_b128 v[28:29], v[2:5]
.LBB411_26:                             ;   in Loop: Header=BB411_7 Depth=1
	s_wait_xcnt 0x0
	s_or_b32 exec_lo, exec_lo, s22
	v_lshl_add_u64 v[22:23], v[10:11], 4, v[22:23]
	s_and_saveexec_b32 s22, s4
	s_cbranch_execz .LBB411_31
; %bb.27:                               ;   in Loop: Header=BB411_7 Depth=1
	v_mul_f64_e32 v[2:3], s[14:15], v[26:27]
	v_mul_f64_e32 v[4:5], s[12:13], v[26:27]
	s_and_not1_b32 vcc_lo, exec_lo, s5
	s_mov_b32 s26, -1
	s_delay_alu instid0(VALU_DEP_2) | instskip(NEXT) | instid1(VALU_DEP_2)
	v_fma_f64 v[2:3], s[12:13], v[24:25], -v[2:3]
	v_fmac_f64_e32 v[4:5], s[14:15], v[24:25]
	v_lshl_add_u64 v[24:25], v[6:7], 4, v[22:23]
	s_cbranch_vccnz .LBB411_29
; %bb.28:                               ;   in Loop: Header=BB411_7 Depth=1
	flat_load_b128 v[26:29], v[24:25]
	s_mov_b32 s26, 0
	s_wait_loadcnt_dscnt 0x0
	v_mul_f64_e32 v[30:31], s[10:11], v[28:29]
	v_mul_f64_e32 v[28:29], s[8:9], v[28:29]
	s_delay_alu instid0(VALU_DEP_2) | instskip(NEXT) | instid1(VALU_DEP_2)
	v_fma_f64 v[30:31], s[8:9], v[26:27], -v[30:31]
	v_fmac_f64_e32 v[28:29], s[10:11], v[26:27]
	s_delay_alu instid0(VALU_DEP_2) | instskip(NEXT) | instid1(VALU_DEP_2)
	v_add_f64_e32 v[26:27], v[2:3], v[30:31]
	v_add_f64_e32 v[28:29], v[4:5], v[28:29]
	flat_store_b128 v[24:25], v[26:29]
.LBB411_29:                             ;   in Loop: Header=BB411_7 Depth=1
	s_and_not1_b32 vcc_lo, exec_lo, s26
	s_cbranch_vccnz .LBB411_31
; %bb.30:                               ;   in Loop: Header=BB411_7 Depth=1
	flat_store_b128 v[24:25], v[2:5]
.LBB411_31:                             ;   in Loop: Header=BB411_7 Depth=1
	s_wait_xcnt 0x0
	s_or_b32 exec_lo, exec_lo, s22
	s_and_saveexec_b32 s22, s1
	s_cbranch_execz .LBB411_6
; %bb.32:                               ;   in Loop: Header=BB411_7 Depth=1
	s_delay_alu instid0(VALU_DEP_4) | instskip(SKIP_3) | instid1(VALU_DEP_2)
	v_mul_f64_e32 v[2:3], s[14:15], v[20:21]
	v_mul_f64_e32 v[4:5], s[12:13], v[20:21]
	s_and_not1_b32 vcc_lo, exec_lo, s5
	s_mov_b32 s26, -1
	v_fma_f64 v[2:3], s[12:13], v[18:19], -v[2:3]
	s_delay_alu instid0(VALU_DEP_2)
	v_fmac_f64_e32 v[4:5], s[14:15], v[18:19]
	v_lshl_add_u64 v[18:19], v[12:13], 4, v[22:23]
	s_cbranch_vccnz .LBB411_34
; %bb.33:                               ;   in Loop: Header=BB411_7 Depth=1
	flat_load_b128 v[20:23], v[18:19]
	s_mov_b32 s26, 0
	s_wait_loadcnt_dscnt 0x0
	v_mul_f64_e32 v[24:25], s[10:11], v[22:23]
	v_mul_f64_e32 v[22:23], s[8:9], v[22:23]
	s_delay_alu instid0(VALU_DEP_2) | instskip(NEXT) | instid1(VALU_DEP_2)
	v_fma_f64 v[24:25], s[8:9], v[20:21], -v[24:25]
	v_fmac_f64_e32 v[22:23], s[10:11], v[20:21]
	s_delay_alu instid0(VALU_DEP_2) | instskip(NEXT) | instid1(VALU_DEP_2)
	v_add_f64_e32 v[20:21], v[2:3], v[24:25]
	v_add_f64_e32 v[22:23], v[4:5], v[22:23]
	flat_store_b128 v[18:19], v[20:23]
.LBB411_34:                             ;   in Loop: Header=BB411_7 Depth=1
	s_and_not1_b32 vcc_lo, exec_lo, s26
	s_cbranch_vccnz .LBB411_6
; %bb.35:                               ;   in Loop: Header=BB411_7 Depth=1
	flat_store_b128 v[18:19], v[2:5]
	s_branch .LBB411_6
.LBB411_36:
.LBB411_37:
	s_sendmsg sendmsg(MSG_DEALLOC_VGPRS)
	s_endpgm
	.section	.rodata,"a",@progbits
	.p2align	6, 0x0
	.amdhsa_kernel _ZL29rocblas_internal_gemmt_kernelIiLi16ELi32ELi8ELc67ELc78ELc76ELb1ELb0E19rocblas_complex_numIdEPKS1_PKS3_PKPS1_EviT_T9_T10_S9_lSB_S9_lSA_T11_S9_li
		.amdhsa_group_segment_fixed_size 8192
		.amdhsa_private_segment_fixed_size 0
		.amdhsa_kernarg_size 100
		.amdhsa_user_sgpr_count 2
		.amdhsa_user_sgpr_dispatch_ptr 0
		.amdhsa_user_sgpr_queue_ptr 0
		.amdhsa_user_sgpr_kernarg_segment_ptr 1
		.amdhsa_user_sgpr_dispatch_id 0
		.amdhsa_user_sgpr_kernarg_preload_length 0
		.amdhsa_user_sgpr_kernarg_preload_offset 0
		.amdhsa_user_sgpr_private_segment_size 0
		.amdhsa_wavefront_size32 1
		.amdhsa_uses_dynamic_stack 0
		.amdhsa_enable_private_segment 0
		.amdhsa_system_sgpr_workgroup_id_x 1
		.amdhsa_system_sgpr_workgroup_id_y 1
		.amdhsa_system_sgpr_workgroup_id_z 1
		.amdhsa_system_sgpr_workgroup_info 0
		.amdhsa_system_vgpr_workitem_id 1
		.amdhsa_next_free_vgpr 132
		.amdhsa_next_free_sgpr 39
		.amdhsa_named_barrier_count 0
		.amdhsa_reserve_vcc 1
		.amdhsa_float_round_mode_32 0
		.amdhsa_float_round_mode_16_64 0
		.amdhsa_float_denorm_mode_32 3
		.amdhsa_float_denorm_mode_16_64 3
		.amdhsa_fp16_overflow 0
		.amdhsa_memory_ordered 1
		.amdhsa_forward_progress 1
		.amdhsa_inst_pref_size 24
		.amdhsa_round_robin_scheduling 0
		.amdhsa_exception_fp_ieee_invalid_op 0
		.amdhsa_exception_fp_denorm_src 0
		.amdhsa_exception_fp_ieee_div_zero 0
		.amdhsa_exception_fp_ieee_overflow 0
		.amdhsa_exception_fp_ieee_underflow 0
		.amdhsa_exception_fp_ieee_inexact 0
		.amdhsa_exception_int_div_zero 0
	.end_amdhsa_kernel
	.section	.text._ZL29rocblas_internal_gemmt_kernelIiLi16ELi32ELi8ELc67ELc78ELc76ELb1ELb0E19rocblas_complex_numIdEPKS1_PKS3_PKPS1_EviT_T9_T10_S9_lSB_S9_lSA_T11_S9_li,"axG",@progbits,_ZL29rocblas_internal_gemmt_kernelIiLi16ELi32ELi8ELc67ELc78ELc76ELb1ELb0E19rocblas_complex_numIdEPKS1_PKS3_PKPS1_EviT_T9_T10_S9_lSB_S9_lSA_T11_S9_li,comdat
.Lfunc_end411:
	.size	_ZL29rocblas_internal_gemmt_kernelIiLi16ELi32ELi8ELc67ELc78ELc76ELb1ELb0E19rocblas_complex_numIdEPKS1_PKS3_PKPS1_EviT_T9_T10_S9_lSB_S9_lSA_T11_S9_li, .Lfunc_end411-_ZL29rocblas_internal_gemmt_kernelIiLi16ELi32ELi8ELc67ELc78ELc76ELb1ELb0E19rocblas_complex_numIdEPKS1_PKS3_PKPS1_EviT_T9_T10_S9_lSB_S9_lSA_T11_S9_li
                                        ; -- End function
	.set _ZL29rocblas_internal_gemmt_kernelIiLi16ELi32ELi8ELc67ELc78ELc76ELb1ELb0E19rocblas_complex_numIdEPKS1_PKS3_PKPS1_EviT_T9_T10_S9_lSB_S9_lSA_T11_S9_li.num_vgpr, 132
	.set _ZL29rocblas_internal_gemmt_kernelIiLi16ELi32ELi8ELc67ELc78ELc76ELb1ELb0E19rocblas_complex_numIdEPKS1_PKS3_PKPS1_EviT_T9_T10_S9_lSB_S9_lSA_T11_S9_li.num_agpr, 0
	.set _ZL29rocblas_internal_gemmt_kernelIiLi16ELi32ELi8ELc67ELc78ELc76ELb1ELb0E19rocblas_complex_numIdEPKS1_PKS3_PKPS1_EviT_T9_T10_S9_lSB_S9_lSA_T11_S9_li.numbered_sgpr, 39
	.set _ZL29rocblas_internal_gemmt_kernelIiLi16ELi32ELi8ELc67ELc78ELc76ELb1ELb0E19rocblas_complex_numIdEPKS1_PKS3_PKPS1_EviT_T9_T10_S9_lSB_S9_lSA_T11_S9_li.num_named_barrier, 0
	.set _ZL29rocblas_internal_gemmt_kernelIiLi16ELi32ELi8ELc67ELc78ELc76ELb1ELb0E19rocblas_complex_numIdEPKS1_PKS3_PKPS1_EviT_T9_T10_S9_lSB_S9_lSA_T11_S9_li.private_seg_size, 0
	.set _ZL29rocblas_internal_gemmt_kernelIiLi16ELi32ELi8ELc67ELc78ELc76ELb1ELb0E19rocblas_complex_numIdEPKS1_PKS3_PKPS1_EviT_T9_T10_S9_lSB_S9_lSA_T11_S9_li.uses_vcc, 1
	.set _ZL29rocblas_internal_gemmt_kernelIiLi16ELi32ELi8ELc67ELc78ELc76ELb1ELb0E19rocblas_complex_numIdEPKS1_PKS3_PKPS1_EviT_T9_T10_S9_lSB_S9_lSA_T11_S9_li.uses_flat_scratch, 0
	.set _ZL29rocblas_internal_gemmt_kernelIiLi16ELi32ELi8ELc67ELc78ELc76ELb1ELb0E19rocblas_complex_numIdEPKS1_PKS3_PKPS1_EviT_T9_T10_S9_lSB_S9_lSA_T11_S9_li.has_dyn_sized_stack, 0
	.set _ZL29rocblas_internal_gemmt_kernelIiLi16ELi32ELi8ELc67ELc78ELc76ELb1ELb0E19rocblas_complex_numIdEPKS1_PKS3_PKPS1_EviT_T9_T10_S9_lSB_S9_lSA_T11_S9_li.has_recursion, 0
	.set _ZL29rocblas_internal_gemmt_kernelIiLi16ELi32ELi8ELc67ELc78ELc76ELb1ELb0E19rocblas_complex_numIdEPKS1_PKS3_PKPS1_EviT_T9_T10_S9_lSB_S9_lSA_T11_S9_li.has_indirect_call, 0
	.section	.AMDGPU.csdata,"",@progbits
; Kernel info:
; codeLenInByte = 2992
; TotalNumSgprs: 41
; NumVgprs: 132
; ScratchSize: 0
; MemoryBound: 1
; FloatMode: 240
; IeeeMode: 1
; LDSByteSize: 8192 bytes/workgroup (compile time only)
; SGPRBlocks: 0
; VGPRBlocks: 8
; NumSGPRsForWavesPerEU: 41
; NumVGPRsForWavesPerEU: 132
; NamedBarCnt: 0
; Occupancy: 7
; WaveLimiterHint : 1
; COMPUTE_PGM_RSRC2:SCRATCH_EN: 0
; COMPUTE_PGM_RSRC2:USER_SGPR: 2
; COMPUTE_PGM_RSRC2:TRAP_HANDLER: 0
; COMPUTE_PGM_RSRC2:TGID_X_EN: 1
; COMPUTE_PGM_RSRC2:TGID_Y_EN: 1
; COMPUTE_PGM_RSRC2:TGID_Z_EN: 1
; COMPUTE_PGM_RSRC2:TIDIG_COMP_CNT: 1
	.section	.text._ZL29rocblas_internal_gemmt_kernelIiLi16ELi32ELi8ELc67ELc84ELc76ELb1ELb0E19rocblas_complex_numIdEPKS1_PKS3_PKPS1_EviT_T9_T10_S9_lSB_S9_lSA_T11_S9_li,"axG",@progbits,_ZL29rocblas_internal_gemmt_kernelIiLi16ELi32ELi8ELc67ELc84ELc76ELb1ELb0E19rocblas_complex_numIdEPKS1_PKS3_PKPS1_EviT_T9_T10_S9_lSB_S9_lSA_T11_S9_li,comdat
	.globl	_ZL29rocblas_internal_gemmt_kernelIiLi16ELi32ELi8ELc67ELc84ELc76ELb1ELb0E19rocblas_complex_numIdEPKS1_PKS3_PKPS1_EviT_T9_T10_S9_lSB_S9_lSA_T11_S9_li ; -- Begin function _ZL29rocblas_internal_gemmt_kernelIiLi16ELi32ELi8ELc67ELc84ELc76ELb1ELb0E19rocblas_complex_numIdEPKS1_PKS3_PKPS1_EviT_T9_T10_S9_lSB_S9_lSA_T11_S9_li
	.p2align	8
	.type	_ZL29rocblas_internal_gemmt_kernelIiLi16ELi32ELi8ELc67ELc84ELc76ELb1ELb0E19rocblas_complex_numIdEPKS1_PKS3_PKPS1_EviT_T9_T10_S9_lSB_S9_lSA_T11_S9_li,@function
_ZL29rocblas_internal_gemmt_kernelIiLi16ELi32ELi8ELc67ELc84ELc76ELb1ELb0E19rocblas_complex_numIdEPKS1_PKS3_PKPS1_EviT_T9_T10_S9_lSB_S9_lSA_T11_S9_li: ; @_ZL29rocblas_internal_gemmt_kernelIiLi16ELi32ELi8ELc67ELc84ELc76ELb1ELb0E19rocblas_complex_numIdEPKS1_PKS3_PKPS1_EviT_T9_T10_S9_lSB_S9_lSA_T11_S9_li
; %bb.0:
	s_load_b128 s[20:23], s[0:1], 0x38
	s_wait_kmcnt 0x0
	s_load_b128 s[8:11], s[22:23], 0x0
	s_load_b128 s[4:7], s[0:1], 0x8
	s_wait_xcnt 0x0
	s_load_b64 s[22:23], s[0:1], 0x0
	s_wait_kmcnt 0x0
	v_cmp_eq_f64_e64 s2, s[8:9], 1.0
	v_cmp_eq_f64_e64 s33, s[10:11], 0
	s_load_b128 s[12:15], s[4:5], 0x0
	s_and_b32 s2, s2, s33
	s_delay_alu instid0(SALU_CYCLE_1)
	s_and_not1_b32 vcc_lo, exec_lo, s2
	s_mov_b32 s2, -1
	s_cbranch_vccnz .LBB412_3
; %bb.1:
	s_cmp_lg_u32 s23, 0
	s_cbranch_scc0 .LBB412_36
; %bb.2:
	s_wait_kmcnt 0x0
	v_cmp_neq_f64_e64 s2, s[12:13], 0
	v_cmp_neq_f64_e64 s3, s[14:15], 0
	s_or_b32 s2, s2, s3
.LBB412_3:
	s_delay_alu instid0(SALU_CYCLE_1)
	s_and_b32 vcc_lo, exec_lo, s2
	s_cbranch_vccz .LBB412_37
; %bb.4:
	s_load_b32 s27, s[0:1], 0x60
	s_bfe_u32 s2, ttmp6, 0x40014
	s_lshr_b32 s3, ttmp7, 16
	s_add_co_i32 s2, s2, 1
	s_wait_xcnt 0x0
	s_bfe_u32 s5, ttmp6, 0x40008
	s_mul_i32 s2, s3, s2
	s_getreg_b32 s4, hwreg(HW_REG_IB_STS2, 6, 4)
	s_add_co_i32 s5, s5, s2
	s_cmp_eq_u32 s4, 0
	s_mov_b32 s29, 0
	s_cselect_b32 s28, s3, s5
	s_wait_kmcnt 0x0
	s_cmp_ge_u32 s28, s27
	s_cbranch_scc1 .LBB412_37
; %bb.5:
	s_clause 0x3
	s_load_b32 s2, s[0:1], 0x18
	s_load_b32 s30, s[0:1], 0x30
	s_load_b96 s[24:26], s[0:1], 0x48
	s_load_b128 s[16:19], s[0:1], 0x20
	v_and_b32_e32 v1, 0x3ff, v0
	v_bfe_u32 v9, v0, 10, 10
	s_load_b64 s[34:35], s[0:1], 0x58
	s_wait_xcnt 0x0
	s_bfe_u32 s1, ttmp6, 0x4000c
	s_bfe_u32 s3, ttmp6, 0x40010
	s_and_b32 s38, ttmp7, 0xffff
	s_add_co_i32 s1, s1, 1
	s_add_co_i32 s3, s3, 1
	v_lshl_add_u32 v4, v9, 4, v1
	s_and_b32 s0, ttmp6, 15
	s_mul_i32 s1, ttmp9, s1
	s_mul_i32 s39, s38, s3
	s_bfe_u32 s40, ttmp6, 0x40004
	s_add_co_i32 s0, s0, s1
	s_add_co_i32 s40, s40, s39
	v_and_b32_e32 v8, 31, v4
	s_wait_kmcnt 0x0
	s_ashr_i32 s3, s2, 31
	s_ashr_i32 s31, s30, 31
	;; [unrolled: 1-line block ×3, first 2 shown]
	s_cmp_eq_u32 s4, 0
	v_cmp_neq_f64_e64 s36, s[12:13], 0
	s_cselect_b32 s0, ttmp9, s0
	s_cselect_b32 s1, s38, s40
	s_lshl_b32 s38, s0, 5
	v_cmp_neq_f64_e64 s37, s[14:15], 0
	v_or_b32_e32 v2, s38, v8
	v_dual_lshrrev_b32 v42, 5, v4 :: v_dual_lshrrev_b32 v10, 3, v4
	s_lshl_b32 s0, s1, 5
	v_dual_mov_b32 v0, 0 :: v_dual_bitop2_b32 v6, 7, v0 bitop3:0x40
	s_delay_alu instid0(VALU_DEP_3) | instskip(NEXT) | instid1(VALU_DEP_3)
	v_ashrrev_i32_e32 v3, 31, v2
	v_dual_add_nc_u32 v18, s0, v10 :: v_dual_add_nc_u32 v16, s0, v9
	s_delay_alu instid0(VALU_DEP_3) | instskip(SKIP_1) | instid1(VALU_DEP_4)
	v_dual_lshlrev_b32 v11, 4, v6 :: v_dual_mov_b32 v7, v0
	v_lshlrev_b32_e32 v8, 4, v8
	v_mul_u64_e32 v[4:5], s[2:3], v[2:3]
	v_cmp_gt_i32_e64 s0, s22, v2
	v_dual_add_nc_u32 v20, 16, v16 :: v_dual_ashrrev_i32 v17, 31, v16
	v_mul_u64_e32 v[2:3], s[30:31], v[6:7]
	v_cmp_neq_f64_e64 s39, s[8:9], 0
	v_lshl_or_b32 v7, v42, 9, v8
	v_lshl_or_b32 v10, v10, 7, v11
	v_dual_add_nc_u32 v8, s38, v1 :: v_dual_ashrrev_i32 v21, 31, v20
	s_mov_b32 s4, s26
	v_dual_mov_b32 v23, v0 :: v_dual_lshlrev_b32 v22, 4, v42
	s_delay_alu instid0(VALU_DEP_3)
	v_add_nc_u32_e32 v43, 0x1000, v10
	v_mul_u64_e32 v[10:11], s[4:5], v[16:17]
	v_mul_u64_e32 v[12:13], s[4:5], v[20:21]
	v_cmp_le_i32_e64 s1, v16, v8
	v_cmp_gt_i32_e64 s2, s22, v8
	v_add_nc_u32_e32 v14, 16, v8
	s_or_b32 s36, s36, s37
	s_cmp_gt_i32 s23, 0
	v_lshl_add_u32 v45, v9, 7, 0x1000
	s_cselect_b32 s37, -1, 0
	s_lshl_b64 s[4:5], s[16:17], 4
	s_xor_b32 s3, s33, -1
	s_and_b32 s33, s1, s2
	v_ashrrev_i32_e32 v9, 31, v8
	v_cmp_le_i32_e64 s1, v16, v14
	s_lshl_b64 s[16:17], s[20:21], 4
	v_dual_ashrrev_i32 v19, 31, v18 :: v_dual_lshlrev_b32 v44, 4, v1
	v_cmp_gt_i32_e32 vcc_lo, s22, v18
	v_lshl_add_u64 v[4:5], v[4:5], 4, s[4:5]
	v_cmp_le_i32_e64 s4, v20, v8
	v_cmp_le_i32_e64 s5, v20, v14
	s_and_b32 s20, s36, s37
	v_lshl_add_u64 v[2:3], v[2:3], 4, s[16:17]
	v_add_nc_u64_e32 v[16:17], v[4:5], v[22:23]
	s_or_b32 s26, s39, s3
	v_cmp_gt_i32_e64 s3, s22, v14
	v_ashrrev_i32_e32 v15, 31, v14
	v_lshl_add_u64 v[18:19], v[18:19], 4, v[2:3]
	s_and_b32 s16, s4, s2
	s_xor_b32 s21, vcc_lo, -1
	v_or_b32_e32 v16, 8, v16
	s_and_b32 s1, s1, s3
	s_and_b32 s17, s5, s3
	s_lshl_b64 s[2:3], s[30:31], 7
	s_lshl_b64 s[4:5], s[34:35], 4
	s_branch .LBB412_7
.LBB412_6:                              ;   in Loop: Header=BB412_7 Depth=1
	s_wait_xcnt 0x0
	s_or_b32 exec_lo, exec_lo, s22
	s_add_co_i32 s28, s28, 0x10000
	s_delay_alu instid0(SALU_CYCLE_1)
	s_cmp_lt_u32 s28, s27
	s_cbranch_scc0 .LBB412_37
.LBB412_7:                              ; =>This Loop Header: Depth=1
                                        ;     Child Loop BB412_10 Depth 2
	v_mov_b32_e32 v1, s28
	v_mov_b64_e32 v[38:39], 0
	v_mov_b64_e32 v[40:41], 0
	;; [unrolled: 1-line block ×4, first 2 shown]
	global_load_b64 v[24:25], v1, s[24:25] scale_offset
	v_mov_b64_e32 v[26:27], 0
	v_mov_b64_e32 v[28:29], 0
	;; [unrolled: 1-line block ×4, first 2 shown]
	s_and_not1_b32 vcc_lo, exec_lo, s20
	s_cbranch_vccnz .LBB412_16
; %bb.8:                                ;   in Loop: Header=BB412_7 Depth=1
	s_lshl_b64 s[30:31], s[28:29], 3
	v_mov_b64_e32 v[22:23], 0
	s_add_nc_u64 s[34:35], s[6:7], s[30:31]
	s_add_nc_u64 s[30:31], s[18:19], s[30:31]
	s_clause 0x1
	global_load_b64 v[2:3], v0, s[34:35]
	global_load_b64 v[4:5], v0, s[30:31]
	v_mov_b64_e32 v[20:21], 0
	v_mov_b64_e32 v[28:29], 0
	;; [unrolled: 1-line block ×7, first 2 shown]
	s_mov_b32 s22, 0
	s_wait_loadcnt 0x1
	v_add_nc_u64_e32 v[30:31], v[2:3], v[16:17]
	s_wait_loadcnt 0x0
	v_add_nc_u64_e32 v[32:33], v[4:5], v[18:19]
	s_branch .LBB412_10
.LBB412_9:                              ;   in Loop: Header=BB412_10 Depth=2
	s_wait_xcnt 0x0
	s_or_b32 exec_lo, exec_lo, s30
	s_wait_dscnt 0x0
	s_barrier_signal -1
	s_barrier_wait -1
	ds_load_b128 v[2:5], v45
	ds_load_b128 v[46:49], v44
	ds_load_b128 v[50:53], v44 offset:256
	ds_load_b128 v[54:57], v45 offset:2048
	;; [unrolled: 1-line block ×10, first 2 shown]
	v_add_nc_u64_e32 v[30:31], 0x80, v[30:31]
	v_add_nc_u64_e32 v[32:33], s[2:3], v[32:33]
	s_add_co_i32 s22, s22, 8
	s_delay_alu instid0(SALU_CYCLE_1)
	s_cmp_lt_i32 s22, s23
	s_wait_dscnt 0xa
	v_mul_f64_e32 v[90:91], v[4:5], v[48:49]
	v_mul_f64_e32 v[92:93], v[2:3], v[48:49]
	s_wait_dscnt 0x9
	v_mul_f64_e32 v[94:95], v[4:5], v[52:53]
	v_mul_f64_e32 v[96:97], v[2:3], v[52:53]
	s_wait_dscnt 0x8
	v_mul_f64_e32 v[98:99], v[56:57], v[48:49]
	v_mul_f64_e32 v[100:101], v[54:55], v[48:49]
	v_mul_f64_e32 v[48:49], v[56:57], v[52:53]
	v_mul_f64_e32 v[102:103], v[54:55], v[52:53]
	s_wait_dscnt 0x6
	v_mul_f64_e32 v[104:105], v[60:61], v[64:65]
	v_mul_f64_e32 v[106:107], v[58:59], v[64:65]
	s_wait_dscnt 0x5
	v_mul_f64_e32 v[108:109], v[60:61], v[68:69]
	v_mul_f64_e32 v[110:111], v[58:59], v[68:69]
	s_wait_dscnt 0x4
	v_mul_f64_e32 v[112:113], v[72:73], v[64:65]
	v_mul_f64_e32 v[64:65], v[70:71], v[64:65]
	v_mul_f64_e32 v[114:115], v[72:73], v[68:69]
	v_mul_f64_e32 v[68:69], v[70:71], v[68:69]
	s_wait_dscnt 0x2
	v_mul_f64_e32 v[118:119], v[76:77], v[80:81]
	v_mul_f64_e32 v[120:121], v[74:75], v[80:81]
	s_wait_dscnt 0x1
	v_mul_f64_e32 v[122:123], v[76:77], v[84:85]
	v_mul_f64_e32 v[124:125], v[74:75], v[84:85]
	s_wait_dscnt 0x0
	v_mul_f64_e32 v[126:127], v[88:89], v[80:81]
	v_mul_f64_e32 v[80:81], v[86:87], v[80:81]
	v_mul_f64_e32 v[128:129], v[88:89], v[84:85]
	v_mul_f64_e32 v[84:85], v[86:87], v[84:85]
	v_fma_f64 v[90:91], v[2:3], v[46:47], -v[90:91]
	v_fmac_f64_e32 v[92:93], v[4:5], v[46:47]
	v_fma_f64 v[94:95], v[2:3], v[50:51], -v[94:95]
	v_fmac_f64_e32 v[96:97], v[4:5], v[50:51]
	;; [unrolled: 2-line block ×8, first 2 shown]
	ds_load_b128 v[2:5], v45 offset:48
	ds_load_b128 v[46:49], v45 offset:2096
	;; [unrolled: 1-line block ×4, first 2 shown]
	v_fma_f64 v[118:119], v[74:75], v[78:79], -v[118:119]
	v_fmac_f64_e32 v[120:121], v[76:77], v[78:79]
	v_fma_f64 v[74:75], v[74:75], v[82:83], -v[122:123]
	v_fmac_f64_e32 v[124:125], v[76:77], v[82:83]
	;; [unrolled: 2-line block ×4, first 2 shown]
	v_add_f64_e32 v[66:67], v[38:39], v[90:91]
	v_add_f64_e32 v[70:71], v[92:93], v[40:41]
	;; [unrolled: 1-line block ×8, first 2 shown]
	s_wait_dscnt 0x1
	v_mul_f64_e32 v[100:101], v[4:5], v[52:53]
	v_mul_f64_e32 v[102:103], v[2:3], v[52:53]
	s_wait_dscnt 0x0
	v_mul_f64_e32 v[108:109], v[4:5], v[56:57]
	v_mul_f64_e32 v[112:113], v[2:3], v[56:57]
	;; [unrolled: 1-line block ×6, first 2 shown]
	ds_load_b128 v[20:23], v45 offset:64
	ds_load_b128 v[26:29], v44 offset:2048
	ds_load_b128 v[34:37], v44 offset:2304
	ds_load_b128 v[38:41], v45 offset:2112
	v_add_f64_e32 v[82:83], v[66:67], v[104:105]
	v_add_f64_e32 v[86:87], v[106:107], v[70:71]
	;; [unrolled: 1-line block ×8, first 2 shown]
	s_wait_dscnt 0x2
	v_mul_f64_e32 v[98:99], v[22:23], v[28:29]
	v_mul_f64_e32 v[104:105], v[20:21], v[28:29]
	s_wait_dscnt 0x1
	v_mul_f64_e32 v[106:107], v[22:23], v[36:37]
	v_mul_f64_e32 v[110:111], v[20:21], v[36:37]
	;; [unrolled: 3-line block ×3, first 2 shown]
	v_mul_f64_e32 v[28:29], v[40:41], v[36:37]
	v_mul_f64_e32 v[128:129], v[38:39], v[36:37]
	v_fma_f64 v[36:37], v[2:3], v[50:51], -v[100:101]
	v_fmac_f64_e32 v[102:103], v[4:5], v[50:51]
	v_fma_f64 v[100:101], v[2:3], v[54:55], -v[108:109]
	v_fmac_f64_e32 v[112:113], v[4:5], v[54:55]
	;; [unrolled: 2-line block ×4, first 2 shown]
	ds_load_b128 v[56:59], v45 offset:80
	ds_load_b128 v[60:63], v45 offset:2128
	;; [unrolled: 1-line block ×4, first 2 shown]
	v_add_f64_e32 v[54:55], v[82:83], v[118:119]
	v_add_f64_e32 v[82:83], v[120:121], v[86:87]
	;; [unrolled: 1-line block ×8, first 2 shown]
	v_fma_f64 v[98:99], v[20:21], v[26:27], -v[98:99]
	v_fmac_f64_e32 v[104:105], v[22:23], v[26:27]
	v_fma_f64 v[106:107], v[20:21], v[34:35], -v[106:107]
	s_wait_dscnt 0x1
	v_mul_f64_e32 v[90:91], v[58:59], v[66:67]
	v_mul_f64_e32 v[92:93], v[56:57], v[66:67]
	s_wait_dscnt 0x0
	v_mul_f64_e32 v[94:95], v[58:59], v[70:71]
	v_mul_f64_e32 v[96:97], v[56:57], v[70:71]
	;; [unrolled: 1-line block ×6, first 2 shown]
	v_fmac_f64_e32 v[110:111], v[22:23], v[34:35]
	v_fma_f64 v[122:123], v[38:39], v[26:27], -v[122:123]
	v_fmac_f64_e32 v[126:127], v[40:41], v[26:27]
	v_fma_f64 v[124:125], v[38:39], v[34:35], -v[28:29]
	v_fmac_f64_e32 v[128:129], v[40:41], v[34:35]
	ds_load_b128 v[2:5], v45 offset:96
	ds_load_b128 v[46:49], v44 offset:3072
	;; [unrolled: 1-line block ×4, first 2 shown]
	v_add_f64_e32 v[54:55], v[54:55], v[36:37]
	v_add_f64_e32 v[82:83], v[102:103], v[82:83]
	;; [unrolled: 1-line block ×8, first 2 shown]
	ds_load_b128 v[20:23], v45 offset:112
	ds_load_b128 v[26:29], v45 offset:2160
	;; [unrolled: 1-line block ×4, first 2 shown]
	s_wait_dscnt 0x0
	v_mul_f64_e32 v[100:101], v[4:5], v[48:49]
	v_mul_f64_e32 v[102:103], v[2:3], v[48:49]
	;; [unrolled: 1-line block ×8, first 2 shown]
	v_fma_f64 v[90:91], v[56:57], v[64:65], -v[90:91]
	v_fmac_f64_e32 v[92:93], v[58:59], v[64:65]
	v_fma_f64 v[56:57], v[56:57], v[68:69], -v[94:95]
	v_fmac_f64_e32 v[96:97], v[58:59], v[68:69]
	;; [unrolled: 2-line block ×4, first 2 shown]
	s_barrier_signal -1
	s_barrier_wait -1
	v_mul_f64_e32 v[94:95], v[20:21], v[40:41]
	v_add_f64_e32 v[54:55], v[54:55], v[98:99]
	v_add_f64_e32 v[62:63], v[104:105], v[82:83]
	;; [unrolled: 1-line block ×8, first 2 shown]
	v_mul_f64_e32 v[84:85], v[22:23], v[36:37]
	v_mul_f64_e32 v[86:87], v[20:21], v[36:37]
	;; [unrolled: 1-line block ×7, first 2 shown]
	v_fma_f64 v[40:41], v[2:3], v[46:47], -v[100:101]
	v_fmac_f64_e32 v[102:103], v[4:5], v[46:47]
	v_fma_f64 v[2:3], v[2:3], v[50:51], -v[108:109]
	v_fmac_f64_e32 v[112:113], v[4:5], v[50:51]
	;; [unrolled: 2-line block ×4, first 2 shown]
	v_fmac_f64_e32 v[94:95], v[22:23], v[38:39]
	v_add_f64_e32 v[50:51], v[54:55], v[90:91]
	v_add_f64_e32 v[54:55], v[92:93], v[62:63]
	;; [unrolled: 1-line block ×8, first 2 shown]
	v_fma_f64 v[68:69], v[20:21], v[34:35], -v[84:85]
	v_fmac_f64_e32 v[86:87], v[22:23], v[34:35]
	v_fma_f64 v[20:21], v[20:21], v[38:39], -v[88:89]
	v_fma_f64 v[22:23], v[26:27], v[34:35], -v[98:99]
	v_fmac_f64_e32 v[104:105], v[28:29], v[34:35]
	v_fma_f64 v[70:71], v[26:27], v[38:39], -v[36:37]
	v_fmac_f64_e32 v[106:107], v[28:29], v[38:39]
	v_add_f64_e32 v[26:27], v[50:51], v[40:41]
	v_add_f64_e32 v[28:29], v[102:103], v[54:55]
	;; [unrolled: 1-line block ×16, first 2 shown]
	s_cbranch_scc0 .LBB412_16
.LBB412_10:                             ;   Parent Loop BB412_7 Depth=1
                                        ; =>  This Inner Loop Header: Depth=2
	s_wait_xcnt 0x2
	v_add_nc_u32_e32 v1, s22, v42
	v_mov_b64_e32 v[2:3], 0
	v_mov_b64_e32 v[4:5], 0
	s_delay_alu instid0(VALU_DEP_3) | instskip(SKIP_2) | instid1(SALU_CYCLE_1)
	v_cmp_gt_i32_e32 vcc_lo, s23, v1
	s_wait_xcnt 0x0
	s_and_b32 s31, s0, vcc_lo
	s_and_saveexec_b32 s30, s31
	s_cbranch_execz .LBB412_12
; %bb.11:                               ;   in Loop: Header=BB412_10 Depth=2
	flat_load_b128 v[2:5], v[30:31] offset:-8
	s_wait_loadcnt_dscnt 0x0
	v_xor_b32_e32 v5, 0x80000000, v5
.LBB412_12:                             ;   in Loop: Header=BB412_10 Depth=2
	s_wait_xcnt 0x0
	s_or_b32 exec_lo, exec_lo, s30
	v_add_nc_u32_e32 v1, s22, v6
	ds_store_b128 v7, v[2:5]
	v_cmp_le_i32_e32 vcc_lo, s23, v1
	s_or_b32 s30, vcc_lo, s21
	s_delay_alu instid0(SALU_CYCLE_1) | instskip(NEXT) | instid1(SALU_CYCLE_1)
	s_and_saveexec_b32 s31, s30
	s_xor_b32 s30, exec_lo, s31
; %bb.13:                               ;   in Loop: Header=BB412_10 Depth=2
	v_dual_mov_b32 v1, v0 :: v_dual_mov_b32 v2, v0
	v_mov_b32_e32 v3, v0
	ds_store_b128 v43, v[0:3]
; %bb.14:                               ;   in Loop: Header=BB412_10 Depth=2
	s_and_not1_saveexec_b32 s30, s30
	s_cbranch_execz .LBB412_9
; %bb.15:                               ;   in Loop: Header=BB412_10 Depth=2
	flat_load_b128 v[2:5], v[32:33]
	s_wait_loadcnt_dscnt 0x0
	ds_store_2addr_b64 v43, v[2:3], v[4:5] offset1:1
	s_branch .LBB412_9
.LBB412_16:                             ;   in Loop: Header=BB412_7 Depth=1
	s_wait_loadcnt 0x0
	v_add_nc_u64_e32 v[24:25], s[4:5], v[24:25]
	s_delay_alu instid0(VALU_DEP_1)
	v_lshl_add_u64 v[30:31], v[10:11], 4, v[24:25]
	s_wait_xcnt 0x0
	s_and_saveexec_b32 s22, s33
	s_cbranch_execz .LBB412_21
; %bb.17:                               ;   in Loop: Header=BB412_7 Depth=1
	v_mul_f64_e32 v[2:3], s[14:15], v[40:41]
	v_mul_f64_e32 v[4:5], s[12:13], v[40:41]
	v_lshl_add_u64 v[32:33], v[8:9], 4, v[30:31]
	s_and_b32 vcc_lo, exec_lo, s26
	s_mov_b32 s30, -1
	s_delay_alu instid0(VALU_DEP_3) | instskip(NEXT) | instid1(VALU_DEP_3)
	v_fma_f64 v[2:3], s[12:13], v[38:39], -v[2:3]
	v_fmac_f64_e32 v[4:5], s[14:15], v[38:39]
	s_cbranch_vccz .LBB412_19
; %bb.18:                               ;   in Loop: Header=BB412_7 Depth=1
	flat_load_b128 v[38:41], v[32:33]
	s_mov_b32 s30, 0
	s_wait_loadcnt_dscnt 0x0
	v_mul_f64_e32 v[46:47], s[10:11], v[40:41]
	v_mul_f64_e32 v[40:41], s[8:9], v[40:41]
	s_delay_alu instid0(VALU_DEP_2) | instskip(NEXT) | instid1(VALU_DEP_2)
	v_fma_f64 v[46:47], s[8:9], v[38:39], -v[46:47]
	v_fmac_f64_e32 v[40:41], s[10:11], v[38:39]
	s_delay_alu instid0(VALU_DEP_2) | instskip(NEXT) | instid1(VALU_DEP_2)
	v_add_f64_e32 v[38:39], v[2:3], v[46:47]
	v_add_f64_e32 v[40:41], v[4:5], v[40:41]
	flat_store_b128 v[32:33], v[38:41]
.LBB412_19:                             ;   in Loop: Header=BB412_7 Depth=1
	s_and_not1_b32 vcc_lo, exec_lo, s30
	s_cbranch_vccnz .LBB412_21
; %bb.20:                               ;   in Loop: Header=BB412_7 Depth=1
	flat_store_b128 v[32:33], v[2:5]
.LBB412_21:                             ;   in Loop: Header=BB412_7 Depth=1
	s_wait_xcnt 0x0
	s_or_b32 exec_lo, exec_lo, s22
	s_and_saveexec_b32 s22, s1
	s_cbranch_execz .LBB412_26
; %bb.22:                               ;   in Loop: Header=BB412_7 Depth=1
	v_mul_f64_e32 v[2:3], s[14:15], v[36:37]
	v_mul_f64_e32 v[4:5], s[12:13], v[36:37]
	v_lshl_add_u64 v[30:31], v[14:15], 4, v[30:31]
	s_and_not1_b32 vcc_lo, exec_lo, s26
	s_mov_b32 s30, -1
	s_delay_alu instid0(VALU_DEP_3) | instskip(NEXT) | instid1(VALU_DEP_3)
	v_fma_f64 v[2:3], s[12:13], v[34:35], -v[2:3]
	v_fmac_f64_e32 v[4:5], s[14:15], v[34:35]
	s_cbranch_vccnz .LBB412_24
; %bb.23:                               ;   in Loop: Header=BB412_7 Depth=1
	flat_load_b128 v[32:35], v[30:31]
	s_mov_b32 s30, 0
	s_wait_loadcnt_dscnt 0x0
	v_mul_f64_e32 v[36:37], s[10:11], v[34:35]
	v_mul_f64_e32 v[34:35], s[8:9], v[34:35]
	s_delay_alu instid0(VALU_DEP_2) | instskip(NEXT) | instid1(VALU_DEP_2)
	v_fma_f64 v[36:37], s[8:9], v[32:33], -v[36:37]
	v_fmac_f64_e32 v[34:35], s[10:11], v[32:33]
	s_delay_alu instid0(VALU_DEP_2) | instskip(NEXT) | instid1(VALU_DEP_2)
	v_add_f64_e32 v[32:33], v[2:3], v[36:37]
	v_add_f64_e32 v[34:35], v[4:5], v[34:35]
	flat_store_b128 v[30:31], v[32:35]
.LBB412_24:                             ;   in Loop: Header=BB412_7 Depth=1
	s_and_not1_b32 vcc_lo, exec_lo, s30
	s_cbranch_vccnz .LBB412_26
; %bb.25:                               ;   in Loop: Header=BB412_7 Depth=1
	flat_store_b128 v[30:31], v[2:5]
.LBB412_26:                             ;   in Loop: Header=BB412_7 Depth=1
	s_wait_xcnt 0x0
	s_or_b32 exec_lo, exec_lo, s22
	v_lshl_add_u64 v[24:25], v[12:13], 4, v[24:25]
	s_and_saveexec_b32 s22, s16
	s_cbranch_execz .LBB412_31
; %bb.27:                               ;   in Loop: Header=BB412_7 Depth=1
	v_mul_f64_e32 v[2:3], s[14:15], v[28:29]
	v_mul_f64_e32 v[4:5], s[12:13], v[28:29]
	s_and_not1_b32 vcc_lo, exec_lo, s26
	s_mov_b32 s30, -1
	s_delay_alu instid0(VALU_DEP_2) | instskip(NEXT) | instid1(VALU_DEP_2)
	v_fma_f64 v[2:3], s[12:13], v[26:27], -v[2:3]
	v_fmac_f64_e32 v[4:5], s[14:15], v[26:27]
	v_lshl_add_u64 v[26:27], v[8:9], 4, v[24:25]
	s_cbranch_vccnz .LBB412_29
; %bb.28:                               ;   in Loop: Header=BB412_7 Depth=1
	flat_load_b128 v[28:31], v[26:27]
	s_mov_b32 s30, 0
	s_wait_loadcnt_dscnt 0x0
	v_mul_f64_e32 v[32:33], s[10:11], v[30:31]
	v_mul_f64_e32 v[30:31], s[8:9], v[30:31]
	s_delay_alu instid0(VALU_DEP_2) | instskip(NEXT) | instid1(VALU_DEP_2)
	v_fma_f64 v[32:33], s[8:9], v[28:29], -v[32:33]
	v_fmac_f64_e32 v[30:31], s[10:11], v[28:29]
	s_delay_alu instid0(VALU_DEP_2) | instskip(NEXT) | instid1(VALU_DEP_2)
	v_add_f64_e32 v[28:29], v[2:3], v[32:33]
	v_add_f64_e32 v[30:31], v[4:5], v[30:31]
	flat_store_b128 v[26:27], v[28:31]
.LBB412_29:                             ;   in Loop: Header=BB412_7 Depth=1
	s_and_not1_b32 vcc_lo, exec_lo, s30
	s_cbranch_vccnz .LBB412_31
; %bb.30:                               ;   in Loop: Header=BB412_7 Depth=1
	flat_store_b128 v[26:27], v[2:5]
.LBB412_31:                             ;   in Loop: Header=BB412_7 Depth=1
	s_wait_xcnt 0x0
	s_or_b32 exec_lo, exec_lo, s22
	s_and_saveexec_b32 s22, s17
	s_cbranch_execz .LBB412_6
; %bb.32:                               ;   in Loop: Header=BB412_7 Depth=1
	s_delay_alu instid0(VALU_DEP_4) | instskip(SKIP_3) | instid1(VALU_DEP_2)
	v_mul_f64_e32 v[2:3], s[14:15], v[22:23]
	v_mul_f64_e32 v[4:5], s[12:13], v[22:23]
	s_and_not1_b32 vcc_lo, exec_lo, s26
	s_mov_b32 s30, -1
	v_fma_f64 v[2:3], s[12:13], v[20:21], -v[2:3]
	s_delay_alu instid0(VALU_DEP_2)
	v_fmac_f64_e32 v[4:5], s[14:15], v[20:21]
	v_lshl_add_u64 v[20:21], v[14:15], 4, v[24:25]
	s_cbranch_vccnz .LBB412_34
; %bb.33:                               ;   in Loop: Header=BB412_7 Depth=1
	flat_load_b128 v[22:25], v[20:21]
	s_mov_b32 s30, 0
	s_wait_loadcnt_dscnt 0x0
	v_mul_f64_e32 v[26:27], s[10:11], v[24:25]
	v_mul_f64_e32 v[24:25], s[8:9], v[24:25]
	s_delay_alu instid0(VALU_DEP_2) | instskip(NEXT) | instid1(VALU_DEP_2)
	v_fma_f64 v[26:27], s[8:9], v[22:23], -v[26:27]
	v_fmac_f64_e32 v[24:25], s[10:11], v[22:23]
	s_delay_alu instid0(VALU_DEP_2) | instskip(NEXT) | instid1(VALU_DEP_2)
	v_add_f64_e32 v[22:23], v[2:3], v[26:27]
	v_add_f64_e32 v[24:25], v[4:5], v[24:25]
	flat_store_b128 v[20:21], v[22:25]
.LBB412_34:                             ;   in Loop: Header=BB412_7 Depth=1
	s_and_not1_b32 vcc_lo, exec_lo, s30
	s_cbranch_vccnz .LBB412_6
; %bb.35:                               ;   in Loop: Header=BB412_7 Depth=1
	flat_store_b128 v[20:21], v[2:5]
	s_branch .LBB412_6
.LBB412_36:
.LBB412_37:
	s_sendmsg sendmsg(MSG_DEALLOC_VGPRS)
	s_endpgm
	.section	.rodata,"a",@progbits
	.p2align	6, 0x0
	.amdhsa_kernel _ZL29rocblas_internal_gemmt_kernelIiLi16ELi32ELi8ELc67ELc84ELc76ELb1ELb0E19rocblas_complex_numIdEPKS1_PKS3_PKPS1_EviT_T9_T10_S9_lSB_S9_lSA_T11_S9_li
		.amdhsa_group_segment_fixed_size 8192
		.amdhsa_private_segment_fixed_size 0
		.amdhsa_kernarg_size 100
		.amdhsa_user_sgpr_count 2
		.amdhsa_user_sgpr_dispatch_ptr 0
		.amdhsa_user_sgpr_queue_ptr 0
		.amdhsa_user_sgpr_kernarg_segment_ptr 1
		.amdhsa_user_sgpr_dispatch_id 0
		.amdhsa_user_sgpr_kernarg_preload_length 0
		.amdhsa_user_sgpr_kernarg_preload_offset 0
		.amdhsa_user_sgpr_private_segment_size 0
		.amdhsa_wavefront_size32 1
		.amdhsa_uses_dynamic_stack 0
		.amdhsa_enable_private_segment 0
		.amdhsa_system_sgpr_workgroup_id_x 1
		.amdhsa_system_sgpr_workgroup_id_y 1
		.amdhsa_system_sgpr_workgroup_id_z 1
		.amdhsa_system_sgpr_workgroup_info 0
		.amdhsa_system_vgpr_workitem_id 1
		.amdhsa_next_free_vgpr 132
		.amdhsa_next_free_sgpr 41
		.amdhsa_named_barrier_count 0
		.amdhsa_reserve_vcc 1
		.amdhsa_float_round_mode_32 0
		.amdhsa_float_round_mode_16_64 0
		.amdhsa_float_denorm_mode_32 3
		.amdhsa_float_denorm_mode_16_64 3
		.amdhsa_fp16_overflow 0
		.amdhsa_memory_ordered 1
		.amdhsa_forward_progress 1
		.amdhsa_inst_pref_size 24
		.amdhsa_round_robin_scheduling 0
		.amdhsa_exception_fp_ieee_invalid_op 0
		.amdhsa_exception_fp_denorm_src 0
		.amdhsa_exception_fp_ieee_div_zero 0
		.amdhsa_exception_fp_ieee_overflow 0
		.amdhsa_exception_fp_ieee_underflow 0
		.amdhsa_exception_fp_ieee_inexact 0
		.amdhsa_exception_int_div_zero 0
	.end_amdhsa_kernel
	.section	.text._ZL29rocblas_internal_gemmt_kernelIiLi16ELi32ELi8ELc67ELc84ELc76ELb1ELb0E19rocblas_complex_numIdEPKS1_PKS3_PKPS1_EviT_T9_T10_S9_lSB_S9_lSA_T11_S9_li,"axG",@progbits,_ZL29rocblas_internal_gemmt_kernelIiLi16ELi32ELi8ELc67ELc84ELc76ELb1ELb0E19rocblas_complex_numIdEPKS1_PKS3_PKPS1_EviT_T9_T10_S9_lSB_S9_lSA_T11_S9_li,comdat
.Lfunc_end412:
	.size	_ZL29rocblas_internal_gemmt_kernelIiLi16ELi32ELi8ELc67ELc84ELc76ELb1ELb0E19rocblas_complex_numIdEPKS1_PKS3_PKPS1_EviT_T9_T10_S9_lSB_S9_lSA_T11_S9_li, .Lfunc_end412-_ZL29rocblas_internal_gemmt_kernelIiLi16ELi32ELi8ELc67ELc84ELc76ELb1ELb0E19rocblas_complex_numIdEPKS1_PKS3_PKPS1_EviT_T9_T10_S9_lSB_S9_lSA_T11_S9_li
                                        ; -- End function
	.set _ZL29rocblas_internal_gemmt_kernelIiLi16ELi32ELi8ELc67ELc84ELc76ELb1ELb0E19rocblas_complex_numIdEPKS1_PKS3_PKPS1_EviT_T9_T10_S9_lSB_S9_lSA_T11_S9_li.num_vgpr, 132
	.set _ZL29rocblas_internal_gemmt_kernelIiLi16ELi32ELi8ELc67ELc84ELc76ELb1ELb0E19rocblas_complex_numIdEPKS1_PKS3_PKPS1_EviT_T9_T10_S9_lSB_S9_lSA_T11_S9_li.num_agpr, 0
	.set _ZL29rocblas_internal_gemmt_kernelIiLi16ELi32ELi8ELc67ELc84ELc76ELb1ELb0E19rocblas_complex_numIdEPKS1_PKS3_PKPS1_EviT_T9_T10_S9_lSB_S9_lSA_T11_S9_li.numbered_sgpr, 41
	.set _ZL29rocblas_internal_gemmt_kernelIiLi16ELi32ELi8ELc67ELc84ELc76ELb1ELb0E19rocblas_complex_numIdEPKS1_PKS3_PKPS1_EviT_T9_T10_S9_lSB_S9_lSA_T11_S9_li.num_named_barrier, 0
	.set _ZL29rocblas_internal_gemmt_kernelIiLi16ELi32ELi8ELc67ELc84ELc76ELb1ELb0E19rocblas_complex_numIdEPKS1_PKS3_PKPS1_EviT_T9_T10_S9_lSB_S9_lSA_T11_S9_li.private_seg_size, 0
	.set _ZL29rocblas_internal_gemmt_kernelIiLi16ELi32ELi8ELc67ELc84ELc76ELb1ELb0E19rocblas_complex_numIdEPKS1_PKS3_PKPS1_EviT_T9_T10_S9_lSB_S9_lSA_T11_S9_li.uses_vcc, 1
	.set _ZL29rocblas_internal_gemmt_kernelIiLi16ELi32ELi8ELc67ELc84ELc76ELb1ELb0E19rocblas_complex_numIdEPKS1_PKS3_PKPS1_EviT_T9_T10_S9_lSB_S9_lSA_T11_S9_li.uses_flat_scratch, 0
	.set _ZL29rocblas_internal_gemmt_kernelIiLi16ELi32ELi8ELc67ELc84ELc76ELb1ELb0E19rocblas_complex_numIdEPKS1_PKS3_PKPS1_EviT_T9_T10_S9_lSB_S9_lSA_T11_S9_li.has_dyn_sized_stack, 0
	.set _ZL29rocblas_internal_gemmt_kernelIiLi16ELi32ELi8ELc67ELc84ELc76ELb1ELb0E19rocblas_complex_numIdEPKS1_PKS3_PKPS1_EviT_T9_T10_S9_lSB_S9_lSA_T11_S9_li.has_recursion, 0
	.set _ZL29rocblas_internal_gemmt_kernelIiLi16ELi32ELi8ELc67ELc84ELc76ELb1ELb0E19rocblas_complex_numIdEPKS1_PKS3_PKPS1_EviT_T9_T10_S9_lSB_S9_lSA_T11_S9_li.has_indirect_call, 0
	.section	.AMDGPU.csdata,"",@progbits
; Kernel info:
; codeLenInByte = 2988
; TotalNumSgprs: 43
; NumVgprs: 132
; ScratchSize: 0
; MemoryBound: 1
; FloatMode: 240
; IeeeMode: 1
; LDSByteSize: 8192 bytes/workgroup (compile time only)
; SGPRBlocks: 0
; VGPRBlocks: 8
; NumSGPRsForWavesPerEU: 43
; NumVGPRsForWavesPerEU: 132
; NamedBarCnt: 0
; Occupancy: 7
; WaveLimiterHint : 1
; COMPUTE_PGM_RSRC2:SCRATCH_EN: 0
; COMPUTE_PGM_RSRC2:USER_SGPR: 2
; COMPUTE_PGM_RSRC2:TRAP_HANDLER: 0
; COMPUTE_PGM_RSRC2:TGID_X_EN: 1
; COMPUTE_PGM_RSRC2:TGID_Y_EN: 1
; COMPUTE_PGM_RSRC2:TGID_Z_EN: 1
; COMPUTE_PGM_RSRC2:TIDIG_COMP_CNT: 1
	.section	.text._ZL29rocblas_internal_gemmt_kernelIiLi16ELi32ELi8ELc67ELc67ELc76ELb1ELb1E19rocblas_complex_numIdEPKS1_PKS3_PKPS1_EviT_T9_T10_S9_lSB_S9_lSA_T11_S9_li,"axG",@progbits,_ZL29rocblas_internal_gemmt_kernelIiLi16ELi32ELi8ELc67ELc67ELc76ELb1ELb1E19rocblas_complex_numIdEPKS1_PKS3_PKPS1_EviT_T9_T10_S9_lSB_S9_lSA_T11_S9_li,comdat
	.globl	_ZL29rocblas_internal_gemmt_kernelIiLi16ELi32ELi8ELc67ELc67ELc76ELb1ELb1E19rocblas_complex_numIdEPKS1_PKS3_PKPS1_EviT_T9_T10_S9_lSB_S9_lSA_T11_S9_li ; -- Begin function _ZL29rocblas_internal_gemmt_kernelIiLi16ELi32ELi8ELc67ELc67ELc76ELb1ELb1E19rocblas_complex_numIdEPKS1_PKS3_PKPS1_EviT_T9_T10_S9_lSB_S9_lSA_T11_S9_li
	.p2align	8
	.type	_ZL29rocblas_internal_gemmt_kernelIiLi16ELi32ELi8ELc67ELc67ELc76ELb1ELb1E19rocblas_complex_numIdEPKS1_PKS3_PKPS1_EviT_T9_T10_S9_lSB_S9_lSA_T11_S9_li,@function
_ZL29rocblas_internal_gemmt_kernelIiLi16ELi32ELi8ELc67ELc67ELc76ELb1ELb1E19rocblas_complex_numIdEPKS1_PKS3_PKPS1_EviT_T9_T10_S9_lSB_S9_lSA_T11_S9_li: ; @_ZL29rocblas_internal_gemmt_kernelIiLi16ELi32ELi8ELc67ELc67ELc76ELb1ELb1E19rocblas_complex_numIdEPKS1_PKS3_PKPS1_EviT_T9_T10_S9_lSB_S9_lSA_T11_S9_li
; %bb.0:
	s_load_b128 s[20:23], s[0:1], 0x38
	s_wait_kmcnt 0x0
	s_load_b128 s[8:11], s[22:23], 0x0
	s_load_b128 s[4:7], s[0:1], 0x8
	s_wait_xcnt 0x0
	s_load_b64 s[22:23], s[0:1], 0x0
	s_wait_kmcnt 0x0
	v_cmp_eq_f64_e64 s2, s[8:9], 1.0
	v_cmp_eq_f64_e64 s33, s[10:11], 0
	s_load_b128 s[12:15], s[4:5], 0x0
	s_and_b32 s2, s2, s33
	s_delay_alu instid0(SALU_CYCLE_1)
	s_and_not1_b32 vcc_lo, exec_lo, s2
	s_mov_b32 s2, -1
	s_cbranch_vccnz .LBB413_3
; %bb.1:
	s_cmp_lg_u32 s23, 0
	s_cbranch_scc0 .LBB413_34
; %bb.2:
	s_wait_kmcnt 0x0
	v_cmp_neq_f64_e64 s2, s[12:13], 0
	v_cmp_neq_f64_e64 s3, s[14:15], 0
	s_or_b32 s2, s2, s3
.LBB413_3:
	s_delay_alu instid0(SALU_CYCLE_1)
	s_and_b32 vcc_lo, exec_lo, s2
	s_cbranch_vccz .LBB413_35
; %bb.4:
	s_load_b32 s27, s[0:1], 0x60
	s_bfe_u32 s2, ttmp6, 0x40014
	s_lshr_b32 s3, ttmp7, 16
	s_add_co_i32 s2, s2, 1
	s_wait_xcnt 0x0
	s_bfe_u32 s5, ttmp6, 0x40008
	s_mul_i32 s2, s3, s2
	s_getreg_b32 s4, hwreg(HW_REG_IB_STS2, 6, 4)
	s_add_co_i32 s5, s5, s2
	s_cmp_eq_u32 s4, 0
	s_mov_b32 s29, 0
	s_cselect_b32 s28, s3, s5
	s_wait_kmcnt 0x0
	s_cmp_ge_u32 s28, s27
	s_cbranch_scc1 .LBB413_35
; %bb.5:
	s_clause 0x3
	s_load_b32 s2, s[0:1], 0x18
	s_load_b32 s30, s[0:1], 0x30
	s_load_b96 s[24:26], s[0:1], 0x48
	s_load_b128 s[16:19], s[0:1], 0x20
	v_and_b32_e32 v10, 0x3ff, v0
	v_bfe_u32 v13, v0, 10, 10
	s_load_b64 s[34:35], s[0:1], 0x58
	s_wait_xcnt 0x0
	s_bfe_u32 s1, ttmp6, 0x4000c
	s_bfe_u32 s3, ttmp6, 0x40010
	s_and_b32 s36, ttmp7, 0xffff
	s_add_co_i32 s1, s1, 1
	s_add_co_i32 s3, s3, 1
	v_lshl_add_u32 v1, v13, 4, v10
	s_and_b32 s0, ttmp6, 15
	s_mul_i32 s1, ttmp9, s1
	s_mul_i32 s39, s36, s3
	s_bfe_u32 s40, ttmp6, 0x40004
	s_add_co_i32 s0, s0, s1
	s_add_co_i32 s40, s40, s39
	v_dual_lshrrev_b32 v46, 5, v1 :: v_dual_bitop2_b32 v5, 31, v1 bitop3:0x40
	s_wait_kmcnt 0x0
	s_ashr_i32 s3, s2, 31
	s_ashr_i32 s31, s30, 31
	;; [unrolled: 1-line block ×3, first 2 shown]
	s_cmp_eq_u32 s4, 0
	v_cmp_neq_f64_e64 s37, s[12:13], 0
	s_cselect_b32 s0, ttmp9, s0
	s_cselect_b32 s1, s36, s40
	s_lshl_b32 s36, s0, 5
	s_delay_alu instid0(SALU_CYCLE_1) | instskip(SKIP_2) | instid1(VALU_DEP_3)
	v_dual_mov_b32 v11, 0 :: v_dual_bitop2_b32 v2, s36, v5 bitop3:0x54
	v_cmp_neq_f64_e64 s38, s[14:15], 0
	v_dual_lshrrev_b32 v12, 3, v1 :: v_dual_bitop2_b32 v8, 7, v0 bitop3:0x40
	v_dual_mov_b32 v9, v11 :: v_dual_ashrrev_i32 v3, 31, v2
	s_lshl_b32 s0, s1, 5
	v_cmp_neq_f64_e64 s39, s[8:9], 0
	s_delay_alu instid0(VALU_DEP_3) | instskip(NEXT) | instid1(VALU_DEP_3)
	v_dual_add_nc_u32 v4, s0, v12 :: v_dual_add_nc_u32 v20, s0, v13
	v_mul_u64_e32 v[0:1], s[2:3], v[2:3]
	v_mul_u64_e32 v[6:7], s[30:31], v[8:9]
	v_dual_lshlrev_b32 v3, 4, v8 :: v_dual_lshlrev_b32 v5, 4, v5
	v_cmp_gt_i32_e64 s0, s22, v2
	v_dual_add_nc_u32 v2, 16, v20 :: v_dual_ashrrev_i32 v21, 31, v20
	s_delay_alu instid0(VALU_DEP_3) | instskip(SKIP_2) | instid1(VALU_DEP_3)
	v_lshl_or_b32 v12, v12, 7, v3
	s_mov_b32 s4, s26
	v_lshl_or_b32 v9, v46, 9, v5
	v_dual_ashrrev_i32 v3, 31, v2 :: v_dual_ashrrev_i32 v5, 31, v4
	v_mul_u64_e32 v[14:15], s[4:5], v[20:21]
	v_add_nc_u32_e32 v47, 0x1000, v12
	v_dual_add_nc_u32 v12, s36, v10 :: v_dual_lshlrev_b32 v48, 4, v10
	s_delay_alu instid0(VALU_DEP_4) | instskip(SKIP_2) | instid1(VALU_DEP_4)
	v_mul_u64_e32 v[16:17], s[4:5], v[2:3]
	v_lshlrev_b32_e32 v10, 4, v46
	v_cmp_gt_i32_e64 s1, s22, v4
	v_cmp_le_i32_e32 vcc_lo, v20, v12
	v_cmp_gt_i32_e64 s2, s22, v12
	v_add_nc_u32_e32 v18, 16, v12
	v_lshl_add_u32 v49, v13, 7, 0x1000
	s_or_b32 s37, s37, s38
	s_cmp_gt_i32 s23, 0
	s_delay_alu instid0(VALU_DEP_2)
	v_dual_ashrrev_i32 v13, 31, v12 :: v_dual_ashrrev_i32 v19, 31, v18
	s_cselect_b32 s38, -1, 0
	s_lshl_b64 s[4:5], s[16:17], 4
	s_xor_b32 s3, s33, -1
	s_and_b32 s33, vcc_lo, s2
	s_or_b32 s26, s39, s3
	v_lshl_add_u64 v[0:1], v[0:1], 4, s[4:5]
	s_lshl_b64 s[4:5], s[20:21], 4
	v_cmp_le_i32_e32 vcc_lo, v20, v18
	v_lshl_add_u64 v[6:7], v[6:7], 4, s[4:5]
	v_cmp_gt_i32_e64 s3, s22, v18
	v_add_nc_u64_e32 v[20:21], v[0:1], v[10:11]
	v_cmp_le_i32_e64 s4, v2, v12
	s_and_b32 s20, s37, s38
	v_lshl_add_u64 v[22:23], v[4:5], 4, v[6:7]
	s_and_b32 s16, vcc_lo, s3
	v_cmp_le_i32_e32 vcc_lo, v2, v18
	s_and_b32 s17, s4, s2
	v_or_b32_e32 v20, 8, v20
	v_or_b32_e32 v22, 8, v22
	s_lshl_b64 s[4:5], s[34:35], 4
	s_and_b32 s21, vcc_lo, s3
	s_lshl_b64 s[2:3], s[30:31], 7
	s_branch .LBB413_7
.LBB413_6:                              ;   in Loop: Header=BB413_7 Depth=1
	s_wait_xcnt 0x0
	s_or_b32 exec_lo, exec_lo, s22
	s_add_co_i32 s28, s28, 0x10000
	s_delay_alu instid0(SALU_CYCLE_1)
	s_cmp_lt_u32 s28, s27
	s_cbranch_scc0 .LBB413_35
.LBB413_7:                              ; =>This Loop Header: Depth=1
                                        ;     Child Loop BB413_10 Depth 2
	v_mov_b32_e32 v0, s28
	v_mov_b64_e32 v[42:43], 0
	v_mov_b64_e32 v[44:45], 0
	;; [unrolled: 1-line block ×4, first 2 shown]
	global_load_b64 v[28:29], v0, s[24:25] scale_offset
	v_mov_b64_e32 v[30:31], 0
	v_mov_b64_e32 v[32:33], 0
	;; [unrolled: 1-line block ×4, first 2 shown]
	s_and_not1_b32 vcc_lo, exec_lo, s20
	s_cbranch_vccnz .LBB413_14
; %bb.8:                                ;   in Loop: Header=BB413_7 Depth=1
	s_lshl_b64 s[30:31], s[28:29], 3
	v_mov_b64_e32 v[26:27], 0
	s_add_nc_u64 s[34:35], s[6:7], s[30:31]
	s_add_nc_u64 s[30:31], s[18:19], s[30:31]
	s_clause 0x1
	global_load_b64 v[0:1], v11, s[34:35]
	global_load_b64 v[2:3], v11, s[30:31]
	v_mov_b64_e32 v[24:25], 0
	v_mov_b64_e32 v[32:33], 0
	;; [unrolled: 1-line block ×7, first 2 shown]
	s_mov_b32 s22, 0
	s_wait_loadcnt 0x1
	v_add_nc_u64_e32 v[34:35], v[0:1], v[20:21]
	s_wait_loadcnt 0x0
	v_add_nc_u64_e32 v[36:37], v[2:3], v[22:23]
	s_branch .LBB413_10
.LBB413_9:                              ;   in Loop: Header=BB413_10 Depth=2
	s_wait_xcnt 0x0
	s_or_b32 exec_lo, exec_lo, s30
	ds_store_b128 v47, v[4:7]
	s_wait_dscnt 0x0
	s_barrier_signal -1
	s_barrier_wait -1
	ds_load_b128 v[0:3], v49
	ds_load_b128 v[4:7], v48
	ds_load_b128 v[50:53], v48 offset:256
	ds_load_b128 v[54:57], v49 offset:2048
	ds_load_b128 v[58:61], v49 offset:16
	ds_load_b128 v[62:65], v48 offset:512
	ds_load_b128 v[66:69], v48 offset:768
	ds_load_b128 v[70:73], v49 offset:2064
	ds_load_b128 v[74:77], v49 offset:32
	ds_load_b128 v[78:81], v48 offset:1024
	ds_load_b128 v[82:85], v48 offset:1280
	ds_load_b128 v[86:89], v49 offset:2080
	v_add_nc_u64_e32 v[34:35], 0x80, v[34:35]
	v_add_nc_u64_e32 v[36:37], s[2:3], v[36:37]
	s_add_co_i32 s22, s22, 8
	s_delay_alu instid0(SALU_CYCLE_1)
	s_cmp_lt_i32 s22, s23
	s_wait_dscnt 0xa
	v_mul_f64_e32 v[90:91], v[2:3], v[6:7]
	v_mul_f64_e32 v[92:93], v[0:1], v[6:7]
	s_wait_dscnt 0x9
	v_mul_f64_e32 v[94:95], v[2:3], v[52:53]
	v_mul_f64_e32 v[96:97], v[0:1], v[52:53]
	s_wait_dscnt 0x8
	v_mul_f64_e32 v[98:99], v[56:57], v[6:7]
	v_mul_f64_e32 v[100:101], v[54:55], v[6:7]
	v_mul_f64_e32 v[6:7], v[56:57], v[52:53]
	v_mul_f64_e32 v[102:103], v[54:55], v[52:53]
	s_wait_dscnt 0x6
	v_mul_f64_e32 v[104:105], v[60:61], v[64:65]
	v_mul_f64_e32 v[106:107], v[58:59], v[64:65]
	s_wait_dscnt 0x5
	v_mul_f64_e32 v[108:109], v[60:61], v[68:69]
	v_mul_f64_e32 v[110:111], v[58:59], v[68:69]
	s_wait_dscnt 0x4
	v_mul_f64_e32 v[112:113], v[72:73], v[64:65]
	v_mul_f64_e32 v[64:65], v[70:71], v[64:65]
	v_mul_f64_e32 v[114:115], v[72:73], v[68:69]
	v_mul_f64_e32 v[68:69], v[70:71], v[68:69]
	;; [unrolled: 11-line block ×3, first 2 shown]
	v_fma_f64 v[90:91], v[0:1], v[4:5], -v[90:91]
	v_fmac_f64_e32 v[92:93], v[2:3], v[4:5]
	v_fma_f64 v[94:95], v[0:1], v[50:51], -v[94:95]
	v_fmac_f64_e32 v[96:97], v[2:3], v[50:51]
	;; [unrolled: 2-line block ×8, first 2 shown]
	ds_load_b128 v[0:3], v49 offset:48
	ds_load_b128 v[4:7], v49 offset:2096
	;; [unrolled: 1-line block ×4, first 2 shown]
	v_fma_f64 v[118:119], v[74:75], v[78:79], -v[118:119]
	v_fmac_f64_e32 v[120:121], v[76:77], v[78:79]
	v_fma_f64 v[74:75], v[74:75], v[82:83], -v[122:123]
	v_fmac_f64_e32 v[124:125], v[76:77], v[82:83]
	;; [unrolled: 2-line block ×4, first 2 shown]
	v_add_f64_e32 v[66:67], v[42:43], v[90:91]
	v_add_f64_e32 v[70:71], v[92:93], v[44:45]
	;; [unrolled: 1-line block ×8, first 2 shown]
	s_wait_dscnt 0x1
	v_mul_f64_e32 v[100:101], v[2:3], v[52:53]
	v_mul_f64_e32 v[102:103], v[0:1], v[52:53]
	s_wait_dscnt 0x0
	v_mul_f64_e32 v[108:109], v[2:3], v[56:57]
	v_mul_f64_e32 v[112:113], v[0:1], v[56:57]
	v_mul_f64_e32 v[114:115], v[6:7], v[52:53]
	v_mul_f64_e32 v[116:117], v[4:5], v[52:53]
	v_mul_f64_e32 v[52:53], v[6:7], v[56:57]
	v_mul_f64_e32 v[130:131], v[4:5], v[56:57]
	ds_load_b128 v[24:27], v49 offset:64
	ds_load_b128 v[30:33], v48 offset:2048
	;; [unrolled: 1-line block ×4, first 2 shown]
	v_add_f64_e32 v[82:83], v[66:67], v[104:105]
	v_add_f64_e32 v[86:87], v[106:107], v[70:71]
	;; [unrolled: 1-line block ×8, first 2 shown]
	s_wait_dscnt 0x2
	v_mul_f64_e32 v[98:99], v[26:27], v[32:33]
	v_mul_f64_e32 v[104:105], v[24:25], v[32:33]
	s_wait_dscnt 0x1
	v_mul_f64_e32 v[106:107], v[26:27], v[40:41]
	v_mul_f64_e32 v[110:111], v[24:25], v[40:41]
	;; [unrolled: 3-line block ×3, first 2 shown]
	v_mul_f64_e32 v[32:33], v[44:45], v[40:41]
	v_mul_f64_e32 v[128:129], v[42:43], v[40:41]
	v_fma_f64 v[40:41], v[0:1], v[50:51], -v[100:101]
	v_fmac_f64_e32 v[102:103], v[2:3], v[50:51]
	v_fma_f64 v[100:101], v[0:1], v[54:55], -v[108:109]
	v_fmac_f64_e32 v[112:113], v[2:3], v[54:55]
	v_fma_f64 v[108:109], v[4:5], v[50:51], -v[114:115]
	v_fmac_f64_e32 v[116:117], v[6:7], v[50:51]
	v_fma_f64 v[114:115], v[4:5], v[54:55], -v[52:53]
	v_fmac_f64_e32 v[130:131], v[6:7], v[54:55]
	ds_load_b128 v[56:59], v49 offset:80
	ds_load_b128 v[60:63], v49 offset:2128
	;; [unrolled: 1-line block ×4, first 2 shown]
	v_add_f64_e32 v[54:55], v[82:83], v[118:119]
	v_add_f64_e32 v[82:83], v[120:121], v[86:87]
	;; [unrolled: 1-line block ×8, first 2 shown]
	v_fma_f64 v[98:99], v[24:25], v[30:31], -v[98:99]
	v_fmac_f64_e32 v[104:105], v[26:27], v[30:31]
	v_fma_f64 v[106:107], v[24:25], v[38:39], -v[106:107]
	s_wait_dscnt 0x1
	v_mul_f64_e32 v[90:91], v[58:59], v[66:67]
	v_mul_f64_e32 v[92:93], v[56:57], v[66:67]
	s_wait_dscnt 0x0
	v_mul_f64_e32 v[94:95], v[58:59], v[70:71]
	v_mul_f64_e32 v[96:97], v[56:57], v[70:71]
	;; [unrolled: 1-line block ×6, first 2 shown]
	v_fmac_f64_e32 v[110:111], v[26:27], v[38:39]
	v_fma_f64 v[122:123], v[42:43], v[30:31], -v[122:123]
	v_fmac_f64_e32 v[126:127], v[44:45], v[30:31]
	v_fma_f64 v[124:125], v[42:43], v[38:39], -v[32:33]
	v_fmac_f64_e32 v[128:129], v[44:45], v[38:39]
	ds_load_b128 v[0:3], v49 offset:96
	ds_load_b128 v[4:7], v48 offset:3072
	;; [unrolled: 1-line block ×4, first 2 shown]
	v_add_f64_e32 v[54:55], v[54:55], v[40:41]
	v_add_f64_e32 v[82:83], v[102:103], v[82:83]
	;; [unrolled: 1-line block ×8, first 2 shown]
	ds_load_b128 v[24:27], v49 offset:112
	ds_load_b128 v[30:33], v49 offset:2160
	;; [unrolled: 1-line block ×4, first 2 shown]
	s_wait_dscnt 0x0
	v_mul_f64_e32 v[100:101], v[2:3], v[6:7]
	v_mul_f64_e32 v[102:103], v[0:1], v[6:7]
	v_mul_f64_e32 v[108:109], v[2:3], v[52:53]
	v_mul_f64_e32 v[112:113], v[0:1], v[52:53]
	v_mul_f64_e32 v[114:115], v[74:75], v[6:7]
	v_mul_f64_e32 v[6:7], v[72:73], v[6:7]
	v_mul_f64_e32 v[116:117], v[74:75], v[52:53]
	v_mul_f64_e32 v[52:53], v[72:73], v[52:53]
	v_fma_f64 v[90:91], v[56:57], v[64:65], -v[90:91]
	v_fmac_f64_e32 v[92:93], v[58:59], v[64:65]
	v_fma_f64 v[56:57], v[56:57], v[68:69], -v[94:95]
	v_fmac_f64_e32 v[96:97], v[58:59], v[68:69]
	;; [unrolled: 2-line block ×4, first 2 shown]
	s_barrier_signal -1
	s_barrier_wait -1
	v_mul_f64_e32 v[94:95], v[24:25], v[44:45]
	v_add_f64_e32 v[54:55], v[54:55], v[98:99]
	v_add_f64_e32 v[62:63], v[104:105], v[82:83]
	v_add_f64_e32 v[64:65], v[86:87], v[106:107]
	v_add_f64_e32 v[68:69], v[110:111], v[88:89]
	v_add_f64_e32 v[76:77], v[76:77], v[122:123]
	v_add_f64_e32 v[80:81], v[126:127], v[80:81]
	v_add_f64_e32 v[78:79], v[78:79], v[124:125]
	v_add_f64_e32 v[82:83], v[128:129], v[84:85]
	v_mul_f64_e32 v[84:85], v[26:27], v[40:41]
	v_mul_f64_e32 v[86:87], v[24:25], v[40:41]
	;; [unrolled: 1-line block ×7, first 2 shown]
	v_fma_f64 v[44:45], v[0:1], v[4:5], -v[100:101]
	v_fmac_f64_e32 v[102:103], v[2:3], v[4:5]
	v_fma_f64 v[0:1], v[0:1], v[50:51], -v[108:109]
	v_fmac_f64_e32 v[112:113], v[2:3], v[50:51]
	;; [unrolled: 2-line block ×4, first 2 shown]
	v_fmac_f64_e32 v[94:95], v[26:27], v[42:43]
	v_add_f64_e32 v[50:51], v[54:55], v[90:91]
	v_add_f64_e32 v[54:55], v[92:93], v[62:63]
	;; [unrolled: 1-line block ×8, first 2 shown]
	v_fma_f64 v[68:69], v[24:25], v[38:39], -v[84:85]
	v_fmac_f64_e32 v[86:87], v[26:27], v[38:39]
	v_fma_f64 v[24:25], v[24:25], v[42:43], -v[88:89]
	v_fma_f64 v[26:27], v[30:31], v[38:39], -v[98:99]
	v_fmac_f64_e32 v[104:105], v[32:33], v[38:39]
	v_fma_f64 v[70:71], v[30:31], v[42:43], -v[40:41]
	v_fmac_f64_e32 v[106:107], v[32:33], v[42:43]
	v_add_f64_e32 v[30:31], v[50:51], v[44:45]
	v_add_f64_e32 v[32:33], v[102:103], v[54:55]
	;; [unrolled: 1-line block ×16, first 2 shown]
	s_cbranch_scc0 .LBB413_14
.LBB413_10:                             ;   Parent Loop BB413_7 Depth=1
                                        ; =>  This Inner Loop Header: Depth=2
	v_add_nc_u32_e32 v2, s22, v46
	v_mov_b64_e32 v[0:1], 0
	s_delay_alu instid0(VALU_DEP_2) | instskip(SKIP_3) | instid1(SALU_CYCLE_1)
	v_cmp_gt_i32_e32 vcc_lo, s23, v2
	v_mov_b64_e32 v[2:3], 0
	s_wait_xcnt 0x0
	s_and_b32 s31, s0, vcc_lo
	s_and_saveexec_b32 s30, s31
	s_cbranch_execz .LBB413_12
; %bb.11:                               ;   in Loop: Header=BB413_10 Depth=2
	flat_load_b128 v[0:3], v[34:35] offset:-8
	s_wait_loadcnt_dscnt 0x0
	v_xor_b32_e32 v3, 0x80000000, v3
.LBB413_12:                             ;   in Loop: Header=BB413_10 Depth=2
	s_wait_xcnt 0x0
	s_or_b32 exec_lo, exec_lo, s30
	v_add_nc_u32_e32 v6, s22, v8
	v_mov_b64_e32 v[4:5], 0
	ds_store_b128 v9, v[0:3]
	v_cmp_gt_i32_e32 vcc_lo, s23, v6
	v_mov_b64_e32 v[6:7], 0
	s_and_b32 s31, vcc_lo, s1
	s_delay_alu instid0(SALU_CYCLE_1)
	s_and_saveexec_b32 s30, s31
	s_cbranch_execz .LBB413_9
; %bb.13:                               ;   in Loop: Header=BB413_10 Depth=2
	flat_load_b128 v[4:7], v[36:37] offset:-8
	s_wait_loadcnt_dscnt 0x0
	v_xor_b32_e32 v7, 0x80000000, v7
	s_branch .LBB413_9
.LBB413_14:                             ;   in Loop: Header=BB413_7 Depth=1
	s_wait_loadcnt 0x0
	v_add_nc_u64_e32 v[4:5], s[4:5], v[28:29]
	s_delay_alu instid0(VALU_DEP_1)
	v_lshl_add_u64 v[6:7], v[14:15], 4, v[4:5]
	s_wait_xcnt 0x0
	s_and_saveexec_b32 s22, s33
	s_cbranch_execz .LBB413_19
; %bb.15:                               ;   in Loop: Header=BB413_7 Depth=1
	v_mul_f64_e32 v[0:1], s[14:15], v[44:45]
	v_mul_f64_e32 v[2:3], s[12:13], v[44:45]
	v_lshl_add_u64 v[28:29], v[12:13], 4, v[6:7]
	s_and_b32 vcc_lo, exec_lo, s26
	s_mov_b32 s30, -1
	s_delay_alu instid0(VALU_DEP_3) | instskip(NEXT) | instid1(VALU_DEP_3)
	v_fma_f64 v[0:1], s[12:13], v[42:43], -v[0:1]
	v_fmac_f64_e32 v[2:3], s[14:15], v[42:43]
	s_cbranch_vccz .LBB413_17
; %bb.16:                               ;   in Loop: Header=BB413_7 Depth=1
	flat_load_b128 v[34:37], v[28:29]
	s_mov_b32 s30, 0
	s_wait_loadcnt_dscnt 0x0
	v_mul_f64_e32 v[42:43], s[10:11], v[36:37]
	v_mul_f64_e32 v[36:37], s[8:9], v[36:37]
	s_delay_alu instid0(VALU_DEP_2) | instskip(NEXT) | instid1(VALU_DEP_2)
	v_fma_f64 v[42:43], s[8:9], v[34:35], -v[42:43]
	v_fmac_f64_e32 v[36:37], s[10:11], v[34:35]
	s_delay_alu instid0(VALU_DEP_2) | instskip(NEXT) | instid1(VALU_DEP_2)
	v_add_f64_e32 v[34:35], v[0:1], v[42:43]
	v_add_f64_e32 v[36:37], v[2:3], v[36:37]
	flat_store_b128 v[28:29], v[34:37]
.LBB413_17:                             ;   in Loop: Header=BB413_7 Depth=1
	s_and_not1_b32 vcc_lo, exec_lo, s30
	s_cbranch_vccnz .LBB413_19
; %bb.18:                               ;   in Loop: Header=BB413_7 Depth=1
	flat_store_b128 v[28:29], v[0:3]
.LBB413_19:                             ;   in Loop: Header=BB413_7 Depth=1
	s_wait_xcnt 0x0
	s_or_b32 exec_lo, exec_lo, s22
	s_and_saveexec_b32 s22, s16
	s_cbranch_execz .LBB413_24
; %bb.20:                               ;   in Loop: Header=BB413_7 Depth=1
	v_mul_f64_e32 v[0:1], s[14:15], v[40:41]
	v_mul_f64_e32 v[2:3], s[12:13], v[40:41]
	v_lshl_add_u64 v[6:7], v[18:19], 4, v[6:7]
	s_and_not1_b32 vcc_lo, exec_lo, s26
	s_mov_b32 s30, -1
	s_delay_alu instid0(VALU_DEP_3) | instskip(NEXT) | instid1(VALU_DEP_3)
	v_fma_f64 v[0:1], s[12:13], v[38:39], -v[0:1]
	v_fmac_f64_e32 v[2:3], s[14:15], v[38:39]
	s_cbranch_vccnz .LBB413_22
; %bb.21:                               ;   in Loop: Header=BB413_7 Depth=1
	flat_load_b128 v[34:37], v[6:7]
	s_mov_b32 s30, 0
	s_wait_loadcnt_dscnt 0x0
	v_mul_f64_e32 v[28:29], s[10:11], v[36:37]
	v_mul_f64_e32 v[36:37], s[8:9], v[36:37]
	s_delay_alu instid0(VALU_DEP_2) | instskip(NEXT) | instid1(VALU_DEP_2)
	v_fma_f64 v[28:29], s[8:9], v[34:35], -v[28:29]
	v_fmac_f64_e32 v[36:37], s[10:11], v[34:35]
	s_delay_alu instid0(VALU_DEP_2) | instskip(NEXT) | instid1(VALU_DEP_2)
	v_add_f64_e32 v[34:35], v[0:1], v[28:29]
	v_add_f64_e32 v[36:37], v[2:3], v[36:37]
	flat_store_b128 v[6:7], v[34:37]
.LBB413_22:                             ;   in Loop: Header=BB413_7 Depth=1
	s_and_not1_b32 vcc_lo, exec_lo, s30
	s_cbranch_vccnz .LBB413_24
; %bb.23:                               ;   in Loop: Header=BB413_7 Depth=1
	flat_store_b128 v[6:7], v[0:3]
.LBB413_24:                             ;   in Loop: Header=BB413_7 Depth=1
	s_wait_xcnt 0x0
	s_or_b32 exec_lo, exec_lo, s22
	v_lshl_add_u64 v[4:5], v[16:17], 4, v[4:5]
	s_and_saveexec_b32 s22, s17
	s_cbranch_execz .LBB413_29
; %bb.25:                               ;   in Loop: Header=BB413_7 Depth=1
	v_mul_f64_e32 v[0:1], s[14:15], v[32:33]
	v_mul_f64_e32 v[2:3], s[12:13], v[32:33]
	v_lshl_add_u64 v[6:7], v[12:13], 4, v[4:5]
	s_and_not1_b32 vcc_lo, exec_lo, s26
	s_mov_b32 s30, -1
	s_delay_alu instid0(VALU_DEP_3) | instskip(NEXT) | instid1(VALU_DEP_3)
	v_fma_f64 v[0:1], s[12:13], v[30:31], -v[0:1]
	v_fmac_f64_e32 v[2:3], s[14:15], v[30:31]
	s_cbranch_vccnz .LBB413_27
; %bb.26:                               ;   in Loop: Header=BB413_7 Depth=1
	flat_load_b128 v[28:31], v[6:7]
	s_mov_b32 s30, 0
	s_wait_loadcnt_dscnt 0x0
	v_mul_f64_e32 v[32:33], s[10:11], v[30:31]
	v_mul_f64_e32 v[30:31], s[8:9], v[30:31]
	s_delay_alu instid0(VALU_DEP_2) | instskip(NEXT) | instid1(VALU_DEP_2)
	v_fma_f64 v[32:33], s[8:9], v[28:29], -v[32:33]
	v_fmac_f64_e32 v[30:31], s[10:11], v[28:29]
	s_delay_alu instid0(VALU_DEP_2) | instskip(NEXT) | instid1(VALU_DEP_2)
	v_add_f64_e32 v[28:29], v[0:1], v[32:33]
	v_add_f64_e32 v[30:31], v[2:3], v[30:31]
	flat_store_b128 v[6:7], v[28:31]
.LBB413_27:                             ;   in Loop: Header=BB413_7 Depth=1
	s_and_not1_b32 vcc_lo, exec_lo, s30
	s_cbranch_vccnz .LBB413_29
; %bb.28:                               ;   in Loop: Header=BB413_7 Depth=1
	flat_store_b128 v[6:7], v[0:3]
.LBB413_29:                             ;   in Loop: Header=BB413_7 Depth=1
	s_wait_xcnt 0x0
	s_or_b32 exec_lo, exec_lo, s22
	s_and_saveexec_b32 s22, s21
	s_cbranch_execz .LBB413_6
; %bb.30:                               ;   in Loop: Header=BB413_7 Depth=1
	s_delay_alu instid0(VALU_DEP_4) | instskip(SKIP_4) | instid1(VALU_DEP_3)
	v_mul_f64_e32 v[0:1], s[14:15], v[26:27]
	v_mul_f64_e32 v[2:3], s[12:13], v[26:27]
	v_lshl_add_u64 v[4:5], v[18:19], 4, v[4:5]
	s_and_not1_b32 vcc_lo, exec_lo, s26
	s_mov_b32 s30, -1
	v_fma_f64 v[0:1], s[12:13], v[24:25], -v[0:1]
	s_delay_alu instid0(VALU_DEP_3)
	v_fmac_f64_e32 v[2:3], s[14:15], v[24:25]
	s_cbranch_vccnz .LBB413_32
; %bb.31:                               ;   in Loop: Header=BB413_7 Depth=1
	flat_load_b128 v[24:27], v[4:5]
	s_mov_b32 s30, 0
	s_wait_loadcnt_dscnt 0x0
	v_mul_f64_e32 v[6:7], s[10:11], v[26:27]
	v_mul_f64_e32 v[26:27], s[8:9], v[26:27]
	s_delay_alu instid0(VALU_DEP_2) | instskip(NEXT) | instid1(VALU_DEP_2)
	v_fma_f64 v[6:7], s[8:9], v[24:25], -v[6:7]
	v_fmac_f64_e32 v[26:27], s[10:11], v[24:25]
	s_delay_alu instid0(VALU_DEP_2) | instskip(NEXT) | instid1(VALU_DEP_2)
	v_add_f64_e32 v[24:25], v[0:1], v[6:7]
	v_add_f64_e32 v[26:27], v[2:3], v[26:27]
	flat_store_b128 v[4:5], v[24:27]
.LBB413_32:                             ;   in Loop: Header=BB413_7 Depth=1
	s_and_not1_b32 vcc_lo, exec_lo, s30
	s_cbranch_vccnz .LBB413_6
; %bb.33:                               ;   in Loop: Header=BB413_7 Depth=1
	flat_store_b128 v[4:5], v[0:3]
	s_branch .LBB413_6
.LBB413_34:
.LBB413_35:
	s_sendmsg sendmsg(MSG_DEALLOC_VGPRS)
	s_endpgm
	.section	.rodata,"a",@progbits
	.p2align	6, 0x0
	.amdhsa_kernel _ZL29rocblas_internal_gemmt_kernelIiLi16ELi32ELi8ELc67ELc67ELc76ELb1ELb1E19rocblas_complex_numIdEPKS1_PKS3_PKPS1_EviT_T9_T10_S9_lSB_S9_lSA_T11_S9_li
		.amdhsa_group_segment_fixed_size 8192
		.amdhsa_private_segment_fixed_size 0
		.amdhsa_kernarg_size 100
		.amdhsa_user_sgpr_count 2
		.amdhsa_user_sgpr_dispatch_ptr 0
		.amdhsa_user_sgpr_queue_ptr 0
		.amdhsa_user_sgpr_kernarg_segment_ptr 1
		.amdhsa_user_sgpr_dispatch_id 0
		.amdhsa_user_sgpr_kernarg_preload_length 0
		.amdhsa_user_sgpr_kernarg_preload_offset 0
		.amdhsa_user_sgpr_private_segment_size 0
		.amdhsa_wavefront_size32 1
		.amdhsa_uses_dynamic_stack 0
		.amdhsa_enable_private_segment 0
		.amdhsa_system_sgpr_workgroup_id_x 1
		.amdhsa_system_sgpr_workgroup_id_y 1
		.amdhsa_system_sgpr_workgroup_id_z 1
		.amdhsa_system_sgpr_workgroup_info 0
		.amdhsa_system_vgpr_workitem_id 1
		.amdhsa_next_free_vgpr 132
		.amdhsa_next_free_sgpr 41
		.amdhsa_named_barrier_count 0
		.amdhsa_reserve_vcc 1
		.amdhsa_float_round_mode_32 0
		.amdhsa_float_round_mode_16_64 0
		.amdhsa_float_denorm_mode_32 3
		.amdhsa_float_denorm_mode_16_64 3
		.amdhsa_fp16_overflow 0
		.amdhsa_memory_ordered 1
		.amdhsa_forward_progress 1
		.amdhsa_inst_pref_size 24
		.amdhsa_round_robin_scheduling 0
		.amdhsa_exception_fp_ieee_invalid_op 0
		.amdhsa_exception_fp_denorm_src 0
		.amdhsa_exception_fp_ieee_div_zero 0
		.amdhsa_exception_fp_ieee_overflow 0
		.amdhsa_exception_fp_ieee_underflow 0
		.amdhsa_exception_fp_ieee_inexact 0
		.amdhsa_exception_int_div_zero 0
	.end_amdhsa_kernel
	.section	.text._ZL29rocblas_internal_gemmt_kernelIiLi16ELi32ELi8ELc67ELc67ELc76ELb1ELb1E19rocblas_complex_numIdEPKS1_PKS3_PKPS1_EviT_T9_T10_S9_lSB_S9_lSA_T11_S9_li,"axG",@progbits,_ZL29rocblas_internal_gemmt_kernelIiLi16ELi32ELi8ELc67ELc67ELc76ELb1ELb1E19rocblas_complex_numIdEPKS1_PKS3_PKPS1_EviT_T9_T10_S9_lSB_S9_lSA_T11_S9_li,comdat
.Lfunc_end413:
	.size	_ZL29rocblas_internal_gemmt_kernelIiLi16ELi32ELi8ELc67ELc67ELc76ELb1ELb1E19rocblas_complex_numIdEPKS1_PKS3_PKPS1_EviT_T9_T10_S9_lSB_S9_lSA_T11_S9_li, .Lfunc_end413-_ZL29rocblas_internal_gemmt_kernelIiLi16ELi32ELi8ELc67ELc67ELc76ELb1ELb1E19rocblas_complex_numIdEPKS1_PKS3_PKPS1_EviT_T9_T10_S9_lSB_S9_lSA_T11_S9_li
                                        ; -- End function
	.set _ZL29rocblas_internal_gemmt_kernelIiLi16ELi32ELi8ELc67ELc67ELc76ELb1ELb1E19rocblas_complex_numIdEPKS1_PKS3_PKPS1_EviT_T9_T10_S9_lSB_S9_lSA_T11_S9_li.num_vgpr, 132
	.set _ZL29rocblas_internal_gemmt_kernelIiLi16ELi32ELi8ELc67ELc67ELc76ELb1ELb1E19rocblas_complex_numIdEPKS1_PKS3_PKPS1_EviT_T9_T10_S9_lSB_S9_lSA_T11_S9_li.num_agpr, 0
	.set _ZL29rocblas_internal_gemmt_kernelIiLi16ELi32ELi8ELc67ELc67ELc76ELb1ELb1E19rocblas_complex_numIdEPKS1_PKS3_PKPS1_EviT_T9_T10_S9_lSB_S9_lSA_T11_S9_li.numbered_sgpr, 41
	.set _ZL29rocblas_internal_gemmt_kernelIiLi16ELi32ELi8ELc67ELc67ELc76ELb1ELb1E19rocblas_complex_numIdEPKS1_PKS3_PKPS1_EviT_T9_T10_S9_lSB_S9_lSA_T11_S9_li.num_named_barrier, 0
	.set _ZL29rocblas_internal_gemmt_kernelIiLi16ELi32ELi8ELc67ELc67ELc76ELb1ELb1E19rocblas_complex_numIdEPKS1_PKS3_PKPS1_EviT_T9_T10_S9_lSB_S9_lSA_T11_S9_li.private_seg_size, 0
	.set _ZL29rocblas_internal_gemmt_kernelIiLi16ELi32ELi8ELc67ELc67ELc76ELb1ELb1E19rocblas_complex_numIdEPKS1_PKS3_PKPS1_EviT_T9_T10_S9_lSB_S9_lSA_T11_S9_li.uses_vcc, 1
	.set _ZL29rocblas_internal_gemmt_kernelIiLi16ELi32ELi8ELc67ELc67ELc76ELb1ELb1E19rocblas_complex_numIdEPKS1_PKS3_PKPS1_EviT_T9_T10_S9_lSB_S9_lSA_T11_S9_li.uses_flat_scratch, 0
	.set _ZL29rocblas_internal_gemmt_kernelIiLi16ELi32ELi8ELc67ELc67ELc76ELb1ELb1E19rocblas_complex_numIdEPKS1_PKS3_PKPS1_EviT_T9_T10_S9_lSB_S9_lSA_T11_S9_li.has_dyn_sized_stack, 0
	.set _ZL29rocblas_internal_gemmt_kernelIiLi16ELi32ELi8ELc67ELc67ELc76ELb1ELb1E19rocblas_complex_numIdEPKS1_PKS3_PKPS1_EviT_T9_T10_S9_lSB_S9_lSA_T11_S9_li.has_recursion, 0
	.set _ZL29rocblas_internal_gemmt_kernelIiLi16ELi32ELi8ELc67ELc67ELc76ELb1ELb1E19rocblas_complex_numIdEPKS1_PKS3_PKPS1_EviT_T9_T10_S9_lSB_S9_lSA_T11_S9_li.has_indirect_call, 0
	.section	.AMDGPU.csdata,"",@progbits
; Kernel info:
; codeLenInByte = 2980
; TotalNumSgprs: 43
; NumVgprs: 132
; ScratchSize: 0
; MemoryBound: 1
; FloatMode: 240
; IeeeMode: 1
; LDSByteSize: 8192 bytes/workgroup (compile time only)
; SGPRBlocks: 0
; VGPRBlocks: 8
; NumSGPRsForWavesPerEU: 43
; NumVGPRsForWavesPerEU: 132
; NamedBarCnt: 0
; Occupancy: 7
; WaveLimiterHint : 1
; COMPUTE_PGM_RSRC2:SCRATCH_EN: 0
; COMPUTE_PGM_RSRC2:USER_SGPR: 2
; COMPUTE_PGM_RSRC2:TRAP_HANDLER: 0
; COMPUTE_PGM_RSRC2:TGID_X_EN: 1
; COMPUTE_PGM_RSRC2:TGID_Y_EN: 1
; COMPUTE_PGM_RSRC2:TGID_Z_EN: 1
; COMPUTE_PGM_RSRC2:TIDIG_COMP_CNT: 1
	.section	.text._ZL29rocblas_internal_gemmt_kernelIiLi16ELi32ELi8ELc78ELc78ELc85ELb0ELb0E19rocblas_complex_numIdES1_PKPKS1_PKPS1_EviT_T9_T10_S9_lSB_S9_lSA_T11_S9_li,"axG",@progbits,_ZL29rocblas_internal_gemmt_kernelIiLi16ELi32ELi8ELc78ELc78ELc85ELb0ELb0E19rocblas_complex_numIdES1_PKPKS1_PKPS1_EviT_T9_T10_S9_lSB_S9_lSA_T11_S9_li,comdat
	.globl	_ZL29rocblas_internal_gemmt_kernelIiLi16ELi32ELi8ELc78ELc78ELc85ELb0ELb0E19rocblas_complex_numIdES1_PKPKS1_PKPS1_EviT_T9_T10_S9_lSB_S9_lSA_T11_S9_li ; -- Begin function _ZL29rocblas_internal_gemmt_kernelIiLi16ELi32ELi8ELc78ELc78ELc85ELb0ELb0E19rocblas_complex_numIdES1_PKPKS1_PKPS1_EviT_T9_T10_S9_lSB_S9_lSA_T11_S9_li
	.p2align	8
	.type	_ZL29rocblas_internal_gemmt_kernelIiLi16ELi32ELi8ELc78ELc78ELc85ELb0ELb0E19rocblas_complex_numIdES1_PKPKS1_PKPS1_EviT_T9_T10_S9_lSB_S9_lSA_T11_S9_li,@function
_ZL29rocblas_internal_gemmt_kernelIiLi16ELi32ELi8ELc78ELc78ELc85ELb0ELb0E19rocblas_complex_numIdES1_PKPKS1_PKPS1_EviT_T9_T10_S9_lSB_S9_lSA_T11_S9_li: ; @_ZL29rocblas_internal_gemmt_kernelIiLi16ELi32ELi8ELc78ELc78ELc85ELb0ELb0E19rocblas_complex_numIdES1_PKPKS1_PKPS1_EviT_T9_T10_S9_lSB_S9_lSA_T11_S9_li
; %bb.0:
	s_clause 0x2
	s_load_b256 s[4:11], s[0:1], 0x40
	s_load_b64 s[24:25], s[0:1], 0x0
	s_load_b128 s[12:15], s[0:1], 0x8
	s_wait_kmcnt 0x0
	v_cmp_eq_f64_e64 s2, s[6:7], 1.0
	v_cmp_eq_f64_e64 s34, s[8:9], 0
	s_and_b32 s2, s2, s34
	s_delay_alu instid0(SALU_CYCLE_1)
	s_and_not1_b32 vcc_lo, exec_lo, s2
	s_mov_b32 s2, -1
	s_cbranch_vccnz .LBB414_3
; %bb.1:
	s_cmp_lg_u32 s25, 0
	s_cbranch_scc0 .LBB414_38
; %bb.2:
	v_cmp_neq_f64_e64 s2, s[12:13], 0
	v_cmp_neq_f64_e64 s3, s[14:15], 0
	s_or_b32 s2, s2, s3
.LBB414_3:
	s_delay_alu instid0(SALU_CYCLE_1)
	s_and_b32 vcc_lo, exec_lo, s2
	s_cbranch_vccz .LBB414_39
; %bb.4:
	s_load_b32 s33, s[0:1], 0x70
	s_bfe_u32 s2, ttmp6, 0x40014
	s_lshr_b32 s3, ttmp7, 16
	s_add_co_i32 s2, s2, 1
	s_bfe_u32 s16, ttmp6, 0x40008
	s_mul_i32 s2, s3, s2
	s_getreg_b32 s35, hwreg(HW_REG_IB_STS2, 6, 4)
	s_add_co_i32 s16, s16, s2
	s_cmp_eq_u32 s35, 0
	s_mov_b32 s27, 0
	s_cselect_b32 s26, s3, s16
	s_wait_kmcnt 0x0
	s_cmp_ge_u32 s26, s33
	s_cbranch_scc1 .LBB414_39
; %bb.5:
	s_clause 0x2
	s_load_b96 s[20:22], s[0:1], 0x18
	s_load_b32 s2, s[0:1], 0x38
	s_load_b32 s28, s[0:1], 0x60
	v_and_b32_e32 v1, 0x3ff, v0
	v_bfe_u32 v5, v0, 10, 10
	s_clause 0x1
	s_load_b128 s[16:19], s[0:1], 0x28
	s_load_b64 s[30:31], s[0:1], 0x68
	s_wait_xcnt 0x0
	s_bfe_u32 s1, ttmp6, 0x4000c
	s_bfe_u32 s38, ttmp6, 0x40010
	s_add_co_i32 s1, s1, 1
	s_and_b32 s39, ttmp7, 0xffff
	s_add_co_i32 s38, s38, 1
	v_and_b32_e32 v40, 7, v0
	v_lshl_add_u32 v0, v5, 4, v1
	s_and_b32 s0, ttmp6, 15
	s_mul_i32 s1, ttmp9, s1
	s_mul_i32 s38, s39, s38
	s_bfe_u32 s40, ttmp6, 0x40004
	s_add_co_i32 s0, s0, s1
	s_add_co_i32 s40, s40, s38
	v_dual_lshrrev_b32 v8, 3, v0 :: v_dual_bitop2_b32 v9, 31, v0 bitop3:0x40
	s_wait_kmcnt 0x0
	s_ashr_i32 s23, s22, 31
	s_ashr_i32 s3, s2, 31
	;; [unrolled: 1-line block ×3, first 2 shown]
	s_cmp_eq_u32 s35, 0
	v_lshrrev_b32_e32 v6, 5, v0
	s_cselect_b32 s1, s39, s40
	s_cselect_b32 s0, ttmp9, s0
	s_lshl_b32 s1, s1, 5
	s_delay_alu instid0(SALU_CYCLE_1) | instskip(SKIP_3) | instid1(SALU_CYCLE_1)
	v_dual_mov_b32 v0, 0 :: v_dual_add_nc_u32 v2, s1, v8
	v_cmp_neq_f64_e64 s36, s[12:13], 0
	v_cmp_neq_f64_e64 s37, s[14:15], 0
	s_lshl_b32 s0, s0, 5
	v_dual_mov_b32 v7, v0 :: v_dual_bitop2_b32 v4, s0, v9 bitop3:0x54
	v_dual_ashrrev_i32 v3, 31, v2 :: v_dual_lshlrev_b32 v9, 4, v9
	v_dual_add_nc_u32 v18, s1, v5 :: v_dual_lshlrev_b32 v20, 4, v40
	s_delay_alu instid0(VALU_DEP_3) | instskip(NEXT) | instid1(VALU_DEP_3)
	v_mul_u64_e32 v[16:17], s[22:23], v[6:7]
	v_mul_u64_e32 v[22:23], s[2:3], v[2:3]
	v_cmp_neq_f64_e64 s35, s[6:7], 0
	s_delay_alu instid0(VALU_DEP_4) | instskip(SKIP_3) | instid1(VALU_DEP_4)
	v_dual_add_nc_u32 v24, 16, v18 :: v_dual_ashrrev_i32 v19, 31, v18
	v_lshl_or_b32 v3, v8, 7, v20
	v_add_nc_u32_e32 v8, s0, v1
	v_lshl_or_b32 v7, v6, 9, v9
	v_ashrrev_i32_e32 v25, 31, v24
	v_mul_u64_e32 v[10:11], s[28:29], v[18:19]
	s_delay_alu instid0(VALU_DEP_4) | instskip(SKIP_1) | instid1(VALU_DEP_4)
	v_dual_lshlrev_b32 v42, 4, v1 :: v_dual_add_nc_u32 v12, 16, v8
	v_cmp_gt_i32_e64 s1, s24, v18
	v_mul_u64_e32 v[14:15], s[28:29], v[24:25]
	v_cmp_le_i32_e64 s2, v8, v18
	v_dual_ashrrev_i32 v9, 31, v8 :: v_dual_mov_b32 v21, v0
	v_cmp_le_i32_e64 s3, v12, v18
	v_cmp_gt_i32_e64 s0, s24, v2
	v_add_nc_u32_e32 v41, 0x1000, v3
	v_lshl_add_u32 v43, v5, 7, 0x1000
	v_ashrrev_i32_e32 v5, 31, v4
	v_cmp_gt_i32_e32 vcc_lo, s24, v4
	v_ashrrev_i32_e32 v13, 31, v12
	s_or_b32 s36, s36, s37
	s_cmp_gt_i32 s25, 0
	s_cselect_b32 s37, -1, 0
	s_lshl_b64 s[4:5], s[4:5], 4
	s_lshl_b64 s[16:17], s[16:17], 4
	s_xor_b32 s28, s34, -1
	s_and_b32 s29, s1, s2
	v_lshl_add_u64 v[2:3], v[16:17], 4, s[16:17]
	v_lshl_add_u64 v[18:19], v[22:23], 4, s[4:5]
	s_and_b32 s34, s1, s3
	v_cmp_gt_i32_e64 s1, s24, v24
	v_cmp_le_i32_e64 s2, v8, v24
	v_cmp_le_i32_e64 s3, v12, v24
	v_add_nc_u64_e32 v[18:19], v[18:19], v[20:21]
	v_lshl_add_u64 v[16:17], v[4:5], 4, v[2:3]
	s_or_b32 s28, s35, s28
	s_and_b32 s4, s1, s2
	s_and_b32 s5, s1, s3
	s_lshl_b64 s[2:3], s[22:23], 7
	s_and_b32 s16, s36, s37
	s_xor_b32 s17, vcc_lo, -1
	s_xor_b32 s22, s0, -1
	s_lshl_b64 s[0:1], s[30:31], 4
	s_branch .LBB414_7
.LBB414_6:                              ;   in Loop: Header=BB414_7 Depth=1
	s_wait_xcnt 0x0
	s_or_b32 exec_lo, exec_lo, s23
	s_add_co_i32 s26, s26, 0x10000
	s_delay_alu instid0(SALU_CYCLE_1)
	s_cmp_lt_u32 s26, s33
	s_cbranch_scc0 .LBB414_39
.LBB414_7:                              ; =>This Loop Header: Depth=1
                                        ;     Child Loop BB414_10 Depth 2
	v_mov_b32_e32 v1, s26
	v_mov_b64_e32 v[36:37], 0
	v_mov_b64_e32 v[38:39], 0
	;; [unrolled: 1-line block ×4, first 2 shown]
	global_load_b64 v[4:5], v1, s[10:11] scale_offset
	v_mov_b64_e32 v[24:25], 0
	v_mov_b64_e32 v[26:27], 0
	;; [unrolled: 1-line block ×4, first 2 shown]
	s_and_not1_b32 vcc_lo, exec_lo, s16
	s_cbranch_vccnz .LBB414_18
; %bb.8:                                ;   in Loop: Header=BB414_7 Depth=1
	s_lshl_b64 s[30:31], s[26:27], 3
	v_mov_b64_e32 v[22:23], 0
	s_add_nc_u64 s[36:37], s[20:21], s[30:31]
	s_add_nc_u64 s[30:31], s[18:19], s[30:31]
	s_clause 0x1
	global_load_b64 v[2:3], v0, s[36:37]
	global_load_b64 v[30:31], v0, s[30:31]
	v_mov_b64_e32 v[20:21], 0
	v_mov_b64_e32 v[26:27], 0
	;; [unrolled: 1-line block ×7, first 2 shown]
	s_mov_b32 s23, 0
	s_wait_loadcnt 0x1
	v_add_nc_u64_e32 v[28:29], v[2:3], v[16:17]
	s_wait_loadcnt 0x0
	v_add_nc_u64_e32 v[30:31], v[30:31], v[18:19]
	s_branch .LBB414_10
.LBB414_9:                              ;   in Loop: Header=BB414_10 Depth=2
	s_wait_xcnt 0x0
	s_or_b32 exec_lo, exec_lo, s24
	s_wait_dscnt 0x0
	s_barrier_signal -1
	s_barrier_wait -1
	ds_load_b128 v[44:47], v43
	ds_load_b128 v[48:51], v42
	ds_load_b128 v[52:55], v42 offset:256
	ds_load_b128 v[56:59], v43 offset:2048
	;; [unrolled: 1-line block ×10, first 2 shown]
	v_add_nc_u64_e32 v[28:29], s[2:3], v[28:29]
	v_add_nc_u64_e32 v[30:31], 0x80, v[30:31]
	s_add_co_i32 s23, s23, 8
	s_delay_alu instid0(SALU_CYCLE_1)
	s_cmp_lt_i32 s23, s25
	s_wait_dscnt 0xa
	v_mul_f64_e32 v[2:3], v[46:47], v[50:51]
	v_mul_f64_e32 v[92:93], v[44:45], v[50:51]
	s_wait_dscnt 0x9
	v_mul_f64_e32 v[94:95], v[46:47], v[54:55]
	v_mul_f64_e32 v[96:97], v[44:45], v[54:55]
	s_wait_dscnt 0x8
	v_mul_f64_e32 v[98:99], v[58:59], v[50:51]
	v_mul_f64_e32 v[100:101], v[56:57], v[50:51]
	v_mul_f64_e32 v[50:51], v[58:59], v[54:55]
	v_mul_f64_e32 v[102:103], v[56:57], v[54:55]
	s_wait_dscnt 0x6
	v_mul_f64_e32 v[104:105], v[62:63], v[66:67]
	v_mul_f64_e32 v[106:107], v[60:61], v[66:67]
	s_wait_dscnt 0x5
	v_mul_f64_e32 v[108:109], v[62:63], v[70:71]
	v_mul_f64_e32 v[110:111], v[60:61], v[70:71]
	s_wait_dscnt 0x4
	v_mul_f64_e32 v[112:113], v[74:75], v[66:67]
	v_mul_f64_e32 v[66:67], v[72:73], v[66:67]
	v_mul_f64_e32 v[114:115], v[74:75], v[70:71]
	v_mul_f64_e32 v[70:71], v[72:73], v[70:71]
	;; [unrolled: 11-line block ×3, first 2 shown]
	v_fma_f64 v[2:3], v[44:45], v[48:49], -v[2:3]
	v_fmac_f64_e32 v[92:93], v[46:47], v[48:49]
	v_fma_f64 v[94:95], v[44:45], v[52:53], -v[94:95]
	v_fmac_f64_e32 v[96:97], v[46:47], v[52:53]
	;; [unrolled: 2-line block ×8, first 2 shown]
	ds_load_b128 v[44:47], v43 offset:48
	ds_load_b128 v[48:51], v43 offset:2096
	;; [unrolled: 1-line block ×4, first 2 shown]
	v_fma_f64 v[118:119], v[76:77], v[80:81], -v[118:119]
	v_fmac_f64_e32 v[120:121], v[78:79], v[80:81]
	v_fma_f64 v[76:77], v[76:77], v[84:85], -v[122:123]
	v_fmac_f64_e32 v[124:125], v[78:79], v[84:85]
	;; [unrolled: 2-line block ×4, first 2 shown]
	v_add_f64_e32 v[2:3], v[36:37], v[2:3]
	v_add_f64_e32 v[68:69], v[92:93], v[38:39]
	v_add_f64_e32 v[72:73], v[32:33], v[94:95]
	v_add_f64_e32 v[74:75], v[96:97], v[34:35]
	v_add_f64_e32 v[92:93], v[24:25], v[98:99]
	v_add_f64_e32 v[94:95], v[100:101], v[26:27]
	v_add_f64_e32 v[96:97], v[20:21], v[116:117]
	v_add_f64_e32 v[98:99], v[102:103], v[22:23]
	s_wait_dscnt 0x1
	v_mul_f64_e32 v[100:101], v[46:47], v[54:55]
	v_mul_f64_e32 v[102:103], v[44:45], v[54:55]
	s_wait_dscnt 0x0
	v_mul_f64_e32 v[108:109], v[46:47], v[58:59]
	v_mul_f64_e32 v[112:113], v[44:45], v[58:59]
	;; [unrolled: 1-line block ×6, first 2 shown]
	ds_load_b128 v[20:23], v43 offset:64
	ds_load_b128 v[24:27], v42 offset:2048
	;; [unrolled: 1-line block ×4, first 2 shown]
	v_add_f64_e32 v[2:3], v[2:3], v[104:105]
	v_add_f64_e32 v[84:85], v[106:107], v[68:69]
	;; [unrolled: 1-line block ×8, first 2 shown]
	s_wait_dscnt 0x2
	v_mul_f64_e32 v[98:99], v[22:23], v[26:27]
	v_mul_f64_e32 v[104:105], v[20:21], v[26:27]
	s_wait_dscnt 0x1
	v_mul_f64_e32 v[106:107], v[22:23], v[34:35]
	v_mul_f64_e32 v[110:111], v[20:21], v[34:35]
	;; [unrolled: 3-line block ×3, first 2 shown]
	v_mul_f64_e32 v[26:27], v[38:39], v[34:35]
	v_mul_f64_e32 v[128:129], v[36:37], v[34:35]
	v_fma_f64 v[34:35], v[44:45], v[52:53], -v[100:101]
	v_fmac_f64_e32 v[102:103], v[46:47], v[52:53]
	v_fma_f64 v[100:101], v[44:45], v[56:57], -v[108:109]
	v_fmac_f64_e32 v[112:113], v[46:47], v[56:57]
	;; [unrolled: 2-line block ×4, first 2 shown]
	ds_load_b128 v[58:61], v43 offset:80
	ds_load_b128 v[62:65], v43 offset:2128
	;; [unrolled: 1-line block ×4, first 2 shown]
	v_add_f64_e32 v[2:3], v[2:3], v[118:119]
	v_add_f64_e32 v[56:57], v[120:121], v[84:85]
	;; [unrolled: 1-line block ×8, first 2 shown]
	v_fma_f64 v[98:99], v[20:21], v[24:25], -v[98:99]
	v_fmac_f64_e32 v[104:105], v[22:23], v[24:25]
	v_fma_f64 v[106:107], v[20:21], v[32:33], -v[106:107]
	s_wait_dscnt 0x1
	v_mul_f64_e32 v[90:91], v[60:61], v[68:69]
	v_mul_f64_e32 v[92:93], v[58:59], v[68:69]
	s_wait_dscnt 0x0
	v_mul_f64_e32 v[94:95], v[60:61], v[72:73]
	v_mul_f64_e32 v[96:97], v[58:59], v[72:73]
	;; [unrolled: 1-line block ×6, first 2 shown]
	v_fmac_f64_e32 v[110:111], v[22:23], v[32:33]
	v_fma_f64 v[122:123], v[36:37], v[24:25], -v[122:123]
	v_fmac_f64_e32 v[126:127], v[38:39], v[24:25]
	v_fma_f64 v[124:125], v[36:37], v[32:33], -v[26:27]
	v_fmac_f64_e32 v[128:129], v[38:39], v[32:33]
	ds_load_b128 v[44:47], v43 offset:96
	ds_load_b128 v[48:51], v42 offset:3072
	;; [unrolled: 1-line block ×4, first 2 shown]
	v_add_f64_e32 v[2:3], v[2:3], v[34:35]
	v_add_f64_e32 v[56:57], v[102:103], v[56:57]
	;; [unrolled: 1-line block ×8, first 2 shown]
	ds_load_b128 v[20:23], v43 offset:112
	ds_load_b128 v[24:27], v43 offset:2160
	;; [unrolled: 1-line block ×4, first 2 shown]
	s_wait_dscnt 0x0
	v_mul_f64_e32 v[100:101], v[46:47], v[50:51]
	v_mul_f64_e32 v[102:103], v[44:45], v[50:51]
	;; [unrolled: 1-line block ×8, first 2 shown]
	v_fma_f64 v[90:91], v[58:59], v[66:67], -v[90:91]
	v_fmac_f64_e32 v[92:93], v[60:61], v[66:67]
	v_fma_f64 v[58:59], v[58:59], v[70:71], -v[94:95]
	v_fmac_f64_e32 v[96:97], v[60:61], v[70:71]
	v_fma_f64 v[60:61], v[62:63], v[66:67], -v[118:119]
	v_fmac_f64_e32 v[68:69], v[64:65], v[66:67]
	v_fma_f64 v[62:63], v[62:63], v[70:71], -v[120:121]
	v_fmac_f64_e32 v[72:73], v[64:65], v[70:71]
	s_barrier_signal -1
	s_barrier_wait -1
	v_mul_f64_e32 v[94:95], v[20:21], v[38:39]
	v_add_f64_e32 v[2:3], v[2:3], v[98:99]
	v_add_f64_e32 v[56:57], v[104:105], v[56:57]
	;; [unrolled: 1-line block ×8, first 2 shown]
	v_mul_f64_e32 v[84:85], v[22:23], v[34:35]
	v_mul_f64_e32 v[86:87], v[20:21], v[34:35]
	;; [unrolled: 1-line block ×7, first 2 shown]
	v_fma_f64 v[38:39], v[44:45], v[48:49], -v[100:101]
	v_fmac_f64_e32 v[102:103], v[46:47], v[48:49]
	v_fma_f64 v[44:45], v[44:45], v[52:53], -v[108:109]
	v_fmac_f64_e32 v[112:113], v[46:47], v[52:53]
	;; [unrolled: 2-line block ×4, first 2 shown]
	v_fmac_f64_e32 v[94:95], v[22:23], v[36:37]
	v_add_f64_e32 v[2:3], v[2:3], v[90:91]
	v_add_f64_e32 v[52:53], v[92:93], v[56:57]
	;; [unrolled: 1-line block ×8, first 2 shown]
	v_fma_f64 v[68:69], v[20:21], v[32:33], -v[84:85]
	v_fmac_f64_e32 v[86:87], v[22:23], v[32:33]
	v_fma_f64 v[20:21], v[20:21], v[36:37], -v[88:89]
	v_fma_f64 v[22:23], v[24:25], v[32:33], -v[98:99]
	v_fmac_f64_e32 v[104:105], v[26:27], v[32:33]
	v_fma_f64 v[70:71], v[24:25], v[36:37], -v[34:35]
	v_fmac_f64_e32 v[106:107], v[26:27], v[36:37]
	v_add_f64_e32 v[2:3], v[2:3], v[38:39]
	v_add_f64_e32 v[24:25], v[102:103], v[52:53]
	;; [unrolled: 1-line block ×16, first 2 shown]
	s_cbranch_scc0 .LBB414_18
.LBB414_10:                             ;   Parent Loop BB414_7 Depth=1
                                        ; =>  This Inner Loop Header: Depth=2
	s_wait_xcnt 0x2
	v_add_nc_u32_e32 v1, s23, v6
	s_delay_alu instid0(VALU_DEP_1) | instskip(SKIP_3) | instid1(SALU_CYCLE_1)
	v_cmp_le_i32_e32 vcc_lo, s25, v1
	s_or_b32 s24, s17, vcc_lo
	s_wait_xcnt 0x0
	s_and_saveexec_b32 s30, s24
	s_xor_b32 s24, exec_lo, s30
; %bb.11:                               ;   in Loop: Header=BB414_10 Depth=2
	v_dual_mov_b32 v1, v0 :: v_dual_mov_b32 v2, v0
	v_mov_b32_e32 v3, v0
	ds_store_b128 v7, v[0:3]
; %bb.12:                               ;   in Loop: Header=BB414_10 Depth=2
	s_and_not1_saveexec_b32 s24, s24
	s_cbranch_execz .LBB414_14
; %bb.13:                               ;   in Loop: Header=BB414_10 Depth=2
	flat_load_b128 v[44:47], v[28:29]
	s_wait_loadcnt_dscnt 0x0
	ds_store_2addr_b64 v7, v[44:45], v[46:47] offset1:1
.LBB414_14:                             ;   in Loop: Header=BB414_10 Depth=2
	s_wait_xcnt 0x0
	s_or_b32 exec_lo, exec_lo, s24
	v_add_nc_u32_e32 v1, s23, v40
	s_delay_alu instid0(VALU_DEP_1) | instskip(SKIP_1) | instid1(SALU_CYCLE_1)
	v_cmp_le_i32_e32 vcc_lo, s25, v1
	s_or_b32 s24, vcc_lo, s22
	s_and_saveexec_b32 s30, s24
	s_delay_alu instid0(SALU_CYCLE_1)
	s_xor_b32 s24, exec_lo, s30
; %bb.15:                               ;   in Loop: Header=BB414_10 Depth=2
	v_dual_mov_b32 v1, v0 :: v_dual_mov_b32 v2, v0
	v_mov_b32_e32 v3, v0
	ds_store_b128 v41, v[0:3]
; %bb.16:                               ;   in Loop: Header=BB414_10 Depth=2
	s_and_not1_saveexec_b32 s24, s24
	s_cbranch_execz .LBB414_9
; %bb.17:                               ;   in Loop: Header=BB414_10 Depth=2
	flat_load_b128 v[44:47], v[30:31]
	s_wait_loadcnt_dscnt 0x0
	ds_store_2addr_b64 v41, v[44:45], v[46:47] offset1:1
	s_branch .LBB414_9
.LBB414_18:                             ;   in Loop: Header=BB414_7 Depth=1
	s_wait_loadcnt 0x0
	v_add_nc_u64_e32 v[28:29], s[0:1], v[4:5]
	s_delay_alu instid0(VALU_DEP_1)
	v_lshl_add_u64 v[30:31], v[10:11], 4, v[28:29]
	s_wait_xcnt 0x0
	s_and_saveexec_b32 s23, s29
	s_cbranch_execz .LBB414_23
; %bb.19:                               ;   in Loop: Header=BB414_7 Depth=1
	v_mul_f64_e32 v[2:3], s[14:15], v[38:39]
	v_mul_f64_e32 v[4:5], s[12:13], v[38:39]
	s_and_b32 vcc_lo, exec_lo, s28
	s_mov_b32 s24, -1
	s_delay_alu instid0(VALU_DEP_2) | instskip(NEXT) | instid1(VALU_DEP_2)
	v_fma_f64 v[2:3], s[12:13], v[36:37], -v[2:3]
	v_fmac_f64_e32 v[4:5], s[14:15], v[36:37]
	v_lshl_add_u64 v[36:37], v[8:9], 4, v[30:31]
	s_cbranch_vccz .LBB414_21
; %bb.20:                               ;   in Loop: Header=BB414_7 Depth=1
	flat_load_b128 v[44:47], v[36:37]
	s_mov_b32 s24, 0
	s_wait_loadcnt_dscnt 0x0
	v_mul_f64_e32 v[38:39], s[8:9], v[46:47]
	v_mul_f64_e32 v[46:47], s[6:7], v[46:47]
	s_delay_alu instid0(VALU_DEP_2) | instskip(NEXT) | instid1(VALU_DEP_2)
	v_fma_f64 v[38:39], s[6:7], v[44:45], -v[38:39]
	v_fmac_f64_e32 v[46:47], s[8:9], v[44:45]
	s_delay_alu instid0(VALU_DEP_2) | instskip(NEXT) | instid1(VALU_DEP_2)
	v_add_f64_e32 v[44:45], v[2:3], v[38:39]
	v_add_f64_e32 v[46:47], v[4:5], v[46:47]
	flat_store_b128 v[36:37], v[44:47]
.LBB414_21:                             ;   in Loop: Header=BB414_7 Depth=1
	s_and_not1_b32 vcc_lo, exec_lo, s24
	s_cbranch_vccnz .LBB414_23
; %bb.22:                               ;   in Loop: Header=BB414_7 Depth=1
	flat_store_b128 v[36:37], v[2:5]
.LBB414_23:                             ;   in Loop: Header=BB414_7 Depth=1
	s_wait_xcnt 0x0
	s_or_b32 exec_lo, exec_lo, s23
	s_and_saveexec_b32 s23, s34
	s_cbranch_execz .LBB414_28
; %bb.24:                               ;   in Loop: Header=BB414_7 Depth=1
	v_mul_f64_e32 v[2:3], s[14:15], v[34:35]
	v_mul_f64_e32 v[4:5], s[12:13], v[34:35]
	v_lshl_add_u64 v[30:31], v[12:13], 4, v[30:31]
	s_and_not1_b32 vcc_lo, exec_lo, s28
	s_mov_b32 s24, -1
	s_delay_alu instid0(VALU_DEP_3) | instskip(NEXT) | instid1(VALU_DEP_3)
	v_fma_f64 v[2:3], s[12:13], v[32:33], -v[2:3]
	v_fmac_f64_e32 v[4:5], s[14:15], v[32:33]
	s_cbranch_vccnz .LBB414_26
; %bb.25:                               ;   in Loop: Header=BB414_7 Depth=1
	flat_load_b128 v[32:35], v[30:31]
	s_mov_b32 s24, 0
	s_wait_loadcnt_dscnt 0x0
	v_mul_f64_e32 v[36:37], s[8:9], v[34:35]
	v_mul_f64_e32 v[34:35], s[6:7], v[34:35]
	s_delay_alu instid0(VALU_DEP_2) | instskip(NEXT) | instid1(VALU_DEP_2)
	v_fma_f64 v[36:37], s[6:7], v[32:33], -v[36:37]
	v_fmac_f64_e32 v[34:35], s[8:9], v[32:33]
	s_delay_alu instid0(VALU_DEP_2) | instskip(NEXT) | instid1(VALU_DEP_2)
	v_add_f64_e32 v[32:33], v[2:3], v[36:37]
	v_add_f64_e32 v[34:35], v[4:5], v[34:35]
	flat_store_b128 v[30:31], v[32:35]
.LBB414_26:                             ;   in Loop: Header=BB414_7 Depth=1
	s_and_not1_b32 vcc_lo, exec_lo, s24
	s_cbranch_vccnz .LBB414_28
; %bb.27:                               ;   in Loop: Header=BB414_7 Depth=1
	flat_store_b128 v[30:31], v[2:5]
.LBB414_28:                             ;   in Loop: Header=BB414_7 Depth=1
	s_wait_xcnt 0x0
	s_or_b32 exec_lo, exec_lo, s23
	v_lshl_add_u64 v[28:29], v[14:15], 4, v[28:29]
	s_and_saveexec_b32 s23, s4
	s_cbranch_execz .LBB414_33
; %bb.29:                               ;   in Loop: Header=BB414_7 Depth=1
	v_mul_f64_e32 v[2:3], s[14:15], v[26:27]
	v_mul_f64_e32 v[4:5], s[12:13], v[26:27]
	s_and_not1_b32 vcc_lo, exec_lo, s28
	s_mov_b32 s24, -1
	s_delay_alu instid0(VALU_DEP_2) | instskip(NEXT) | instid1(VALU_DEP_2)
	v_fma_f64 v[2:3], s[12:13], v[24:25], -v[2:3]
	v_fmac_f64_e32 v[4:5], s[14:15], v[24:25]
	v_lshl_add_u64 v[24:25], v[8:9], 4, v[28:29]
	s_cbranch_vccnz .LBB414_31
; %bb.30:                               ;   in Loop: Header=BB414_7 Depth=1
	flat_load_b128 v[30:33], v[24:25]
	s_mov_b32 s24, 0
	s_wait_loadcnt_dscnt 0x0
	v_mul_f64_e32 v[26:27], s[8:9], v[32:33]
	v_mul_f64_e32 v[32:33], s[6:7], v[32:33]
	s_delay_alu instid0(VALU_DEP_2) | instskip(NEXT) | instid1(VALU_DEP_2)
	v_fma_f64 v[26:27], s[6:7], v[30:31], -v[26:27]
	v_fmac_f64_e32 v[32:33], s[8:9], v[30:31]
	s_delay_alu instid0(VALU_DEP_2) | instskip(NEXT) | instid1(VALU_DEP_2)
	v_add_f64_e32 v[30:31], v[2:3], v[26:27]
	v_add_f64_e32 v[32:33], v[4:5], v[32:33]
	flat_store_b128 v[24:25], v[30:33]
.LBB414_31:                             ;   in Loop: Header=BB414_7 Depth=1
	s_and_not1_b32 vcc_lo, exec_lo, s24
	s_cbranch_vccnz .LBB414_33
; %bb.32:                               ;   in Loop: Header=BB414_7 Depth=1
	flat_store_b128 v[24:25], v[2:5]
.LBB414_33:                             ;   in Loop: Header=BB414_7 Depth=1
	s_wait_xcnt 0x0
	s_or_b32 exec_lo, exec_lo, s23
	s_and_saveexec_b32 s23, s5
	s_cbranch_execz .LBB414_6
; %bb.34:                               ;   in Loop: Header=BB414_7 Depth=1
	s_delay_alu instid0(VALU_DEP_4) | instskip(SKIP_3) | instid1(VALU_DEP_2)
	v_mul_f64_e32 v[2:3], s[14:15], v[22:23]
	v_mul_f64_e32 v[4:5], s[12:13], v[22:23]
	s_and_not1_b32 vcc_lo, exec_lo, s28
	s_mov_b32 s24, -1
	v_fma_f64 v[2:3], s[12:13], v[20:21], -v[2:3]
	s_delay_alu instid0(VALU_DEP_2)
	v_fmac_f64_e32 v[4:5], s[14:15], v[20:21]
	v_lshl_add_u64 v[20:21], v[12:13], 4, v[28:29]
	s_cbranch_vccnz .LBB414_36
; %bb.35:                               ;   in Loop: Header=BB414_7 Depth=1
	flat_load_b128 v[22:25], v[20:21]
	s_mov_b32 s24, 0
	s_wait_loadcnt_dscnt 0x0
	v_mul_f64_e32 v[26:27], s[8:9], v[24:25]
	v_mul_f64_e32 v[24:25], s[6:7], v[24:25]
	s_delay_alu instid0(VALU_DEP_2) | instskip(NEXT) | instid1(VALU_DEP_2)
	v_fma_f64 v[26:27], s[6:7], v[22:23], -v[26:27]
	v_fmac_f64_e32 v[24:25], s[8:9], v[22:23]
	s_delay_alu instid0(VALU_DEP_2) | instskip(NEXT) | instid1(VALU_DEP_2)
	v_add_f64_e32 v[22:23], v[2:3], v[26:27]
	v_add_f64_e32 v[24:25], v[4:5], v[24:25]
	flat_store_b128 v[20:21], v[22:25]
.LBB414_36:                             ;   in Loop: Header=BB414_7 Depth=1
	s_and_not1_b32 vcc_lo, exec_lo, s24
	s_cbranch_vccnz .LBB414_6
; %bb.37:                               ;   in Loop: Header=BB414_7 Depth=1
	flat_store_b128 v[20:21], v[2:5]
	s_branch .LBB414_6
.LBB414_38:
.LBB414_39:
	s_sendmsg sendmsg(MSG_DEALLOC_VGPRS)
	s_endpgm
	.section	.rodata,"a",@progbits
	.p2align	6, 0x0
	.amdhsa_kernel _ZL29rocblas_internal_gemmt_kernelIiLi16ELi32ELi8ELc78ELc78ELc85ELb0ELb0E19rocblas_complex_numIdES1_PKPKS1_PKPS1_EviT_T9_T10_S9_lSB_S9_lSA_T11_S9_li
		.amdhsa_group_segment_fixed_size 8192
		.amdhsa_private_segment_fixed_size 0
		.amdhsa_kernarg_size 116
		.amdhsa_user_sgpr_count 2
		.amdhsa_user_sgpr_dispatch_ptr 0
		.amdhsa_user_sgpr_queue_ptr 0
		.amdhsa_user_sgpr_kernarg_segment_ptr 1
		.amdhsa_user_sgpr_dispatch_id 0
		.amdhsa_user_sgpr_kernarg_preload_length 0
		.amdhsa_user_sgpr_kernarg_preload_offset 0
		.amdhsa_user_sgpr_private_segment_size 0
		.amdhsa_wavefront_size32 1
		.amdhsa_uses_dynamic_stack 0
		.amdhsa_enable_private_segment 0
		.amdhsa_system_sgpr_workgroup_id_x 1
		.amdhsa_system_sgpr_workgroup_id_y 1
		.amdhsa_system_sgpr_workgroup_id_z 1
		.amdhsa_system_sgpr_workgroup_info 0
		.amdhsa_system_vgpr_workitem_id 1
		.amdhsa_next_free_vgpr 132
		.amdhsa_next_free_sgpr 41
		.amdhsa_named_barrier_count 0
		.amdhsa_reserve_vcc 1
		.amdhsa_float_round_mode_32 0
		.amdhsa_float_round_mode_16_64 0
		.amdhsa_float_denorm_mode_32 3
		.amdhsa_float_denorm_mode_16_64 3
		.amdhsa_fp16_overflow 0
		.amdhsa_memory_ordered 1
		.amdhsa_forward_progress 1
		.amdhsa_inst_pref_size 24
		.amdhsa_round_robin_scheduling 0
		.amdhsa_exception_fp_ieee_invalid_op 0
		.amdhsa_exception_fp_denorm_src 0
		.amdhsa_exception_fp_ieee_div_zero 0
		.amdhsa_exception_fp_ieee_overflow 0
		.amdhsa_exception_fp_ieee_underflow 0
		.amdhsa_exception_fp_ieee_inexact 0
		.amdhsa_exception_int_div_zero 0
	.end_amdhsa_kernel
	.section	.text._ZL29rocblas_internal_gemmt_kernelIiLi16ELi32ELi8ELc78ELc78ELc85ELb0ELb0E19rocblas_complex_numIdES1_PKPKS1_PKPS1_EviT_T9_T10_S9_lSB_S9_lSA_T11_S9_li,"axG",@progbits,_ZL29rocblas_internal_gemmt_kernelIiLi16ELi32ELi8ELc78ELc78ELc85ELb0ELb0E19rocblas_complex_numIdES1_PKPKS1_PKPS1_EviT_T9_T10_S9_lSB_S9_lSA_T11_S9_li,comdat
.Lfunc_end414:
	.size	_ZL29rocblas_internal_gemmt_kernelIiLi16ELi32ELi8ELc78ELc78ELc85ELb0ELb0E19rocblas_complex_numIdES1_PKPKS1_PKPS1_EviT_T9_T10_S9_lSB_S9_lSA_T11_S9_li, .Lfunc_end414-_ZL29rocblas_internal_gemmt_kernelIiLi16ELi32ELi8ELc78ELc78ELc85ELb0ELb0E19rocblas_complex_numIdES1_PKPKS1_PKPS1_EviT_T9_T10_S9_lSB_S9_lSA_T11_S9_li
                                        ; -- End function
	.set _ZL29rocblas_internal_gemmt_kernelIiLi16ELi32ELi8ELc78ELc78ELc85ELb0ELb0E19rocblas_complex_numIdES1_PKPKS1_PKPS1_EviT_T9_T10_S9_lSB_S9_lSA_T11_S9_li.num_vgpr, 132
	.set _ZL29rocblas_internal_gemmt_kernelIiLi16ELi32ELi8ELc78ELc78ELc85ELb0ELb0E19rocblas_complex_numIdES1_PKPKS1_PKPS1_EviT_T9_T10_S9_lSB_S9_lSA_T11_S9_li.num_agpr, 0
	.set _ZL29rocblas_internal_gemmt_kernelIiLi16ELi32ELi8ELc78ELc78ELc85ELb0ELb0E19rocblas_complex_numIdES1_PKPKS1_PKPS1_EviT_T9_T10_S9_lSB_S9_lSA_T11_S9_li.numbered_sgpr, 41
	.set _ZL29rocblas_internal_gemmt_kernelIiLi16ELi32ELi8ELc78ELc78ELc85ELb0ELb0E19rocblas_complex_numIdES1_PKPKS1_PKPS1_EviT_T9_T10_S9_lSB_S9_lSA_T11_S9_li.num_named_barrier, 0
	.set _ZL29rocblas_internal_gemmt_kernelIiLi16ELi32ELi8ELc78ELc78ELc85ELb0ELb0E19rocblas_complex_numIdES1_PKPKS1_PKPS1_EviT_T9_T10_S9_lSB_S9_lSA_T11_S9_li.private_seg_size, 0
	.set _ZL29rocblas_internal_gemmt_kernelIiLi16ELi32ELi8ELc78ELc78ELc85ELb0ELb0E19rocblas_complex_numIdES1_PKPKS1_PKPS1_EviT_T9_T10_S9_lSB_S9_lSA_T11_S9_li.uses_vcc, 1
	.set _ZL29rocblas_internal_gemmt_kernelIiLi16ELi32ELi8ELc78ELc78ELc85ELb0ELb0E19rocblas_complex_numIdES1_PKPKS1_PKPS1_EviT_T9_T10_S9_lSB_S9_lSA_T11_S9_li.uses_flat_scratch, 0
	.set _ZL29rocblas_internal_gemmt_kernelIiLi16ELi32ELi8ELc78ELc78ELc85ELb0ELb0E19rocblas_complex_numIdES1_PKPKS1_PKPS1_EviT_T9_T10_S9_lSB_S9_lSA_T11_S9_li.has_dyn_sized_stack, 0
	.set _ZL29rocblas_internal_gemmt_kernelIiLi16ELi32ELi8ELc78ELc78ELc85ELb0ELb0E19rocblas_complex_numIdES1_PKPKS1_PKPS1_EviT_T9_T10_S9_lSB_S9_lSA_T11_S9_li.has_recursion, 0
	.set _ZL29rocblas_internal_gemmt_kernelIiLi16ELi32ELi8ELc78ELc78ELc85ELb0ELb0E19rocblas_complex_numIdES1_PKPKS1_PKPS1_EviT_T9_T10_S9_lSB_S9_lSA_T11_S9_li.has_indirect_call, 0
	.section	.AMDGPU.csdata,"",@progbits
; Kernel info:
; codeLenInByte = 2980
; TotalNumSgprs: 43
; NumVgprs: 132
; ScratchSize: 0
; MemoryBound: 0
; FloatMode: 240
; IeeeMode: 1
; LDSByteSize: 8192 bytes/workgroup (compile time only)
; SGPRBlocks: 0
; VGPRBlocks: 8
; NumSGPRsForWavesPerEU: 43
; NumVGPRsForWavesPerEU: 132
; NamedBarCnt: 0
; Occupancy: 7
; WaveLimiterHint : 1
; COMPUTE_PGM_RSRC2:SCRATCH_EN: 0
; COMPUTE_PGM_RSRC2:USER_SGPR: 2
; COMPUTE_PGM_RSRC2:TRAP_HANDLER: 0
; COMPUTE_PGM_RSRC2:TGID_X_EN: 1
; COMPUTE_PGM_RSRC2:TGID_Y_EN: 1
; COMPUTE_PGM_RSRC2:TGID_Z_EN: 1
; COMPUTE_PGM_RSRC2:TIDIG_COMP_CNT: 1
	.section	.text._ZL29rocblas_internal_gemmt_kernelIiLi16ELi32ELi8ELc78ELc84ELc85ELb0ELb0E19rocblas_complex_numIdES1_PKPKS1_PKPS1_EviT_T9_T10_S9_lSB_S9_lSA_T11_S9_li,"axG",@progbits,_ZL29rocblas_internal_gemmt_kernelIiLi16ELi32ELi8ELc78ELc84ELc85ELb0ELb0E19rocblas_complex_numIdES1_PKPKS1_PKPS1_EviT_T9_T10_S9_lSB_S9_lSA_T11_S9_li,comdat
	.globl	_ZL29rocblas_internal_gemmt_kernelIiLi16ELi32ELi8ELc78ELc84ELc85ELb0ELb0E19rocblas_complex_numIdES1_PKPKS1_PKPS1_EviT_T9_T10_S9_lSB_S9_lSA_T11_S9_li ; -- Begin function _ZL29rocblas_internal_gemmt_kernelIiLi16ELi32ELi8ELc78ELc84ELc85ELb0ELb0E19rocblas_complex_numIdES1_PKPKS1_PKPS1_EviT_T9_T10_S9_lSB_S9_lSA_T11_S9_li
	.p2align	8
	.type	_ZL29rocblas_internal_gemmt_kernelIiLi16ELi32ELi8ELc78ELc84ELc85ELb0ELb0E19rocblas_complex_numIdES1_PKPKS1_PKPS1_EviT_T9_T10_S9_lSB_S9_lSA_T11_S9_li,@function
_ZL29rocblas_internal_gemmt_kernelIiLi16ELi32ELi8ELc78ELc84ELc85ELb0ELb0E19rocblas_complex_numIdES1_PKPKS1_PKPS1_EviT_T9_T10_S9_lSB_S9_lSA_T11_S9_li: ; @_ZL29rocblas_internal_gemmt_kernelIiLi16ELi32ELi8ELc78ELc84ELc85ELb0ELb0E19rocblas_complex_numIdES1_PKPKS1_PKPS1_EviT_T9_T10_S9_lSB_S9_lSA_T11_S9_li
; %bb.0:
	s_clause 0x2
	s_load_b256 s[4:11], s[0:1], 0x40
	s_load_b64 s[24:25], s[0:1], 0x0
	s_load_b128 s[12:15], s[0:1], 0x8
	s_wait_kmcnt 0x0
	v_cmp_eq_f64_e64 s2, s[6:7], 1.0
	v_cmp_eq_f64_e64 s34, s[8:9], 0
	s_and_b32 s2, s2, s34
	s_delay_alu instid0(SALU_CYCLE_1)
	s_and_not1_b32 vcc_lo, exec_lo, s2
	s_mov_b32 s2, -1
	s_cbranch_vccnz .LBB415_3
; %bb.1:
	s_cmp_lg_u32 s25, 0
	s_cbranch_scc0 .LBB415_38
; %bb.2:
	v_cmp_neq_f64_e64 s2, s[12:13], 0
	v_cmp_neq_f64_e64 s3, s[14:15], 0
	s_or_b32 s2, s2, s3
.LBB415_3:
	s_delay_alu instid0(SALU_CYCLE_1)
	s_and_b32 vcc_lo, exec_lo, s2
	s_cbranch_vccz .LBB415_39
; %bb.4:
	s_load_b32 s33, s[0:1], 0x70
	s_bfe_u32 s2, ttmp6, 0x40014
	s_lshr_b32 s3, ttmp7, 16
	s_add_co_i32 s2, s2, 1
	s_bfe_u32 s16, ttmp6, 0x40008
	s_mul_i32 s2, s3, s2
	s_getreg_b32 s35, hwreg(HW_REG_IB_STS2, 6, 4)
	s_add_co_i32 s16, s16, s2
	s_cmp_eq_u32 s35, 0
	s_mov_b32 s27, 0
	s_cselect_b32 s26, s3, s16
	s_wait_kmcnt 0x0
	s_cmp_ge_u32 s26, s33
	s_cbranch_scc1 .LBB415_39
; %bb.5:
	s_clause 0x4
	s_load_b96 s[20:22], s[0:1], 0x18
	s_load_b32 s28, s[0:1], 0x38
	s_load_b32 s2, s[0:1], 0x60
	s_load_b128 s[16:19], s[0:1], 0x28
	s_load_b64 s[30:31], s[0:1], 0x68
	s_wait_xcnt 0x0
	s_bfe_u32 s1, ttmp6, 0x4000c
	s_bfe_u32 s38, ttmp6, 0x40010
	v_and_b32_e32 v1, 0x3ff, v0
	v_bfe_u32 v3, v0, 10, 10
	s_add_co_i32 s1, s1, 1
	s_and_b32 s39, ttmp7, 0xffff
	s_add_co_i32 s38, s38, 1
	s_and_b32 s0, ttmp6, 15
	s_mul_i32 s1, ttmp9, s1
	s_mul_i32 s38, s39, s38
	s_bfe_u32 s40, ttmp6, 0x40004
	v_and_b32_e32 v6, 7, v0
	v_lshl_add_u32 v0, v3, 4, v1
	s_add_co_i32 s0, s0, s1
	s_add_co_i32 s40, s40, s38
	v_cmp_neq_f64_e64 s36, s[12:13], 0
	s_wait_kmcnt 0x0
	s_ashr_i32 s23, s22, 31
	s_ashr_i32 s29, s28, 31
	;; [unrolled: 1-line block ×3, first 2 shown]
	s_cmp_eq_u32 s35, 0
	v_lshrrev_b32_e32 v8, 5, v0
	s_cselect_b32 s0, ttmp9, s0
	v_dual_lshrrev_b32 v5, 3, v0 :: v_dual_bitop2_b32 v10, 31, v0 bitop3:0x40
	s_cselect_b32 s1, s39, s40
	s_lshl_b32 s35, s0, 5
	v_mov_b32_e32 v0, 0
	s_lshl_b32 s0, s1, 5
	v_cmp_neq_f64_e64 s37, s[14:15], 0
	v_dual_add_nc_u32 v20, s0, v3 :: v_dual_bitop2_b32 v2, s35, v10 bitop3:0x54
	s_delay_alu instid0(VALU_DEP_3) | instskip(SKIP_3) | instid1(VALU_DEP_4)
	v_dual_mov_b32 v9, v0 :: v_dual_add_nc_u32 v4, s0, v5
	v_mov_b32_e32 v7, v0
	v_cmp_neq_f64_e64 s38, s[6:7], 0
	v_lshl_add_u32 v43, v3, 7, 0x1000
	v_mul_u64_e32 v[18:19], s[22:23], v[8:9]
	v_lshlrev_b32_e32 v9, 4, v10
	v_lshlrev_b32_e32 v10, 4, v6
	v_mul_u64_e32 v[22:23], s[28:29], v[6:7]
	v_dual_add_nc_u32 v24, 16, v20 :: v_dual_ashrrev_i32 v21, 31, v20
	s_delay_alu instid0(VALU_DEP_4) | instskip(NEXT) | instid1(VALU_DEP_4)
	v_lshl_or_b32 v7, v8, 9, v9
	v_lshl_or_b32 v5, v5, 7, v10
	s_delay_alu instid0(VALU_DEP_3) | instskip(NEXT) | instid1(VALU_DEP_4)
	v_dual_add_nc_u32 v10, s35, v1 :: v_dual_ashrrev_i32 v25, 31, v24
	v_mul_u64_e32 v[12:13], s[2:3], v[20:21]
	v_cmp_gt_i32_e64 s1, s24, v20
	s_delay_alu instid0(VALU_DEP_4) | instskip(NEXT) | instid1(VALU_DEP_4)
	v_add_nc_u32_e32 v9, 0x1000, v5
	v_dual_ashrrev_i32 v5, 31, v4 :: v_dual_add_nc_u32 v14, 16, v10
	v_mul_u64_e32 v[16:17], s[2:3], v[24:25]
	v_cmp_le_i32_e64 s2, v10, v20
	v_ashrrev_i32_e32 v3, 31, v2
	v_cmp_gt_i32_e32 vcc_lo, s24, v2
	v_cmp_le_i32_e64 s3, v14, v20
	v_cmp_gt_i32_e64 s0, s24, v4
	v_dual_lshlrev_b32 v42, 4, v1 :: v_dual_ashrrev_i32 v11, 31, v10
	v_ashrrev_i32_e32 v15, 31, v14
	s_or_b32 s37, s36, s37
	s_cmp_gt_i32 s25, 0
	s_cselect_b32 s39, -1, 0
	s_lshl_b64 s[16:17], s[16:17], 4
	s_lshl_b64 s[4:5], s[4:5], 4
	s_and_b32 s35, s1, s2
	s_and_b32 s36, s1, s3
	v_lshl_add_u64 v[18:19], v[18:19], 4, s[16:17]
	v_cmp_gt_i32_e64 s1, s24, v24
	v_cmp_le_i32_e64 s2, v10, v24
	v_lshl_add_u64 v[20:21], v[22:23], 4, s[4:5]
	v_cmp_le_i32_e64 s3, v14, v24
	v_lshl_add_u64 v[18:19], v[2:3], 4, v[18:19]
	s_xor_b32 s34, s34, -1
	s_and_b32 s16, s1, s2
	v_lshl_add_u64 v[20:21], v[4:5], 4, v[20:21]
	s_or_b32 s34, s38, s34
	s_and_b32 s17, s1, s3
	s_lshl_b64 s[2:3], s[22:23], 7
	s_lshl_b64 s[4:5], s[28:29], 7
	s_and_b32 s22, s37, s39
	s_xor_b32 s23, vcc_lo, -1
	s_xor_b32 s24, s0, -1
	s_lshl_b64 s[0:1], s[30:31], 4
	s_branch .LBB415_7
.LBB415_6:                              ;   in Loop: Header=BB415_7 Depth=1
	s_wait_xcnt 0x0
	s_or_b32 exec_lo, exec_lo, s28
	s_add_co_i32 s26, s26, 0x10000
	s_delay_alu instid0(SALU_CYCLE_1)
	s_cmp_lt_u32 s26, s33
	s_cbranch_scc0 .LBB415_39
.LBB415_7:                              ; =>This Loop Header: Depth=1
                                        ;     Child Loop BB415_10 Depth 2
	v_mov_b32_e32 v1, s26
	v_mov_b64_e32 v[38:39], 0
	v_mov_b64_e32 v[40:41], 0
	;; [unrolled: 1-line block ×4, first 2 shown]
	global_load_b64 v[4:5], v1, s[10:11] scale_offset
	v_mov_b64_e32 v[26:27], 0
	v_mov_b64_e32 v[28:29], 0
	;; [unrolled: 1-line block ×4, first 2 shown]
	s_and_not1_b32 vcc_lo, exec_lo, s22
	s_cbranch_vccnz .LBB415_18
; %bb.8:                                ;   in Loop: Header=BB415_7 Depth=1
	s_lshl_b64 s[28:29], s[26:27], 3
	v_mov_b64_e32 v[24:25], 0
	s_add_nc_u64 s[30:31], s[20:21], s[28:29]
	s_add_nc_u64 s[28:29], s[18:19], s[28:29]
	s_clause 0x1
	global_load_b64 v[2:3], v0, s[30:31]
	global_load_b64 v[32:33], v0, s[28:29]
	v_mov_b64_e32 v[22:23], 0
	v_mov_b64_e32 v[28:29], 0
	v_mov_b64_e32 v[26:27], 0
	v_mov_b64_e32 v[36:37], 0
	v_mov_b64_e32 v[34:35], 0
	v_mov_b64_e32 v[40:41], 0
	v_mov_b64_e32 v[38:39], 0
	s_wait_xcnt 0x0
	s_mov_b32 s28, 0
	s_wait_loadcnt 0x1
	v_add_nc_u64_e32 v[30:31], v[2:3], v[18:19]
	s_wait_loadcnt 0x0
	v_add_nc_u64_e32 v[32:33], v[32:33], v[20:21]
	s_branch .LBB415_10
.LBB415_9:                              ;   in Loop: Header=BB415_10 Depth=2
	s_wait_xcnt 0x0
	s_or_b32 exec_lo, exec_lo, s29
	s_wait_dscnt 0x0
	s_barrier_signal -1
	s_barrier_wait -1
	ds_load_b128 v[44:47], v43
	ds_load_b128 v[48:51], v42
	ds_load_b128 v[52:55], v42 offset:256
	ds_load_b128 v[56:59], v43 offset:2048
	;; [unrolled: 1-line block ×10, first 2 shown]
	v_add_nc_u64_e32 v[30:31], s[2:3], v[30:31]
	v_add_nc_u64_e32 v[32:33], s[4:5], v[32:33]
	s_add_co_i32 s28, s28, 8
	s_delay_alu instid0(SALU_CYCLE_1)
	s_cmp_lt_i32 s28, s25
	s_wait_dscnt 0xa
	v_mul_f64_e32 v[2:3], v[46:47], v[50:51]
	v_mul_f64_e32 v[92:93], v[44:45], v[50:51]
	s_wait_dscnt 0x9
	v_mul_f64_e32 v[94:95], v[46:47], v[54:55]
	v_mul_f64_e32 v[96:97], v[44:45], v[54:55]
	s_wait_dscnt 0x8
	v_mul_f64_e32 v[98:99], v[58:59], v[50:51]
	v_mul_f64_e32 v[100:101], v[56:57], v[50:51]
	v_mul_f64_e32 v[50:51], v[58:59], v[54:55]
	v_mul_f64_e32 v[102:103], v[56:57], v[54:55]
	s_wait_dscnt 0x6
	v_mul_f64_e32 v[104:105], v[62:63], v[66:67]
	v_mul_f64_e32 v[106:107], v[60:61], v[66:67]
	s_wait_dscnt 0x5
	v_mul_f64_e32 v[108:109], v[62:63], v[70:71]
	v_mul_f64_e32 v[110:111], v[60:61], v[70:71]
	s_wait_dscnt 0x4
	v_mul_f64_e32 v[112:113], v[74:75], v[66:67]
	v_mul_f64_e32 v[66:67], v[72:73], v[66:67]
	v_mul_f64_e32 v[114:115], v[74:75], v[70:71]
	v_mul_f64_e32 v[70:71], v[72:73], v[70:71]
	;; [unrolled: 11-line block ×3, first 2 shown]
	v_fma_f64 v[2:3], v[44:45], v[48:49], -v[2:3]
	v_fmac_f64_e32 v[92:93], v[46:47], v[48:49]
	v_fma_f64 v[94:95], v[44:45], v[52:53], -v[94:95]
	v_fmac_f64_e32 v[96:97], v[46:47], v[52:53]
	;; [unrolled: 2-line block ×8, first 2 shown]
	ds_load_b128 v[44:47], v43 offset:48
	ds_load_b128 v[48:51], v43 offset:2096
	;; [unrolled: 1-line block ×4, first 2 shown]
	v_fma_f64 v[118:119], v[76:77], v[80:81], -v[118:119]
	v_fmac_f64_e32 v[120:121], v[78:79], v[80:81]
	v_fma_f64 v[76:77], v[76:77], v[84:85], -v[122:123]
	v_fmac_f64_e32 v[124:125], v[78:79], v[84:85]
	;; [unrolled: 2-line block ×4, first 2 shown]
	v_add_f64_e32 v[2:3], v[38:39], v[2:3]
	v_add_f64_e32 v[68:69], v[92:93], v[40:41]
	;; [unrolled: 1-line block ×8, first 2 shown]
	s_wait_dscnt 0x1
	v_mul_f64_e32 v[100:101], v[46:47], v[54:55]
	v_mul_f64_e32 v[102:103], v[44:45], v[54:55]
	s_wait_dscnt 0x0
	v_mul_f64_e32 v[108:109], v[46:47], v[58:59]
	v_mul_f64_e32 v[112:113], v[44:45], v[58:59]
	;; [unrolled: 1-line block ×6, first 2 shown]
	ds_load_b128 v[22:25], v43 offset:64
	ds_load_b128 v[26:29], v42 offset:2048
	;; [unrolled: 1-line block ×4, first 2 shown]
	v_add_f64_e32 v[2:3], v[2:3], v[104:105]
	v_add_f64_e32 v[84:85], v[106:107], v[68:69]
	;; [unrolled: 1-line block ×8, first 2 shown]
	s_wait_dscnt 0x2
	v_mul_f64_e32 v[98:99], v[24:25], v[28:29]
	v_mul_f64_e32 v[104:105], v[22:23], v[28:29]
	s_wait_dscnt 0x1
	v_mul_f64_e32 v[106:107], v[24:25], v[36:37]
	v_mul_f64_e32 v[110:111], v[22:23], v[36:37]
	;; [unrolled: 3-line block ×3, first 2 shown]
	v_mul_f64_e32 v[28:29], v[40:41], v[36:37]
	v_mul_f64_e32 v[128:129], v[38:39], v[36:37]
	v_fma_f64 v[36:37], v[44:45], v[52:53], -v[100:101]
	v_fmac_f64_e32 v[102:103], v[46:47], v[52:53]
	v_fma_f64 v[100:101], v[44:45], v[56:57], -v[108:109]
	v_fmac_f64_e32 v[112:113], v[46:47], v[56:57]
	;; [unrolled: 2-line block ×4, first 2 shown]
	ds_load_b128 v[58:61], v43 offset:80
	ds_load_b128 v[62:65], v43 offset:2128
	;; [unrolled: 1-line block ×4, first 2 shown]
	v_add_f64_e32 v[2:3], v[2:3], v[118:119]
	v_add_f64_e32 v[56:57], v[120:121], v[84:85]
	;; [unrolled: 1-line block ×8, first 2 shown]
	v_fma_f64 v[98:99], v[22:23], v[26:27], -v[98:99]
	v_fmac_f64_e32 v[104:105], v[24:25], v[26:27]
	v_fma_f64 v[106:107], v[22:23], v[34:35], -v[106:107]
	s_wait_dscnt 0x1
	v_mul_f64_e32 v[90:91], v[60:61], v[68:69]
	v_mul_f64_e32 v[92:93], v[58:59], v[68:69]
	s_wait_dscnt 0x0
	v_mul_f64_e32 v[94:95], v[60:61], v[72:73]
	v_mul_f64_e32 v[96:97], v[58:59], v[72:73]
	;; [unrolled: 1-line block ×6, first 2 shown]
	v_fmac_f64_e32 v[110:111], v[24:25], v[34:35]
	v_fma_f64 v[122:123], v[38:39], v[26:27], -v[122:123]
	v_fmac_f64_e32 v[126:127], v[40:41], v[26:27]
	v_fma_f64 v[124:125], v[38:39], v[34:35], -v[28:29]
	v_fmac_f64_e32 v[128:129], v[40:41], v[34:35]
	ds_load_b128 v[44:47], v43 offset:96
	ds_load_b128 v[48:51], v42 offset:3072
	;; [unrolled: 1-line block ×4, first 2 shown]
	v_add_f64_e32 v[2:3], v[2:3], v[36:37]
	v_add_f64_e32 v[56:57], v[102:103], v[56:57]
	;; [unrolled: 1-line block ×8, first 2 shown]
	ds_load_b128 v[22:25], v43 offset:112
	ds_load_b128 v[26:29], v43 offset:2160
	;; [unrolled: 1-line block ×4, first 2 shown]
	s_wait_dscnt 0x0
	v_mul_f64_e32 v[100:101], v[46:47], v[50:51]
	v_mul_f64_e32 v[102:103], v[44:45], v[50:51]
	;; [unrolled: 1-line block ×8, first 2 shown]
	v_fma_f64 v[90:91], v[58:59], v[66:67], -v[90:91]
	v_fmac_f64_e32 v[92:93], v[60:61], v[66:67]
	v_fma_f64 v[58:59], v[58:59], v[70:71], -v[94:95]
	v_fmac_f64_e32 v[96:97], v[60:61], v[70:71]
	;; [unrolled: 2-line block ×4, first 2 shown]
	s_barrier_signal -1
	s_barrier_wait -1
	v_mul_f64_e32 v[94:95], v[22:23], v[40:41]
	v_add_f64_e32 v[2:3], v[2:3], v[98:99]
	v_add_f64_e32 v[56:57], v[104:105], v[56:57]
	;; [unrolled: 1-line block ×8, first 2 shown]
	v_mul_f64_e32 v[84:85], v[24:25], v[36:37]
	v_mul_f64_e32 v[86:87], v[22:23], v[36:37]
	;; [unrolled: 1-line block ×7, first 2 shown]
	v_fma_f64 v[40:41], v[44:45], v[48:49], -v[100:101]
	v_fmac_f64_e32 v[102:103], v[46:47], v[48:49]
	v_fma_f64 v[44:45], v[44:45], v[52:53], -v[108:109]
	v_fmac_f64_e32 v[112:113], v[46:47], v[52:53]
	;; [unrolled: 2-line block ×4, first 2 shown]
	v_fmac_f64_e32 v[94:95], v[24:25], v[38:39]
	v_add_f64_e32 v[2:3], v[2:3], v[90:91]
	v_add_f64_e32 v[52:53], v[92:93], v[56:57]
	;; [unrolled: 1-line block ×8, first 2 shown]
	v_fma_f64 v[68:69], v[22:23], v[34:35], -v[84:85]
	v_fmac_f64_e32 v[86:87], v[24:25], v[34:35]
	v_fma_f64 v[22:23], v[22:23], v[38:39], -v[88:89]
	v_fma_f64 v[24:25], v[26:27], v[34:35], -v[98:99]
	v_fmac_f64_e32 v[104:105], v[28:29], v[34:35]
	v_fma_f64 v[70:71], v[26:27], v[38:39], -v[36:37]
	v_fmac_f64_e32 v[106:107], v[28:29], v[38:39]
	v_add_f64_e32 v[2:3], v[2:3], v[40:41]
	v_add_f64_e32 v[26:27], v[102:103], v[52:53]
	;; [unrolled: 1-line block ×16, first 2 shown]
	s_cbranch_scc0 .LBB415_18
.LBB415_10:                             ;   Parent Loop BB415_7 Depth=1
                                        ; =>  This Inner Loop Header: Depth=2
	v_add_nc_u32_e32 v1, s28, v8
	s_delay_alu instid0(VALU_DEP_1) | instskip(SKIP_1) | instid1(SALU_CYCLE_1)
	v_cmp_le_i32_e32 vcc_lo, s25, v1
	s_or_b32 s29, s23, vcc_lo
	s_and_saveexec_b32 s30, s29
	s_delay_alu instid0(SALU_CYCLE_1)
	s_xor_b32 s29, exec_lo, s30
; %bb.11:                               ;   in Loop: Header=BB415_10 Depth=2
	v_dual_mov_b32 v1, v0 :: v_dual_mov_b32 v2, v0
	v_mov_b32_e32 v3, v0
	ds_store_b128 v7, v[0:3]
; %bb.12:                               ;   in Loop: Header=BB415_10 Depth=2
	s_and_not1_saveexec_b32 s29, s29
	s_cbranch_execz .LBB415_14
; %bb.13:                               ;   in Loop: Header=BB415_10 Depth=2
	flat_load_b128 v[44:47], v[30:31]
	s_wait_loadcnt_dscnt 0x0
	ds_store_2addr_b64 v7, v[44:45], v[46:47] offset1:1
.LBB415_14:                             ;   in Loop: Header=BB415_10 Depth=2
	s_wait_xcnt 0x0
	s_or_b32 exec_lo, exec_lo, s29
	v_add_nc_u32_e32 v1, s28, v6
	s_delay_alu instid0(VALU_DEP_1) | instskip(SKIP_1) | instid1(SALU_CYCLE_1)
	v_cmp_le_i32_e32 vcc_lo, s25, v1
	s_or_b32 s29, vcc_lo, s24
	s_and_saveexec_b32 s30, s29
	s_delay_alu instid0(SALU_CYCLE_1)
	s_xor_b32 s29, exec_lo, s30
; %bb.15:                               ;   in Loop: Header=BB415_10 Depth=2
	v_dual_mov_b32 v1, v0 :: v_dual_mov_b32 v2, v0
	v_mov_b32_e32 v3, v0
	ds_store_b128 v9, v[0:3]
; %bb.16:                               ;   in Loop: Header=BB415_10 Depth=2
	s_and_not1_saveexec_b32 s29, s29
	s_cbranch_execz .LBB415_9
; %bb.17:                               ;   in Loop: Header=BB415_10 Depth=2
	flat_load_b128 v[44:47], v[32:33]
	s_wait_loadcnt_dscnt 0x0
	ds_store_2addr_b64 v9, v[44:45], v[46:47] offset1:1
	s_branch .LBB415_9
.LBB415_18:                             ;   in Loop: Header=BB415_7 Depth=1
	s_wait_loadcnt 0x0
	v_add_nc_u64_e32 v[30:31], s[0:1], v[4:5]
	s_delay_alu instid0(VALU_DEP_1)
	v_lshl_add_u64 v[32:33], v[12:13], 4, v[30:31]
	s_wait_xcnt 0x0
	s_and_saveexec_b32 s28, s35
	s_cbranch_execz .LBB415_23
; %bb.19:                               ;   in Loop: Header=BB415_7 Depth=1
	v_mul_f64_e32 v[2:3], s[14:15], v[40:41]
	v_mul_f64_e32 v[4:5], s[12:13], v[40:41]
	s_and_b32 vcc_lo, exec_lo, s34
	s_mov_b32 s29, -1
	s_delay_alu instid0(VALU_DEP_2) | instskip(NEXT) | instid1(VALU_DEP_2)
	v_fma_f64 v[2:3], s[12:13], v[38:39], -v[2:3]
	v_fmac_f64_e32 v[4:5], s[14:15], v[38:39]
	v_lshl_add_u64 v[38:39], v[10:11], 4, v[32:33]
	s_cbranch_vccz .LBB415_21
; %bb.20:                               ;   in Loop: Header=BB415_7 Depth=1
	flat_load_b128 v[44:47], v[38:39]
	s_mov_b32 s29, 0
	s_wait_loadcnt_dscnt 0x0
	v_mul_f64_e32 v[40:41], s[8:9], v[46:47]
	v_mul_f64_e32 v[46:47], s[6:7], v[46:47]
	s_delay_alu instid0(VALU_DEP_2) | instskip(NEXT) | instid1(VALU_DEP_2)
	v_fma_f64 v[40:41], s[6:7], v[44:45], -v[40:41]
	v_fmac_f64_e32 v[46:47], s[8:9], v[44:45]
	s_delay_alu instid0(VALU_DEP_2) | instskip(NEXT) | instid1(VALU_DEP_2)
	v_add_f64_e32 v[44:45], v[2:3], v[40:41]
	v_add_f64_e32 v[46:47], v[4:5], v[46:47]
	flat_store_b128 v[38:39], v[44:47]
.LBB415_21:                             ;   in Loop: Header=BB415_7 Depth=1
	s_and_not1_b32 vcc_lo, exec_lo, s29
	s_cbranch_vccnz .LBB415_23
; %bb.22:                               ;   in Loop: Header=BB415_7 Depth=1
	flat_store_b128 v[38:39], v[2:5]
.LBB415_23:                             ;   in Loop: Header=BB415_7 Depth=1
	s_wait_xcnt 0x0
	s_or_b32 exec_lo, exec_lo, s28
	s_and_saveexec_b32 s28, s36
	s_cbranch_execz .LBB415_28
; %bb.24:                               ;   in Loop: Header=BB415_7 Depth=1
	v_mul_f64_e32 v[2:3], s[14:15], v[36:37]
	v_mul_f64_e32 v[4:5], s[12:13], v[36:37]
	v_lshl_add_u64 v[32:33], v[14:15], 4, v[32:33]
	s_and_not1_b32 vcc_lo, exec_lo, s34
	s_mov_b32 s29, -1
	s_delay_alu instid0(VALU_DEP_3) | instskip(NEXT) | instid1(VALU_DEP_3)
	v_fma_f64 v[2:3], s[12:13], v[34:35], -v[2:3]
	v_fmac_f64_e32 v[4:5], s[14:15], v[34:35]
	s_cbranch_vccnz .LBB415_26
; %bb.25:                               ;   in Loop: Header=BB415_7 Depth=1
	flat_load_b128 v[34:37], v[32:33]
	s_mov_b32 s29, 0
	s_wait_loadcnt_dscnt 0x0
	v_mul_f64_e32 v[38:39], s[8:9], v[36:37]
	v_mul_f64_e32 v[36:37], s[6:7], v[36:37]
	s_delay_alu instid0(VALU_DEP_2) | instskip(NEXT) | instid1(VALU_DEP_2)
	v_fma_f64 v[38:39], s[6:7], v[34:35], -v[38:39]
	v_fmac_f64_e32 v[36:37], s[8:9], v[34:35]
	s_delay_alu instid0(VALU_DEP_2) | instskip(NEXT) | instid1(VALU_DEP_2)
	v_add_f64_e32 v[34:35], v[2:3], v[38:39]
	v_add_f64_e32 v[36:37], v[4:5], v[36:37]
	flat_store_b128 v[32:33], v[34:37]
.LBB415_26:                             ;   in Loop: Header=BB415_7 Depth=1
	s_and_not1_b32 vcc_lo, exec_lo, s29
	s_cbranch_vccnz .LBB415_28
; %bb.27:                               ;   in Loop: Header=BB415_7 Depth=1
	flat_store_b128 v[32:33], v[2:5]
.LBB415_28:                             ;   in Loop: Header=BB415_7 Depth=1
	s_wait_xcnt 0x0
	s_or_b32 exec_lo, exec_lo, s28
	v_lshl_add_u64 v[30:31], v[16:17], 4, v[30:31]
	s_and_saveexec_b32 s28, s16
	s_cbranch_execz .LBB415_33
; %bb.29:                               ;   in Loop: Header=BB415_7 Depth=1
	v_mul_f64_e32 v[2:3], s[14:15], v[28:29]
	v_mul_f64_e32 v[4:5], s[12:13], v[28:29]
	s_and_not1_b32 vcc_lo, exec_lo, s34
	s_mov_b32 s29, -1
	s_delay_alu instid0(VALU_DEP_2) | instskip(NEXT) | instid1(VALU_DEP_2)
	v_fma_f64 v[2:3], s[12:13], v[26:27], -v[2:3]
	v_fmac_f64_e32 v[4:5], s[14:15], v[26:27]
	v_lshl_add_u64 v[26:27], v[10:11], 4, v[30:31]
	s_cbranch_vccnz .LBB415_31
; %bb.30:                               ;   in Loop: Header=BB415_7 Depth=1
	flat_load_b128 v[32:35], v[26:27]
	s_mov_b32 s29, 0
	s_wait_loadcnt_dscnt 0x0
	v_mul_f64_e32 v[28:29], s[8:9], v[34:35]
	v_mul_f64_e32 v[34:35], s[6:7], v[34:35]
	s_delay_alu instid0(VALU_DEP_2) | instskip(NEXT) | instid1(VALU_DEP_2)
	v_fma_f64 v[28:29], s[6:7], v[32:33], -v[28:29]
	v_fmac_f64_e32 v[34:35], s[8:9], v[32:33]
	s_delay_alu instid0(VALU_DEP_2) | instskip(NEXT) | instid1(VALU_DEP_2)
	v_add_f64_e32 v[32:33], v[2:3], v[28:29]
	v_add_f64_e32 v[34:35], v[4:5], v[34:35]
	flat_store_b128 v[26:27], v[32:35]
.LBB415_31:                             ;   in Loop: Header=BB415_7 Depth=1
	s_and_not1_b32 vcc_lo, exec_lo, s29
	s_cbranch_vccnz .LBB415_33
; %bb.32:                               ;   in Loop: Header=BB415_7 Depth=1
	flat_store_b128 v[26:27], v[2:5]
.LBB415_33:                             ;   in Loop: Header=BB415_7 Depth=1
	s_wait_xcnt 0x0
	s_or_b32 exec_lo, exec_lo, s28
	s_and_saveexec_b32 s28, s17
	s_cbranch_execz .LBB415_6
; %bb.34:                               ;   in Loop: Header=BB415_7 Depth=1
	s_delay_alu instid0(VALU_DEP_4) | instskip(SKIP_3) | instid1(VALU_DEP_2)
	v_mul_f64_e32 v[2:3], s[14:15], v[24:25]
	v_mul_f64_e32 v[4:5], s[12:13], v[24:25]
	s_and_not1_b32 vcc_lo, exec_lo, s34
	s_mov_b32 s29, -1
	v_fma_f64 v[2:3], s[12:13], v[22:23], -v[2:3]
	s_delay_alu instid0(VALU_DEP_2)
	v_fmac_f64_e32 v[4:5], s[14:15], v[22:23]
	v_lshl_add_u64 v[22:23], v[14:15], 4, v[30:31]
	s_cbranch_vccnz .LBB415_36
; %bb.35:                               ;   in Loop: Header=BB415_7 Depth=1
	flat_load_b128 v[24:27], v[22:23]
	s_mov_b32 s29, 0
	s_wait_loadcnt_dscnt 0x0
	v_mul_f64_e32 v[28:29], s[8:9], v[26:27]
	v_mul_f64_e32 v[26:27], s[6:7], v[26:27]
	s_delay_alu instid0(VALU_DEP_2) | instskip(NEXT) | instid1(VALU_DEP_2)
	v_fma_f64 v[28:29], s[6:7], v[24:25], -v[28:29]
	v_fmac_f64_e32 v[26:27], s[8:9], v[24:25]
	s_delay_alu instid0(VALU_DEP_2) | instskip(NEXT) | instid1(VALU_DEP_2)
	v_add_f64_e32 v[24:25], v[2:3], v[28:29]
	v_add_f64_e32 v[26:27], v[4:5], v[26:27]
	flat_store_b128 v[22:23], v[24:27]
.LBB415_36:                             ;   in Loop: Header=BB415_7 Depth=1
	s_and_not1_b32 vcc_lo, exec_lo, s29
	s_cbranch_vccnz .LBB415_6
; %bb.37:                               ;   in Loop: Header=BB415_7 Depth=1
	flat_store_b128 v[22:23], v[2:5]
	s_branch .LBB415_6
.LBB415_38:
.LBB415_39:
	s_sendmsg sendmsg(MSG_DEALLOC_VGPRS)
	s_endpgm
	.section	.rodata,"a",@progbits
	.p2align	6, 0x0
	.amdhsa_kernel _ZL29rocblas_internal_gemmt_kernelIiLi16ELi32ELi8ELc78ELc84ELc85ELb0ELb0E19rocblas_complex_numIdES1_PKPKS1_PKPS1_EviT_T9_T10_S9_lSB_S9_lSA_T11_S9_li
		.amdhsa_group_segment_fixed_size 8192
		.amdhsa_private_segment_fixed_size 0
		.amdhsa_kernarg_size 116
		.amdhsa_user_sgpr_count 2
		.amdhsa_user_sgpr_dispatch_ptr 0
		.amdhsa_user_sgpr_queue_ptr 0
		.amdhsa_user_sgpr_kernarg_segment_ptr 1
		.amdhsa_user_sgpr_dispatch_id 0
		.amdhsa_user_sgpr_kernarg_preload_length 0
		.amdhsa_user_sgpr_kernarg_preload_offset 0
		.amdhsa_user_sgpr_private_segment_size 0
		.amdhsa_wavefront_size32 1
		.amdhsa_uses_dynamic_stack 0
		.amdhsa_enable_private_segment 0
		.amdhsa_system_sgpr_workgroup_id_x 1
		.amdhsa_system_sgpr_workgroup_id_y 1
		.amdhsa_system_sgpr_workgroup_id_z 1
		.amdhsa_system_sgpr_workgroup_info 0
		.amdhsa_system_vgpr_workitem_id 1
		.amdhsa_next_free_vgpr 132
		.amdhsa_next_free_sgpr 41
		.amdhsa_named_barrier_count 0
		.amdhsa_reserve_vcc 1
		.amdhsa_float_round_mode_32 0
		.amdhsa_float_round_mode_16_64 0
		.amdhsa_float_denorm_mode_32 3
		.amdhsa_float_denorm_mode_16_64 3
		.amdhsa_fp16_overflow 0
		.amdhsa_memory_ordered 1
		.amdhsa_forward_progress 1
		.amdhsa_inst_pref_size 24
		.amdhsa_round_robin_scheduling 0
		.amdhsa_exception_fp_ieee_invalid_op 0
		.amdhsa_exception_fp_denorm_src 0
		.amdhsa_exception_fp_ieee_div_zero 0
		.amdhsa_exception_fp_ieee_overflow 0
		.amdhsa_exception_fp_ieee_underflow 0
		.amdhsa_exception_fp_ieee_inexact 0
		.amdhsa_exception_int_div_zero 0
	.end_amdhsa_kernel
	.section	.text._ZL29rocblas_internal_gemmt_kernelIiLi16ELi32ELi8ELc78ELc84ELc85ELb0ELb0E19rocblas_complex_numIdES1_PKPKS1_PKPS1_EviT_T9_T10_S9_lSB_S9_lSA_T11_S9_li,"axG",@progbits,_ZL29rocblas_internal_gemmt_kernelIiLi16ELi32ELi8ELc78ELc84ELc85ELb0ELb0E19rocblas_complex_numIdES1_PKPKS1_PKPS1_EviT_T9_T10_S9_lSB_S9_lSA_T11_S9_li,comdat
.Lfunc_end415:
	.size	_ZL29rocblas_internal_gemmt_kernelIiLi16ELi32ELi8ELc78ELc84ELc85ELb0ELb0E19rocblas_complex_numIdES1_PKPKS1_PKPS1_EviT_T9_T10_S9_lSB_S9_lSA_T11_S9_li, .Lfunc_end415-_ZL29rocblas_internal_gemmt_kernelIiLi16ELi32ELi8ELc78ELc84ELc85ELb0ELb0E19rocblas_complex_numIdES1_PKPKS1_PKPS1_EviT_T9_T10_S9_lSB_S9_lSA_T11_S9_li
                                        ; -- End function
	.set _ZL29rocblas_internal_gemmt_kernelIiLi16ELi32ELi8ELc78ELc84ELc85ELb0ELb0E19rocblas_complex_numIdES1_PKPKS1_PKPS1_EviT_T9_T10_S9_lSB_S9_lSA_T11_S9_li.num_vgpr, 132
	.set _ZL29rocblas_internal_gemmt_kernelIiLi16ELi32ELi8ELc78ELc84ELc85ELb0ELb0E19rocblas_complex_numIdES1_PKPKS1_PKPS1_EviT_T9_T10_S9_lSB_S9_lSA_T11_S9_li.num_agpr, 0
	.set _ZL29rocblas_internal_gemmt_kernelIiLi16ELi32ELi8ELc78ELc84ELc85ELb0ELb0E19rocblas_complex_numIdES1_PKPKS1_PKPS1_EviT_T9_T10_S9_lSB_S9_lSA_T11_S9_li.numbered_sgpr, 41
	.set _ZL29rocblas_internal_gemmt_kernelIiLi16ELi32ELi8ELc78ELc84ELc85ELb0ELb0E19rocblas_complex_numIdES1_PKPKS1_PKPS1_EviT_T9_T10_S9_lSB_S9_lSA_T11_S9_li.num_named_barrier, 0
	.set _ZL29rocblas_internal_gemmt_kernelIiLi16ELi32ELi8ELc78ELc84ELc85ELb0ELb0E19rocblas_complex_numIdES1_PKPKS1_PKPS1_EviT_T9_T10_S9_lSB_S9_lSA_T11_S9_li.private_seg_size, 0
	.set _ZL29rocblas_internal_gemmt_kernelIiLi16ELi32ELi8ELc78ELc84ELc85ELb0ELb0E19rocblas_complex_numIdES1_PKPKS1_PKPS1_EviT_T9_T10_S9_lSB_S9_lSA_T11_S9_li.uses_vcc, 1
	.set _ZL29rocblas_internal_gemmt_kernelIiLi16ELi32ELi8ELc78ELc84ELc85ELb0ELb0E19rocblas_complex_numIdES1_PKPKS1_PKPS1_EviT_T9_T10_S9_lSB_S9_lSA_T11_S9_li.uses_flat_scratch, 0
	.set _ZL29rocblas_internal_gemmt_kernelIiLi16ELi32ELi8ELc78ELc84ELc85ELb0ELb0E19rocblas_complex_numIdES1_PKPKS1_PKPS1_EviT_T9_T10_S9_lSB_S9_lSA_T11_S9_li.has_dyn_sized_stack, 0
	.set _ZL29rocblas_internal_gemmt_kernelIiLi16ELi32ELi8ELc78ELc84ELc85ELb0ELb0E19rocblas_complex_numIdES1_PKPKS1_PKPS1_EviT_T9_T10_S9_lSB_S9_lSA_T11_S9_li.has_recursion, 0
	.set _ZL29rocblas_internal_gemmt_kernelIiLi16ELi32ELi8ELc78ELc84ELc85ELb0ELb0E19rocblas_complex_numIdES1_PKPKS1_PKPS1_EviT_T9_T10_S9_lSB_S9_lSA_T11_S9_li.has_indirect_call, 0
	.section	.AMDGPU.csdata,"",@progbits
; Kernel info:
; codeLenInByte = 2972
; TotalNumSgprs: 43
; NumVgprs: 132
; ScratchSize: 0
; MemoryBound: 0
; FloatMode: 240
; IeeeMode: 1
; LDSByteSize: 8192 bytes/workgroup (compile time only)
; SGPRBlocks: 0
; VGPRBlocks: 8
; NumSGPRsForWavesPerEU: 43
; NumVGPRsForWavesPerEU: 132
; NamedBarCnt: 0
; Occupancy: 7
; WaveLimiterHint : 1
; COMPUTE_PGM_RSRC2:SCRATCH_EN: 0
; COMPUTE_PGM_RSRC2:USER_SGPR: 2
; COMPUTE_PGM_RSRC2:TRAP_HANDLER: 0
; COMPUTE_PGM_RSRC2:TGID_X_EN: 1
; COMPUTE_PGM_RSRC2:TGID_Y_EN: 1
; COMPUTE_PGM_RSRC2:TGID_Z_EN: 1
; COMPUTE_PGM_RSRC2:TIDIG_COMP_CNT: 1
	.section	.text._ZL29rocblas_internal_gemmt_kernelIiLi16ELi32ELi8ELc78ELc67ELc85ELb0ELb1E19rocblas_complex_numIdES1_PKPKS1_PKPS1_EviT_T9_T10_S9_lSB_S9_lSA_T11_S9_li,"axG",@progbits,_ZL29rocblas_internal_gemmt_kernelIiLi16ELi32ELi8ELc78ELc67ELc85ELb0ELb1E19rocblas_complex_numIdES1_PKPKS1_PKPS1_EviT_T9_T10_S9_lSB_S9_lSA_T11_S9_li,comdat
	.globl	_ZL29rocblas_internal_gemmt_kernelIiLi16ELi32ELi8ELc78ELc67ELc85ELb0ELb1E19rocblas_complex_numIdES1_PKPKS1_PKPS1_EviT_T9_T10_S9_lSB_S9_lSA_T11_S9_li ; -- Begin function _ZL29rocblas_internal_gemmt_kernelIiLi16ELi32ELi8ELc78ELc67ELc85ELb0ELb1E19rocblas_complex_numIdES1_PKPKS1_PKPS1_EviT_T9_T10_S9_lSB_S9_lSA_T11_S9_li
	.p2align	8
	.type	_ZL29rocblas_internal_gemmt_kernelIiLi16ELi32ELi8ELc78ELc67ELc85ELb0ELb1E19rocblas_complex_numIdES1_PKPKS1_PKPS1_EviT_T9_T10_S9_lSB_S9_lSA_T11_S9_li,@function
_ZL29rocblas_internal_gemmt_kernelIiLi16ELi32ELi8ELc78ELc67ELc85ELb0ELb1E19rocblas_complex_numIdES1_PKPKS1_PKPS1_EviT_T9_T10_S9_lSB_S9_lSA_T11_S9_li: ; @_ZL29rocblas_internal_gemmt_kernelIiLi16ELi32ELi8ELc78ELc67ELc85ELb0ELb1E19rocblas_complex_numIdES1_PKPKS1_PKPS1_EviT_T9_T10_S9_lSB_S9_lSA_T11_S9_li
; %bb.0:
	s_clause 0x2
	s_load_b256 s[4:11], s[0:1], 0x40
	s_load_b64 s[24:25], s[0:1], 0x0
	s_load_b128 s[12:15], s[0:1], 0x8
	s_wait_kmcnt 0x0
	v_cmp_eq_f64_e64 s2, s[6:7], 1.0
	v_cmp_eq_f64_e64 s34, s[8:9], 0
	s_and_b32 s2, s2, s34
	s_delay_alu instid0(SALU_CYCLE_1)
	s_and_not1_b32 vcc_lo, exec_lo, s2
	s_mov_b32 s2, -1
	s_cbranch_vccnz .LBB416_3
; %bb.1:
	s_cmp_lg_u32 s25, 0
	s_cbranch_scc0 .LBB416_36
; %bb.2:
	v_cmp_neq_f64_e64 s2, s[12:13], 0
	v_cmp_neq_f64_e64 s3, s[14:15], 0
	s_or_b32 s2, s2, s3
.LBB416_3:
	s_delay_alu instid0(SALU_CYCLE_1)
	s_and_b32 vcc_lo, exec_lo, s2
	s_cbranch_vccz .LBB416_37
; %bb.4:
	s_load_b32 s33, s[0:1], 0x70
	s_bfe_u32 s2, ttmp6, 0x40014
	s_lshr_b32 s3, ttmp7, 16
	s_add_co_i32 s2, s2, 1
	s_bfe_u32 s16, ttmp6, 0x40008
	s_mul_i32 s2, s3, s2
	s_getreg_b32 s35, hwreg(HW_REG_IB_STS2, 6, 4)
	s_add_co_i32 s16, s16, s2
	s_cmp_eq_u32 s35, 0
	s_mov_b32 s27, 0
	s_cselect_b32 s26, s3, s16
	s_wait_kmcnt 0x0
	s_cmp_ge_u32 s26, s33
	s_cbranch_scc1 .LBB416_37
; %bb.5:
	s_clause 0x4
	s_load_b96 s[20:22], s[0:1], 0x18
	s_load_b32 s28, s[0:1], 0x38
	s_load_b32 s2, s[0:1], 0x60
	s_load_b128 s[16:19], s[0:1], 0x28
	s_load_b64 s[30:31], s[0:1], 0x68
	s_wait_xcnt 0x0
	s_bfe_u32 s1, ttmp6, 0x4000c
	s_bfe_u32 s38, ttmp6, 0x40010
	v_and_b32_e32 v1, 0x3ff, v0
	v_bfe_u32 v3, v0, 10, 10
	s_add_co_i32 s1, s1, 1
	s_and_b32 s39, ttmp7, 0xffff
	s_add_co_i32 s38, s38, 1
	s_and_b32 s0, ttmp6, 15
	s_mul_i32 s1, ttmp9, s1
	s_mul_i32 s38, s39, s38
	s_bfe_u32 s40, ttmp6, 0x40004
	v_and_b32_e32 v6, 7, v0
	v_lshl_add_u32 v0, v3, 4, v1
	s_add_co_i32 s0, s0, s1
	s_add_co_i32 s40, s40, s38
	v_cmp_neq_f64_e64 s36, s[12:13], 0
	s_wait_kmcnt 0x0
	s_ashr_i32 s23, s22, 31
	s_ashr_i32 s29, s28, 31
	;; [unrolled: 1-line block ×3, first 2 shown]
	s_cmp_eq_u32 s35, 0
	v_lshrrev_b32_e32 v8, 5, v0
	s_cselect_b32 s0, ttmp9, s0
	v_dual_lshrrev_b32 v5, 3, v0 :: v_dual_bitop2_b32 v10, 31, v0 bitop3:0x40
	s_cselect_b32 s1, s39, s40
	s_lshl_b32 s35, s0, 5
	v_mov_b32_e32 v0, 0
	s_lshl_b32 s0, s1, 5
	v_cmp_neq_f64_e64 s37, s[14:15], 0
	v_dual_add_nc_u32 v4, s0, v5 :: v_dual_bitop2_b32 v2, s35, v10 bitop3:0x54
	s_delay_alu instid0(VALU_DEP_3) | instskip(SKIP_2) | instid1(VALU_DEP_3)
	v_dual_mov_b32 v7, v0 :: v_dual_mov_b32 v9, v0
	v_dual_lshlrev_b32 v10, 4, v10 :: v_dual_add_nc_u32 v20, s0, v3
	v_cmp_neq_f64_e64 s38, s[6:7], 0
	v_mul_u64_e32 v[18:19], s[28:29], v[6:7]
	s_delay_alu instid0(VALU_DEP_4) | instskip(NEXT) | instid1(VALU_DEP_4)
	v_mul_u64_e32 v[22:23], s[22:23], v[8:9]
	v_dual_lshlrev_b32 v9, 4, v6 :: v_dual_add_nc_u32 v24, 16, v20
	v_ashrrev_i32_e32 v21, 31, v20
	v_lshl_or_b32 v7, v8, 9, v10
	v_add_nc_u32_e32 v10, s35, v1
	s_delay_alu instid0(VALU_DEP_4)
	v_lshl_or_b32 v5, v5, 7, v9
	v_ashrrev_i32_e32 v25, 31, v24
	v_mul_u64_e32 v[12:13], s[2:3], v[20:21]
	v_cmp_gt_i32_e64 s1, s24, v20
	v_add_nc_u32_e32 v14, 16, v10
	v_add_nc_u32_e32 v9, 0x1000, v5
	v_mul_u64_e32 v[16:17], s[2:3], v[24:25]
	v_ashrrev_i32_e32 v5, 31, v4
	v_cmp_le_i32_e64 s2, v10, v20
	v_cmp_le_i32_e64 s3, v14, v20
	v_lshl_add_u32 v45, v3, 7, 0x1000
	v_ashrrev_i32_e32 v3, 31, v2
	v_cmp_gt_i32_e32 vcc_lo, s24, v2
	v_cmp_gt_i32_e64 s0, s24, v4
	v_dual_lshlrev_b32 v44, 4, v1 :: v_dual_ashrrev_i32 v11, 31, v10
	v_ashrrev_i32_e32 v15, 31, v14
	s_or_b32 s37, s36, s37
	s_cmp_gt_i32 s25, 0
	s_cselect_b32 s39, -1, 0
	s_lshl_b64 s[4:5], s[4:5], 4
	s_lshl_b64 s[16:17], s[16:17], 4
	s_and_b32 s35, s1, s2
	s_and_b32 s36, s1, s3
	v_lshl_add_u64 v[18:19], v[18:19], 4, s[4:5]
	v_lshl_add_u64 v[20:21], v[22:23], 4, s[16:17]
	v_cmp_gt_i32_e64 s1, s24, v24
	v_cmp_le_i32_e64 s2, v10, v24
	v_cmp_le_i32_e64 s3, v14, v24
	v_lshl_add_u64 v[18:19], v[4:5], 4, v[18:19]
	v_lshl_add_u64 v[20:21], v[2:3], 4, v[20:21]
	s_xor_b32 s34, s34, -1
	s_and_b32 s24, s1, s2
	s_or_b32 s34, s38, s34
	v_or_b32_e32 v18, 8, v18
	s_and_b32 s1, s1, s3
	s_lshl_b64 s[2:3], s[22:23], 7
	s_and_b32 s22, s37, s39
	s_lshl_b64 s[4:5], s[28:29], 7
	s_xor_b32 s23, vcc_lo, -1
	s_lshl_b64 s[16:17], s[30:31], 4
	s_branch .LBB416_7
.LBB416_6:                              ;   in Loop: Header=BB416_7 Depth=1
	s_wait_xcnt 0x0
	s_or_b32 exec_lo, exec_lo, s28
	s_add_co_i32 s26, s26, 0x10000
	s_delay_alu instid0(SALU_CYCLE_1)
	s_cmp_lt_u32 s26, s33
	s_cbranch_scc0 .LBB416_37
.LBB416_7:                              ; =>This Loop Header: Depth=1
                                        ;     Child Loop BB416_10 Depth 2
	v_mov_b32_e32 v1, s26
	v_mov_b64_e32 v[40:41], 0
	v_mov_b64_e32 v[42:43], 0
	;; [unrolled: 1-line block ×4, first 2 shown]
	global_load_b64 v[26:27], v1, s[10:11] scale_offset
	v_mov_b64_e32 v[28:29], 0
	v_mov_b64_e32 v[30:31], 0
	v_mov_b64_e32 v[22:23], 0
	v_mov_b64_e32 v[24:25], 0
	s_and_not1_b32 vcc_lo, exec_lo, s22
	s_cbranch_vccnz .LBB416_16
; %bb.8:                                ;   in Loop: Header=BB416_7 Depth=1
	s_lshl_b64 s[28:29], s[26:27], 3
	v_mov_b64_e32 v[24:25], 0
	s_add_nc_u64 s[30:31], s[20:21], s[28:29]
	s_add_nc_u64 s[28:29], s[18:19], s[28:29]
	s_clause 0x1
	global_load_b64 v[2:3], v0, s[30:31]
	global_load_b64 v[4:5], v0, s[28:29]
	v_mov_b64_e32 v[22:23], 0
	v_mov_b64_e32 v[30:31], 0
	;; [unrolled: 1-line block ×7, first 2 shown]
	s_wait_xcnt 0x0
	s_mov_b32 s28, 0
	s_wait_loadcnt 0x1
	v_add_nc_u64_e32 v[32:33], v[2:3], v[20:21]
	s_wait_loadcnt 0x0
	v_add_nc_u64_e32 v[34:35], v[4:5], v[18:19]
	s_branch .LBB416_10
.LBB416_9:                              ;   in Loop: Header=BB416_10 Depth=2
	s_wait_xcnt 0x0
	s_or_b32 exec_lo, exec_lo, s29
	ds_store_b128 v9, v[2:5]
	s_wait_dscnt 0x0
	s_barrier_signal -1
	s_barrier_wait -1
	ds_load_b128 v[2:5], v45
	ds_load_b128 v[46:49], v44
	ds_load_b128 v[50:53], v44 offset:256
	ds_load_b128 v[54:57], v45 offset:2048
	;; [unrolled: 1-line block ×10, first 2 shown]
	v_add_nc_u64_e32 v[32:33], s[2:3], v[32:33]
	v_add_nc_u64_e32 v[34:35], s[4:5], v[34:35]
	s_add_co_i32 s28, s28, 8
	s_delay_alu instid0(SALU_CYCLE_1)
	s_cmp_lt_i32 s28, s25
	s_wait_dscnt 0xa
	v_mul_f64_e32 v[90:91], v[4:5], v[48:49]
	v_mul_f64_e32 v[92:93], v[2:3], v[48:49]
	s_wait_dscnt 0x9
	v_mul_f64_e32 v[94:95], v[4:5], v[52:53]
	v_mul_f64_e32 v[96:97], v[2:3], v[52:53]
	s_wait_dscnt 0x8
	v_mul_f64_e32 v[98:99], v[56:57], v[48:49]
	v_mul_f64_e32 v[100:101], v[54:55], v[48:49]
	v_mul_f64_e32 v[48:49], v[56:57], v[52:53]
	v_mul_f64_e32 v[102:103], v[54:55], v[52:53]
	s_wait_dscnt 0x6
	v_mul_f64_e32 v[104:105], v[60:61], v[64:65]
	v_mul_f64_e32 v[106:107], v[58:59], v[64:65]
	s_wait_dscnt 0x5
	v_mul_f64_e32 v[108:109], v[60:61], v[68:69]
	v_mul_f64_e32 v[110:111], v[58:59], v[68:69]
	s_wait_dscnt 0x4
	v_mul_f64_e32 v[112:113], v[72:73], v[64:65]
	v_mul_f64_e32 v[64:65], v[70:71], v[64:65]
	v_mul_f64_e32 v[114:115], v[72:73], v[68:69]
	v_mul_f64_e32 v[68:69], v[70:71], v[68:69]
	;; [unrolled: 11-line block ×3, first 2 shown]
	v_fma_f64 v[90:91], v[2:3], v[46:47], -v[90:91]
	v_fmac_f64_e32 v[92:93], v[4:5], v[46:47]
	v_fma_f64 v[94:95], v[2:3], v[50:51], -v[94:95]
	v_fmac_f64_e32 v[96:97], v[4:5], v[50:51]
	;; [unrolled: 2-line block ×8, first 2 shown]
	ds_load_b128 v[2:5], v45 offset:48
	ds_load_b128 v[46:49], v45 offset:2096
	;; [unrolled: 1-line block ×4, first 2 shown]
	v_fma_f64 v[118:119], v[74:75], v[78:79], -v[118:119]
	v_fmac_f64_e32 v[120:121], v[76:77], v[78:79]
	v_fma_f64 v[74:75], v[74:75], v[82:83], -v[122:123]
	v_fmac_f64_e32 v[124:125], v[76:77], v[82:83]
	;; [unrolled: 2-line block ×4, first 2 shown]
	v_add_f64_e32 v[66:67], v[40:41], v[90:91]
	v_add_f64_e32 v[70:71], v[92:93], v[42:43]
	;; [unrolled: 1-line block ×8, first 2 shown]
	s_wait_dscnt 0x1
	v_mul_f64_e32 v[100:101], v[4:5], v[52:53]
	v_mul_f64_e32 v[102:103], v[2:3], v[52:53]
	s_wait_dscnt 0x0
	v_mul_f64_e32 v[108:109], v[4:5], v[56:57]
	v_mul_f64_e32 v[112:113], v[2:3], v[56:57]
	;; [unrolled: 1-line block ×6, first 2 shown]
	ds_load_b128 v[22:25], v45 offset:64
	ds_load_b128 v[28:31], v44 offset:2048
	;; [unrolled: 1-line block ×4, first 2 shown]
	v_add_f64_e32 v[82:83], v[66:67], v[104:105]
	v_add_f64_e32 v[86:87], v[106:107], v[70:71]
	;; [unrolled: 1-line block ×8, first 2 shown]
	s_wait_dscnt 0x2
	v_mul_f64_e32 v[98:99], v[24:25], v[30:31]
	v_mul_f64_e32 v[104:105], v[22:23], v[30:31]
	s_wait_dscnt 0x1
	v_mul_f64_e32 v[106:107], v[24:25], v[38:39]
	v_mul_f64_e32 v[110:111], v[22:23], v[38:39]
	;; [unrolled: 3-line block ×3, first 2 shown]
	v_mul_f64_e32 v[30:31], v[42:43], v[38:39]
	v_mul_f64_e32 v[128:129], v[40:41], v[38:39]
	v_fma_f64 v[38:39], v[2:3], v[50:51], -v[100:101]
	v_fmac_f64_e32 v[102:103], v[4:5], v[50:51]
	v_fma_f64 v[100:101], v[2:3], v[54:55], -v[108:109]
	v_fmac_f64_e32 v[112:113], v[4:5], v[54:55]
	;; [unrolled: 2-line block ×4, first 2 shown]
	ds_load_b128 v[56:59], v45 offset:80
	ds_load_b128 v[60:63], v45 offset:2128
	;; [unrolled: 1-line block ×4, first 2 shown]
	v_add_f64_e32 v[54:55], v[82:83], v[118:119]
	v_add_f64_e32 v[82:83], v[120:121], v[86:87]
	;; [unrolled: 1-line block ×8, first 2 shown]
	v_fma_f64 v[98:99], v[22:23], v[28:29], -v[98:99]
	v_fmac_f64_e32 v[104:105], v[24:25], v[28:29]
	v_fma_f64 v[106:107], v[22:23], v[36:37], -v[106:107]
	s_wait_dscnt 0x1
	v_mul_f64_e32 v[90:91], v[58:59], v[66:67]
	v_mul_f64_e32 v[92:93], v[56:57], v[66:67]
	s_wait_dscnt 0x0
	v_mul_f64_e32 v[94:95], v[58:59], v[70:71]
	v_mul_f64_e32 v[96:97], v[56:57], v[70:71]
	;; [unrolled: 1-line block ×6, first 2 shown]
	v_fmac_f64_e32 v[110:111], v[24:25], v[36:37]
	v_fma_f64 v[122:123], v[40:41], v[28:29], -v[122:123]
	v_fmac_f64_e32 v[126:127], v[42:43], v[28:29]
	v_fma_f64 v[124:125], v[40:41], v[36:37], -v[30:31]
	v_fmac_f64_e32 v[128:129], v[42:43], v[36:37]
	ds_load_b128 v[2:5], v45 offset:96
	ds_load_b128 v[46:49], v44 offset:3072
	;; [unrolled: 1-line block ×4, first 2 shown]
	v_add_f64_e32 v[54:55], v[54:55], v[38:39]
	v_add_f64_e32 v[82:83], v[102:103], v[82:83]
	;; [unrolled: 1-line block ×8, first 2 shown]
	ds_load_b128 v[22:25], v45 offset:112
	ds_load_b128 v[28:31], v45 offset:2160
	;; [unrolled: 1-line block ×4, first 2 shown]
	s_wait_dscnt 0x0
	v_mul_f64_e32 v[100:101], v[4:5], v[48:49]
	v_mul_f64_e32 v[102:103], v[2:3], v[48:49]
	;; [unrolled: 1-line block ×8, first 2 shown]
	v_fma_f64 v[90:91], v[56:57], v[64:65], -v[90:91]
	v_fmac_f64_e32 v[92:93], v[58:59], v[64:65]
	v_fma_f64 v[56:57], v[56:57], v[68:69], -v[94:95]
	v_fmac_f64_e32 v[96:97], v[58:59], v[68:69]
	;; [unrolled: 2-line block ×4, first 2 shown]
	s_barrier_signal -1
	s_barrier_wait -1
	v_mul_f64_e32 v[94:95], v[22:23], v[42:43]
	v_add_f64_e32 v[54:55], v[54:55], v[98:99]
	v_add_f64_e32 v[62:63], v[104:105], v[82:83]
	v_add_f64_e32 v[64:65], v[86:87], v[106:107]
	v_add_f64_e32 v[68:69], v[110:111], v[88:89]
	v_add_f64_e32 v[76:77], v[76:77], v[122:123]
	v_add_f64_e32 v[80:81], v[126:127], v[80:81]
	v_add_f64_e32 v[78:79], v[78:79], v[124:125]
	v_add_f64_e32 v[82:83], v[128:129], v[84:85]
	v_mul_f64_e32 v[84:85], v[24:25], v[38:39]
	v_mul_f64_e32 v[86:87], v[22:23], v[38:39]
	;; [unrolled: 1-line block ×7, first 2 shown]
	v_fma_f64 v[42:43], v[2:3], v[46:47], -v[100:101]
	v_fmac_f64_e32 v[102:103], v[4:5], v[46:47]
	v_fma_f64 v[2:3], v[2:3], v[50:51], -v[108:109]
	v_fmac_f64_e32 v[112:113], v[4:5], v[50:51]
	;; [unrolled: 2-line block ×4, first 2 shown]
	v_fmac_f64_e32 v[94:95], v[24:25], v[40:41]
	v_add_f64_e32 v[50:51], v[54:55], v[90:91]
	v_add_f64_e32 v[54:55], v[92:93], v[62:63]
	;; [unrolled: 1-line block ×8, first 2 shown]
	v_fma_f64 v[68:69], v[22:23], v[36:37], -v[84:85]
	v_fmac_f64_e32 v[86:87], v[24:25], v[36:37]
	v_fma_f64 v[22:23], v[22:23], v[40:41], -v[88:89]
	v_fma_f64 v[24:25], v[28:29], v[36:37], -v[98:99]
	v_fmac_f64_e32 v[104:105], v[30:31], v[36:37]
	v_fma_f64 v[70:71], v[28:29], v[40:41], -v[38:39]
	v_fmac_f64_e32 v[106:107], v[30:31], v[40:41]
	v_add_f64_e32 v[28:29], v[50:51], v[42:43]
	v_add_f64_e32 v[30:31], v[102:103], v[54:55]
	;; [unrolled: 1-line block ×16, first 2 shown]
	s_cbranch_scc0 .LBB416_16
.LBB416_10:                             ;   Parent Loop BB416_7 Depth=1
                                        ; =>  This Inner Loop Header: Depth=2
	v_add_nc_u32_e32 v1, s28, v8
	s_delay_alu instid0(VALU_DEP_1) | instskip(SKIP_1) | instid1(SALU_CYCLE_1)
	v_cmp_le_i32_e32 vcc_lo, s25, v1
	s_or_b32 s29, s23, vcc_lo
	s_and_saveexec_b32 s30, s29
	s_delay_alu instid0(SALU_CYCLE_1)
	s_xor_b32 s29, exec_lo, s30
; %bb.11:                               ;   in Loop: Header=BB416_10 Depth=2
	v_dual_mov_b32 v1, v0 :: v_dual_mov_b32 v2, v0
	v_mov_b32_e32 v3, v0
	ds_store_b128 v7, v[0:3]
; %bb.12:                               ;   in Loop: Header=BB416_10 Depth=2
	s_and_not1_saveexec_b32 s29, s29
	s_cbranch_execz .LBB416_14
; %bb.13:                               ;   in Loop: Header=BB416_10 Depth=2
	flat_load_b128 v[2:5], v[32:33]
	s_wait_loadcnt_dscnt 0x0
	ds_store_2addr_b64 v7, v[2:3], v[4:5] offset1:1
.LBB416_14:                             ;   in Loop: Header=BB416_10 Depth=2
	s_wait_xcnt 0x0
	s_or_b32 exec_lo, exec_lo, s29
	v_add_nc_u32_e32 v1, s28, v6
	v_mov_b64_e32 v[2:3], 0
	v_mov_b64_e32 v[4:5], 0
	s_delay_alu instid0(VALU_DEP_3) | instskip(SKIP_1) | instid1(SALU_CYCLE_1)
	v_cmp_gt_i32_e32 vcc_lo, s25, v1
	s_and_b32 s30, vcc_lo, s0
	s_and_saveexec_b32 s29, s30
	s_cbranch_execz .LBB416_9
; %bb.15:                               ;   in Loop: Header=BB416_10 Depth=2
	flat_load_b128 v[2:5], v[34:35] offset:-8
	s_wait_loadcnt_dscnt 0x0
	v_xor_b32_e32 v5, 0x80000000, v5
	s_branch .LBB416_9
.LBB416_16:                             ;   in Loop: Header=BB416_7 Depth=1
	s_wait_loadcnt 0x0
	v_add_nc_u64_e32 v[26:27], s[16:17], v[26:27]
	s_delay_alu instid0(VALU_DEP_1)
	v_lshl_add_u64 v[32:33], v[12:13], 4, v[26:27]
	s_wait_xcnt 0x0
	s_and_saveexec_b32 s28, s35
	s_cbranch_execz .LBB416_21
; %bb.17:                               ;   in Loop: Header=BB416_7 Depth=1
	v_mul_f64_e32 v[2:3], s[14:15], v[42:43]
	v_mul_f64_e32 v[4:5], s[12:13], v[42:43]
	v_lshl_add_u64 v[34:35], v[10:11], 4, v[32:33]
	s_and_b32 vcc_lo, exec_lo, s34
	s_mov_b32 s29, -1
	s_delay_alu instid0(VALU_DEP_3) | instskip(NEXT) | instid1(VALU_DEP_3)
	v_fma_f64 v[2:3], s[12:13], v[40:41], -v[2:3]
	v_fmac_f64_e32 v[4:5], s[14:15], v[40:41]
	s_cbranch_vccz .LBB416_19
; %bb.18:                               ;   in Loop: Header=BB416_7 Depth=1
	flat_load_b128 v[40:43], v[34:35]
	s_mov_b32 s29, 0
	s_wait_loadcnt_dscnt 0x0
	v_mul_f64_e32 v[46:47], s[8:9], v[42:43]
	v_mul_f64_e32 v[42:43], s[6:7], v[42:43]
	s_delay_alu instid0(VALU_DEP_2) | instskip(NEXT) | instid1(VALU_DEP_2)
	v_fma_f64 v[46:47], s[6:7], v[40:41], -v[46:47]
	v_fmac_f64_e32 v[42:43], s[8:9], v[40:41]
	s_delay_alu instid0(VALU_DEP_2) | instskip(NEXT) | instid1(VALU_DEP_2)
	v_add_f64_e32 v[40:41], v[2:3], v[46:47]
	v_add_f64_e32 v[42:43], v[4:5], v[42:43]
	flat_store_b128 v[34:35], v[40:43]
.LBB416_19:                             ;   in Loop: Header=BB416_7 Depth=1
	s_and_not1_b32 vcc_lo, exec_lo, s29
	s_cbranch_vccnz .LBB416_21
; %bb.20:                               ;   in Loop: Header=BB416_7 Depth=1
	flat_store_b128 v[34:35], v[2:5]
.LBB416_21:                             ;   in Loop: Header=BB416_7 Depth=1
	s_wait_xcnt 0x0
	s_or_b32 exec_lo, exec_lo, s28
	s_and_saveexec_b32 s28, s36
	s_cbranch_execz .LBB416_26
; %bb.22:                               ;   in Loop: Header=BB416_7 Depth=1
	v_mul_f64_e32 v[2:3], s[14:15], v[38:39]
	v_mul_f64_e32 v[4:5], s[12:13], v[38:39]
	v_lshl_add_u64 v[32:33], v[14:15], 4, v[32:33]
	s_and_not1_b32 vcc_lo, exec_lo, s34
	s_mov_b32 s29, -1
	s_delay_alu instid0(VALU_DEP_3) | instskip(NEXT) | instid1(VALU_DEP_3)
	v_fma_f64 v[2:3], s[12:13], v[36:37], -v[2:3]
	v_fmac_f64_e32 v[4:5], s[14:15], v[36:37]
	s_cbranch_vccnz .LBB416_24
; %bb.23:                               ;   in Loop: Header=BB416_7 Depth=1
	flat_load_b128 v[34:37], v[32:33]
	s_mov_b32 s29, 0
	s_wait_loadcnt_dscnt 0x0
	v_mul_f64_e32 v[38:39], s[8:9], v[36:37]
	v_mul_f64_e32 v[36:37], s[6:7], v[36:37]
	s_delay_alu instid0(VALU_DEP_2) | instskip(NEXT) | instid1(VALU_DEP_2)
	v_fma_f64 v[38:39], s[6:7], v[34:35], -v[38:39]
	v_fmac_f64_e32 v[36:37], s[8:9], v[34:35]
	s_delay_alu instid0(VALU_DEP_2) | instskip(NEXT) | instid1(VALU_DEP_2)
	v_add_f64_e32 v[34:35], v[2:3], v[38:39]
	v_add_f64_e32 v[36:37], v[4:5], v[36:37]
	flat_store_b128 v[32:33], v[34:37]
.LBB416_24:                             ;   in Loop: Header=BB416_7 Depth=1
	s_and_not1_b32 vcc_lo, exec_lo, s29
	s_cbranch_vccnz .LBB416_26
; %bb.25:                               ;   in Loop: Header=BB416_7 Depth=1
	flat_store_b128 v[32:33], v[2:5]
.LBB416_26:                             ;   in Loop: Header=BB416_7 Depth=1
	s_wait_xcnt 0x0
	s_or_b32 exec_lo, exec_lo, s28
	v_lshl_add_u64 v[26:27], v[16:17], 4, v[26:27]
	s_and_saveexec_b32 s28, s24
	s_cbranch_execz .LBB416_31
; %bb.27:                               ;   in Loop: Header=BB416_7 Depth=1
	v_mul_f64_e32 v[2:3], s[14:15], v[30:31]
	v_mul_f64_e32 v[4:5], s[12:13], v[30:31]
	s_and_not1_b32 vcc_lo, exec_lo, s34
	s_mov_b32 s29, -1
	s_delay_alu instid0(VALU_DEP_2) | instskip(NEXT) | instid1(VALU_DEP_2)
	v_fma_f64 v[2:3], s[12:13], v[28:29], -v[2:3]
	v_fmac_f64_e32 v[4:5], s[14:15], v[28:29]
	v_lshl_add_u64 v[28:29], v[10:11], 4, v[26:27]
	s_cbranch_vccnz .LBB416_29
; %bb.28:                               ;   in Loop: Header=BB416_7 Depth=1
	flat_load_b128 v[30:33], v[28:29]
	s_mov_b32 s29, 0
	s_wait_loadcnt_dscnt 0x0
	v_mul_f64_e32 v[34:35], s[8:9], v[32:33]
	v_mul_f64_e32 v[32:33], s[6:7], v[32:33]
	s_delay_alu instid0(VALU_DEP_2) | instskip(NEXT) | instid1(VALU_DEP_2)
	v_fma_f64 v[34:35], s[6:7], v[30:31], -v[34:35]
	v_fmac_f64_e32 v[32:33], s[8:9], v[30:31]
	s_delay_alu instid0(VALU_DEP_2) | instskip(NEXT) | instid1(VALU_DEP_2)
	v_add_f64_e32 v[30:31], v[2:3], v[34:35]
	v_add_f64_e32 v[32:33], v[4:5], v[32:33]
	flat_store_b128 v[28:29], v[30:33]
.LBB416_29:                             ;   in Loop: Header=BB416_7 Depth=1
	s_and_not1_b32 vcc_lo, exec_lo, s29
	s_cbranch_vccnz .LBB416_31
; %bb.30:                               ;   in Loop: Header=BB416_7 Depth=1
	flat_store_b128 v[28:29], v[2:5]
.LBB416_31:                             ;   in Loop: Header=BB416_7 Depth=1
	s_wait_xcnt 0x0
	s_or_b32 exec_lo, exec_lo, s28
	s_and_saveexec_b32 s28, s1
	s_cbranch_execz .LBB416_6
; %bb.32:                               ;   in Loop: Header=BB416_7 Depth=1
	s_delay_alu instid0(VALU_DEP_4) | instskip(SKIP_3) | instid1(VALU_DEP_2)
	v_mul_f64_e32 v[2:3], s[14:15], v[24:25]
	v_mul_f64_e32 v[4:5], s[12:13], v[24:25]
	s_and_not1_b32 vcc_lo, exec_lo, s34
	s_mov_b32 s29, -1
	v_fma_f64 v[2:3], s[12:13], v[22:23], -v[2:3]
	s_delay_alu instid0(VALU_DEP_2)
	v_fmac_f64_e32 v[4:5], s[14:15], v[22:23]
	v_lshl_add_u64 v[22:23], v[14:15], 4, v[26:27]
	s_cbranch_vccnz .LBB416_34
; %bb.33:                               ;   in Loop: Header=BB416_7 Depth=1
	flat_load_b128 v[24:27], v[22:23]
	s_mov_b32 s29, 0
	s_wait_loadcnt_dscnt 0x0
	v_mul_f64_e32 v[28:29], s[8:9], v[26:27]
	v_mul_f64_e32 v[26:27], s[6:7], v[26:27]
	s_delay_alu instid0(VALU_DEP_2) | instskip(NEXT) | instid1(VALU_DEP_2)
	v_fma_f64 v[28:29], s[6:7], v[24:25], -v[28:29]
	v_fmac_f64_e32 v[26:27], s[8:9], v[24:25]
	s_delay_alu instid0(VALU_DEP_2) | instskip(NEXT) | instid1(VALU_DEP_2)
	v_add_f64_e32 v[24:25], v[2:3], v[28:29]
	v_add_f64_e32 v[26:27], v[4:5], v[26:27]
	flat_store_b128 v[22:23], v[24:27]
.LBB416_34:                             ;   in Loop: Header=BB416_7 Depth=1
	s_and_not1_b32 vcc_lo, exec_lo, s29
	s_cbranch_vccnz .LBB416_6
; %bb.35:                               ;   in Loop: Header=BB416_7 Depth=1
	flat_store_b128 v[22:23], v[2:5]
	s_branch .LBB416_6
.LBB416_36:
.LBB416_37:
	s_sendmsg sendmsg(MSG_DEALLOC_VGPRS)
	s_endpgm
	.section	.rodata,"a",@progbits
	.p2align	6, 0x0
	.amdhsa_kernel _ZL29rocblas_internal_gemmt_kernelIiLi16ELi32ELi8ELc78ELc67ELc85ELb0ELb1E19rocblas_complex_numIdES1_PKPKS1_PKPS1_EviT_T9_T10_S9_lSB_S9_lSA_T11_S9_li
		.amdhsa_group_segment_fixed_size 8192
		.amdhsa_private_segment_fixed_size 0
		.amdhsa_kernarg_size 116
		.amdhsa_user_sgpr_count 2
		.amdhsa_user_sgpr_dispatch_ptr 0
		.amdhsa_user_sgpr_queue_ptr 0
		.amdhsa_user_sgpr_kernarg_segment_ptr 1
		.amdhsa_user_sgpr_dispatch_id 0
		.amdhsa_user_sgpr_kernarg_preload_length 0
		.amdhsa_user_sgpr_kernarg_preload_offset 0
		.amdhsa_user_sgpr_private_segment_size 0
		.amdhsa_wavefront_size32 1
		.amdhsa_uses_dynamic_stack 0
		.amdhsa_enable_private_segment 0
		.amdhsa_system_sgpr_workgroup_id_x 1
		.amdhsa_system_sgpr_workgroup_id_y 1
		.amdhsa_system_sgpr_workgroup_id_z 1
		.amdhsa_system_sgpr_workgroup_info 0
		.amdhsa_system_vgpr_workitem_id 1
		.amdhsa_next_free_vgpr 132
		.amdhsa_next_free_sgpr 41
		.amdhsa_named_barrier_count 0
		.amdhsa_reserve_vcc 1
		.amdhsa_float_round_mode_32 0
		.amdhsa_float_round_mode_16_64 0
		.amdhsa_float_denorm_mode_32 3
		.amdhsa_float_denorm_mode_16_64 3
		.amdhsa_fp16_overflow 0
		.amdhsa_memory_ordered 1
		.amdhsa_forward_progress 1
		.amdhsa_inst_pref_size 24
		.amdhsa_round_robin_scheduling 0
		.amdhsa_exception_fp_ieee_invalid_op 0
		.amdhsa_exception_fp_denorm_src 0
		.amdhsa_exception_fp_ieee_div_zero 0
		.amdhsa_exception_fp_ieee_overflow 0
		.amdhsa_exception_fp_ieee_underflow 0
		.amdhsa_exception_fp_ieee_inexact 0
		.amdhsa_exception_int_div_zero 0
	.end_amdhsa_kernel
	.section	.text._ZL29rocblas_internal_gemmt_kernelIiLi16ELi32ELi8ELc78ELc67ELc85ELb0ELb1E19rocblas_complex_numIdES1_PKPKS1_PKPS1_EviT_T9_T10_S9_lSB_S9_lSA_T11_S9_li,"axG",@progbits,_ZL29rocblas_internal_gemmt_kernelIiLi16ELi32ELi8ELc78ELc67ELc85ELb0ELb1E19rocblas_complex_numIdES1_PKPKS1_PKPS1_EviT_T9_T10_S9_lSB_S9_lSA_T11_S9_li,comdat
.Lfunc_end416:
	.size	_ZL29rocblas_internal_gemmt_kernelIiLi16ELi32ELi8ELc78ELc67ELc85ELb0ELb1E19rocblas_complex_numIdES1_PKPKS1_PKPS1_EviT_T9_T10_S9_lSB_S9_lSA_T11_S9_li, .Lfunc_end416-_ZL29rocblas_internal_gemmt_kernelIiLi16ELi32ELi8ELc78ELc67ELc85ELb0ELb1E19rocblas_complex_numIdES1_PKPKS1_PKPS1_EviT_T9_T10_S9_lSB_S9_lSA_T11_S9_li
                                        ; -- End function
	.set _ZL29rocblas_internal_gemmt_kernelIiLi16ELi32ELi8ELc78ELc67ELc85ELb0ELb1E19rocblas_complex_numIdES1_PKPKS1_PKPS1_EviT_T9_T10_S9_lSB_S9_lSA_T11_S9_li.num_vgpr, 132
	.set _ZL29rocblas_internal_gemmt_kernelIiLi16ELi32ELi8ELc78ELc67ELc85ELb0ELb1E19rocblas_complex_numIdES1_PKPKS1_PKPS1_EviT_T9_T10_S9_lSB_S9_lSA_T11_S9_li.num_agpr, 0
	.set _ZL29rocblas_internal_gemmt_kernelIiLi16ELi32ELi8ELc78ELc67ELc85ELb0ELb1E19rocblas_complex_numIdES1_PKPKS1_PKPS1_EviT_T9_T10_S9_lSB_S9_lSA_T11_S9_li.numbered_sgpr, 41
	.set _ZL29rocblas_internal_gemmt_kernelIiLi16ELi32ELi8ELc78ELc67ELc85ELb0ELb1E19rocblas_complex_numIdES1_PKPKS1_PKPS1_EviT_T9_T10_S9_lSB_S9_lSA_T11_S9_li.num_named_barrier, 0
	.set _ZL29rocblas_internal_gemmt_kernelIiLi16ELi32ELi8ELc78ELc67ELc85ELb0ELb1E19rocblas_complex_numIdES1_PKPKS1_PKPS1_EviT_T9_T10_S9_lSB_S9_lSA_T11_S9_li.private_seg_size, 0
	.set _ZL29rocblas_internal_gemmt_kernelIiLi16ELi32ELi8ELc78ELc67ELc85ELb0ELb1E19rocblas_complex_numIdES1_PKPKS1_PKPS1_EviT_T9_T10_S9_lSB_S9_lSA_T11_S9_li.uses_vcc, 1
	.set _ZL29rocblas_internal_gemmt_kernelIiLi16ELi32ELi8ELc78ELc67ELc85ELb0ELb1E19rocblas_complex_numIdES1_PKPKS1_PKPS1_EviT_T9_T10_S9_lSB_S9_lSA_T11_S9_li.uses_flat_scratch, 0
	.set _ZL29rocblas_internal_gemmt_kernelIiLi16ELi32ELi8ELc78ELc67ELc85ELb0ELb1E19rocblas_complex_numIdES1_PKPKS1_PKPS1_EviT_T9_T10_S9_lSB_S9_lSA_T11_S9_li.has_dyn_sized_stack, 0
	.set _ZL29rocblas_internal_gemmt_kernelIiLi16ELi32ELi8ELc78ELc67ELc85ELb0ELb1E19rocblas_complex_numIdES1_PKPKS1_PKPS1_EviT_T9_T10_S9_lSB_S9_lSA_T11_S9_li.has_recursion, 0
	.set _ZL29rocblas_internal_gemmt_kernelIiLi16ELi32ELi8ELc78ELc67ELc85ELb0ELb1E19rocblas_complex_numIdES1_PKPKS1_PKPS1_EviT_T9_T10_S9_lSB_S9_lSA_T11_S9_li.has_indirect_call, 0
	.section	.AMDGPU.csdata,"",@progbits
; Kernel info:
; codeLenInByte = 2952
; TotalNumSgprs: 43
; NumVgprs: 132
; ScratchSize: 0
; MemoryBound: 1
; FloatMode: 240
; IeeeMode: 1
; LDSByteSize: 8192 bytes/workgroup (compile time only)
; SGPRBlocks: 0
; VGPRBlocks: 8
; NumSGPRsForWavesPerEU: 43
; NumVGPRsForWavesPerEU: 132
; NamedBarCnt: 0
; Occupancy: 7
; WaveLimiterHint : 1
; COMPUTE_PGM_RSRC2:SCRATCH_EN: 0
; COMPUTE_PGM_RSRC2:USER_SGPR: 2
; COMPUTE_PGM_RSRC2:TRAP_HANDLER: 0
; COMPUTE_PGM_RSRC2:TGID_X_EN: 1
; COMPUTE_PGM_RSRC2:TGID_Y_EN: 1
; COMPUTE_PGM_RSRC2:TGID_Z_EN: 1
; COMPUTE_PGM_RSRC2:TIDIG_COMP_CNT: 1
	.section	.text._ZL29rocblas_internal_gemmt_kernelIiLi16ELi32ELi8ELc84ELc78ELc85ELb0ELb0E19rocblas_complex_numIdES1_PKPKS1_PKPS1_EviT_T9_T10_S9_lSB_S9_lSA_T11_S9_li,"axG",@progbits,_ZL29rocblas_internal_gemmt_kernelIiLi16ELi32ELi8ELc84ELc78ELc85ELb0ELb0E19rocblas_complex_numIdES1_PKPKS1_PKPS1_EviT_T9_T10_S9_lSB_S9_lSA_T11_S9_li,comdat
	.globl	_ZL29rocblas_internal_gemmt_kernelIiLi16ELi32ELi8ELc84ELc78ELc85ELb0ELb0E19rocblas_complex_numIdES1_PKPKS1_PKPS1_EviT_T9_T10_S9_lSB_S9_lSA_T11_S9_li ; -- Begin function _ZL29rocblas_internal_gemmt_kernelIiLi16ELi32ELi8ELc84ELc78ELc85ELb0ELb0E19rocblas_complex_numIdES1_PKPKS1_PKPS1_EviT_T9_T10_S9_lSB_S9_lSA_T11_S9_li
	.p2align	8
	.type	_ZL29rocblas_internal_gemmt_kernelIiLi16ELi32ELi8ELc84ELc78ELc85ELb0ELb0E19rocblas_complex_numIdES1_PKPKS1_PKPS1_EviT_T9_T10_S9_lSB_S9_lSA_T11_S9_li,@function
_ZL29rocblas_internal_gemmt_kernelIiLi16ELi32ELi8ELc84ELc78ELc85ELb0ELb0E19rocblas_complex_numIdES1_PKPKS1_PKPS1_EviT_T9_T10_S9_lSB_S9_lSA_T11_S9_li: ; @_ZL29rocblas_internal_gemmt_kernelIiLi16ELi32ELi8ELc84ELc78ELc85ELb0ELb0E19rocblas_complex_numIdES1_PKPKS1_PKPS1_EviT_T9_T10_S9_lSB_S9_lSA_T11_S9_li
; %bb.0:
	s_clause 0x2
	s_load_b256 s[4:11], s[0:1], 0x40
	s_load_b64 s[24:25], s[0:1], 0x0
	s_load_b128 s[12:15], s[0:1], 0x8
	s_wait_kmcnt 0x0
	v_cmp_eq_f64_e64 s2, s[6:7], 1.0
	v_cmp_eq_f64_e64 s33, s[8:9], 0
	s_and_b32 s2, s2, s33
	s_delay_alu instid0(SALU_CYCLE_1)
	s_and_not1_b32 vcc_lo, exec_lo, s2
	s_mov_b32 s2, -1
	s_cbranch_vccnz .LBB417_3
; %bb.1:
	s_cmp_lg_u32 s25, 0
	s_cbranch_scc0 .LBB417_38
; %bb.2:
	v_cmp_neq_f64_e64 s2, s[12:13], 0
	v_cmp_neq_f64_e64 s3, s[14:15], 0
	s_or_b32 s2, s2, s3
.LBB417_3:
	s_delay_alu instid0(SALU_CYCLE_1)
	s_and_b32 vcc_lo, exec_lo, s2
	s_cbranch_vccz .LBB417_39
; %bb.4:
	s_load_b32 s23, s[0:1], 0x70
	s_bfe_u32 s2, ttmp6, 0x40014
	s_lshr_b32 s3, ttmp7, 16
	s_add_co_i32 s2, s2, 1
	s_bfe_u32 s16, ttmp6, 0x40008
	s_mul_i32 s2, s3, s2
	s_getreg_b32 s34, hwreg(HW_REG_IB_STS2, 6, 4)
	s_add_co_i32 s16, s16, s2
	s_cmp_eq_u32 s34, 0
	s_mov_b32 s27, 0
	s_cselect_b32 s26, s3, s16
	s_wait_kmcnt 0x0
	s_cmp_ge_u32 s26, s23
	s_cbranch_scc1 .LBB417_39
; %bb.5:
	s_clause 0x2
	s_load_b96 s[20:22], s[0:1], 0x18
	s_load_b32 s2, s[0:1], 0x38
	s_load_b32 s30, s[0:1], 0x60
	v_and_b32_e32 v7, 0x3ff, v0
	v_bfe_u32 v11, v0, 10, 10
	s_clause 0x1
	s_load_b128 s[16:19], s[0:1], 0x28
	s_load_b64 s[28:29], s[0:1], 0x68
	s_wait_xcnt 0x0
	s_bfe_u32 s1, ttmp6, 0x4000c
	s_bfe_u32 s3, ttmp6, 0x40010
	s_and_b32 s37, ttmp7, 0xffff
	s_add_co_i32 s1, s1, 1
	s_add_co_i32 s38, s3, 1
	v_lshl_add_u32 v1, v11, 4, v7
	s_and_b32 s0, ttmp6, 15
	s_mul_i32 s39, ttmp9, s1
	s_mul_i32 s38, s37, s38
	s_bfe_u32 s40, ttmp6, 0x40004
	s_add_co_i32 s0, s0, s39
	s_add_co_i32 s40, s40, s38
	v_dual_lshrrev_b32 v38, 5, v1 :: v_dual_bitop2_b32 v6, 31, v1 bitop3:0x40
	s_wait_kmcnt 0x0
	s_ashr_i32 s1, s22, 31
	s_ashr_i32 s3, s2, 31
	;; [unrolled: 1-line block ×3, first 2 shown]
	s_cmp_eq_u32 s34, 0
	v_cmp_neq_f64_e64 s35, s[12:13], 0
	s_cselect_b32 s0, ttmp9, s0
	s_cselect_b32 s34, s37, s40
	s_lshl_b32 s37, s0, 5
	s_delay_alu instid0(SALU_CYCLE_1) | instskip(SKIP_3) | instid1(VALU_DEP_2)
	v_dual_lshrrev_b32 v8, 3, v1 :: v_dual_bitop2_b32 v2, s37, v6 bitop3:0x54
	s_lshl_b32 s34, s34, 5
	v_and_b32_e32 v39, 7, v0
	s_mov_b32 s0, s22
	v_dual_add_nc_u32 v0, s34, v8 :: v_dual_ashrrev_i32 v3, 31, v2
	v_cmp_neq_f64_e64 s36, s[14:15], 0
	v_cmp_gt_i32_e32 vcc_lo, s24, v2
	v_cmp_neq_f64_e64 s38, s[6:7], 0
	v_lshl_add_u32 v43, v11, 7, 0x1000
	v_mul_u64_e32 v[4:5], s[0:1], v[2:3]
	v_dual_lshlrev_b32 v3, 4, v6 :: v_dual_ashrrev_i32 v1, 31, v0
	v_add_nc_u32_e32 v14, s34, v11
	v_lshlrev_b32_e32 v16, 4, v39
	v_add_nc_u32_e32 v6, s37, v7
	s_delay_alu instid0(VALU_DEP_4)
	v_lshl_or_b32 v40, v38, 9, v3
	v_mul_u64_e32 v[18:19], s[2:3], v[0:1]
	v_dual_add_nc_u32 v2, 16, v14 :: v_dual_ashrrev_i32 v15, 31, v14
	v_lshl_or_b32 v1, v8, 7, v16
	v_dual_lshlrev_b32 v42, 4, v7 :: v_dual_add_nc_u32 v10, 16, v6
	v_ashrrev_i32_e32 v7, 31, v6
	s_delay_alu instid0(VALU_DEP_4) | instskip(SKIP_3) | instid1(VALU_DEP_4)
	v_ashrrev_i32_e32 v3, 31, v2
	v_mul_u64_e32 v[8:9], s[30:31], v[14:15]
	v_cmp_gt_i32_e64 s0, s24, v0
	v_dual_mov_b32 v0, 0 :: v_dual_add_nc_u32 v41, 0x1000, v1
	v_mul_u64_e32 v[12:13], s[30:31], v[2:3]
	v_cmp_gt_i32_e64 s1, s24, v14
	v_cmp_le_i32_e64 s2, v6, v14
	v_cmp_le_i32_e64 s3, v10, v14
	v_dual_mov_b32 v17, v0 :: v_dual_ashrrev_i32 v11, 31, v10
	s_or_b32 s35, s35, s36
	s_cmp_gt_i32 s25, 0
	s_cselect_b32 s36, -1, 0
	s_lshl_b64 s[16:17], s[16:17], 4
	s_lshl_b64 s[4:5], s[4:5], 4
	s_and_b32 s30, s1, s2
	s_and_b32 s31, s1, s3
	v_cmp_gt_i32_e64 s1, s24, v2
	v_cmp_le_i32_e64 s2, v6, v2
	v_cmp_le_i32_e64 s3, v10, v2
	v_lshl_add_u64 v[2:3], v[4:5], 4, s[16:17]
	v_dual_mov_b32 v5, v0 :: v_dual_lshlrev_b32 v4, 4, v38
	v_lshl_add_u64 v[18:19], v[18:19], 4, s[4:5]
	s_xor_b32 s22, s33, -1
	s_and_b32 s2, s1, s2
	s_or_b32 s22, s38, s22
	v_add_nc_u64_e32 v[14:15], v[2:3], v[4:5]
	v_add_nc_u64_e32 v[16:17], v[18:19], v[16:17]
	s_and_b32 s3, s1, s3
	s_and_b32 s4, s35, s36
	s_xor_b32 s5, vcc_lo, -1
	s_xor_b32 s16, s0, -1
	s_lshl_b64 s[0:1], s[28:29], 4
	s_branch .LBB417_7
.LBB417_6:                              ;   in Loop: Header=BB417_7 Depth=1
	s_wait_xcnt 0x0
	s_or_b32 exec_lo, exec_lo, s17
	s_add_co_i32 s26, s26, 0x10000
	s_delay_alu instid0(SALU_CYCLE_1)
	s_cmp_lt_u32 s26, s23
	s_cbranch_scc0 .LBB417_39
.LBB417_7:                              ; =>This Loop Header: Depth=1
                                        ;     Child Loop BB417_10 Depth 2
	v_mov_b32_e32 v1, s26
	v_mov_b64_e32 v[34:35], 0
	v_mov_b64_e32 v[36:37], 0
	;; [unrolled: 1-line block ×4, first 2 shown]
	global_load_b64 v[4:5], v1, s[10:11] scale_offset
	v_mov_b64_e32 v[22:23], 0
	v_mov_b64_e32 v[24:25], 0
	v_mov_b64_e32 v[18:19], 0
	v_mov_b64_e32 v[20:21], 0
	s_and_not1_b32 vcc_lo, exec_lo, s4
	s_cbranch_vccnz .LBB417_18
; %bb.8:                                ;   in Loop: Header=BB417_7 Depth=1
	s_lshl_b64 s[28:29], s[26:27], 3
	v_mov_b64_e32 v[20:21], 0
	s_add_nc_u64 s[34:35], s[20:21], s[28:29]
	s_add_nc_u64 s[28:29], s[18:19], s[28:29]
	s_clause 0x1
	global_load_b64 v[2:3], v0, s[34:35]
	global_load_b64 v[28:29], v0, s[28:29]
	v_mov_b64_e32 v[18:19], 0
	v_mov_b64_e32 v[24:25], 0
	;; [unrolled: 1-line block ×7, first 2 shown]
	s_mov_b32 s17, 0
	s_wait_loadcnt 0x1
	v_add_nc_u64_e32 v[26:27], v[2:3], v[14:15]
	s_wait_loadcnt 0x0
	v_add_nc_u64_e32 v[28:29], v[28:29], v[16:17]
	s_branch .LBB417_10
.LBB417_9:                              ;   in Loop: Header=BB417_10 Depth=2
	s_wait_xcnt 0x0
	s_or_b32 exec_lo, exec_lo, s24
	s_wait_dscnt 0x0
	s_barrier_signal -1
	s_barrier_wait -1
	ds_load_b128 v[44:47], v43
	ds_load_b128 v[48:51], v42
	ds_load_b128 v[52:55], v42 offset:256
	ds_load_b128 v[56:59], v43 offset:2048
	;; [unrolled: 1-line block ×10, first 2 shown]
	v_add_nc_u64_e32 v[26:27], 0x80, v[26:27]
	v_add_nc_u64_e32 v[28:29], 0x80, v[28:29]
	s_add_co_i32 s17, s17, 8
	s_delay_alu instid0(SALU_CYCLE_1)
	s_cmp_lt_i32 s17, s25
	s_wait_dscnt 0xa
	v_mul_f64_e32 v[2:3], v[46:47], v[50:51]
	v_mul_f64_e32 v[92:93], v[44:45], v[50:51]
	s_wait_dscnt 0x9
	v_mul_f64_e32 v[94:95], v[46:47], v[54:55]
	v_mul_f64_e32 v[96:97], v[44:45], v[54:55]
	s_wait_dscnt 0x8
	v_mul_f64_e32 v[98:99], v[58:59], v[50:51]
	v_mul_f64_e32 v[100:101], v[56:57], v[50:51]
	v_mul_f64_e32 v[50:51], v[58:59], v[54:55]
	v_mul_f64_e32 v[102:103], v[56:57], v[54:55]
	s_wait_dscnt 0x6
	v_mul_f64_e32 v[104:105], v[62:63], v[66:67]
	v_mul_f64_e32 v[106:107], v[60:61], v[66:67]
	s_wait_dscnt 0x5
	v_mul_f64_e32 v[108:109], v[62:63], v[70:71]
	v_mul_f64_e32 v[110:111], v[60:61], v[70:71]
	s_wait_dscnt 0x4
	v_mul_f64_e32 v[112:113], v[74:75], v[66:67]
	v_mul_f64_e32 v[66:67], v[72:73], v[66:67]
	v_mul_f64_e32 v[114:115], v[74:75], v[70:71]
	v_mul_f64_e32 v[70:71], v[72:73], v[70:71]
	;; [unrolled: 11-line block ×3, first 2 shown]
	v_fma_f64 v[2:3], v[44:45], v[48:49], -v[2:3]
	v_fmac_f64_e32 v[92:93], v[46:47], v[48:49]
	v_fma_f64 v[94:95], v[44:45], v[52:53], -v[94:95]
	v_fmac_f64_e32 v[96:97], v[46:47], v[52:53]
	;; [unrolled: 2-line block ×8, first 2 shown]
	ds_load_b128 v[44:47], v43 offset:48
	ds_load_b128 v[48:51], v43 offset:2096
	;; [unrolled: 1-line block ×4, first 2 shown]
	v_fma_f64 v[118:119], v[76:77], v[80:81], -v[118:119]
	v_fmac_f64_e32 v[120:121], v[78:79], v[80:81]
	v_fma_f64 v[76:77], v[76:77], v[84:85], -v[122:123]
	v_fmac_f64_e32 v[124:125], v[78:79], v[84:85]
	;; [unrolled: 2-line block ×4, first 2 shown]
	v_add_f64_e32 v[2:3], v[34:35], v[2:3]
	v_add_f64_e32 v[68:69], v[92:93], v[36:37]
	;; [unrolled: 1-line block ×8, first 2 shown]
	s_wait_dscnt 0x1
	v_mul_f64_e32 v[100:101], v[46:47], v[54:55]
	v_mul_f64_e32 v[102:103], v[44:45], v[54:55]
	s_wait_dscnt 0x0
	v_mul_f64_e32 v[108:109], v[46:47], v[58:59]
	v_mul_f64_e32 v[112:113], v[44:45], v[58:59]
	;; [unrolled: 1-line block ×6, first 2 shown]
	ds_load_b128 v[18:21], v43 offset:64
	ds_load_b128 v[22:25], v42 offset:2048
	;; [unrolled: 1-line block ×4, first 2 shown]
	v_add_f64_e32 v[2:3], v[2:3], v[104:105]
	v_add_f64_e32 v[84:85], v[106:107], v[68:69]
	;; [unrolled: 1-line block ×8, first 2 shown]
	s_wait_dscnt 0x2
	v_mul_f64_e32 v[98:99], v[20:21], v[24:25]
	v_mul_f64_e32 v[104:105], v[18:19], v[24:25]
	s_wait_dscnt 0x1
	v_mul_f64_e32 v[106:107], v[20:21], v[32:33]
	v_mul_f64_e32 v[110:111], v[18:19], v[32:33]
	s_wait_dscnt 0x0
	v_mul_f64_e32 v[122:123], v[36:37], v[24:25]
	v_mul_f64_e32 v[126:127], v[34:35], v[24:25]
	v_mul_f64_e32 v[24:25], v[36:37], v[32:33]
	v_mul_f64_e32 v[128:129], v[34:35], v[32:33]
	v_fma_f64 v[32:33], v[44:45], v[52:53], -v[100:101]
	v_fmac_f64_e32 v[102:103], v[46:47], v[52:53]
	v_fma_f64 v[100:101], v[44:45], v[56:57], -v[108:109]
	v_fmac_f64_e32 v[112:113], v[46:47], v[56:57]
	;; [unrolled: 2-line block ×4, first 2 shown]
	ds_load_b128 v[58:61], v43 offset:80
	ds_load_b128 v[62:65], v43 offset:2128
	;; [unrolled: 1-line block ×4, first 2 shown]
	v_add_f64_e32 v[2:3], v[2:3], v[118:119]
	v_add_f64_e32 v[56:57], v[120:121], v[84:85]
	;; [unrolled: 1-line block ×8, first 2 shown]
	v_fma_f64 v[98:99], v[18:19], v[22:23], -v[98:99]
	v_fmac_f64_e32 v[104:105], v[20:21], v[22:23]
	v_fma_f64 v[106:107], v[18:19], v[30:31], -v[106:107]
	s_wait_dscnt 0x1
	v_mul_f64_e32 v[90:91], v[60:61], v[68:69]
	v_mul_f64_e32 v[92:93], v[58:59], v[68:69]
	s_wait_dscnt 0x0
	v_mul_f64_e32 v[94:95], v[60:61], v[72:73]
	v_mul_f64_e32 v[96:97], v[58:59], v[72:73]
	;; [unrolled: 1-line block ×6, first 2 shown]
	v_fmac_f64_e32 v[110:111], v[20:21], v[30:31]
	v_fma_f64 v[122:123], v[34:35], v[22:23], -v[122:123]
	v_fmac_f64_e32 v[126:127], v[36:37], v[22:23]
	v_fma_f64 v[124:125], v[34:35], v[30:31], -v[24:25]
	v_fmac_f64_e32 v[128:129], v[36:37], v[30:31]
	ds_load_b128 v[44:47], v43 offset:96
	ds_load_b128 v[48:51], v42 offset:3072
	;; [unrolled: 1-line block ×4, first 2 shown]
	v_add_f64_e32 v[2:3], v[2:3], v[32:33]
	v_add_f64_e32 v[56:57], v[102:103], v[56:57]
	;; [unrolled: 1-line block ×8, first 2 shown]
	ds_load_b128 v[18:21], v43 offset:112
	ds_load_b128 v[22:25], v43 offset:2160
	;; [unrolled: 1-line block ×4, first 2 shown]
	s_wait_dscnt 0x0
	v_mul_f64_e32 v[100:101], v[46:47], v[50:51]
	v_mul_f64_e32 v[102:103], v[44:45], v[50:51]
	;; [unrolled: 1-line block ×8, first 2 shown]
	v_fma_f64 v[90:91], v[58:59], v[66:67], -v[90:91]
	v_fmac_f64_e32 v[92:93], v[60:61], v[66:67]
	v_fma_f64 v[58:59], v[58:59], v[70:71], -v[94:95]
	v_fmac_f64_e32 v[96:97], v[60:61], v[70:71]
	;; [unrolled: 2-line block ×4, first 2 shown]
	s_barrier_signal -1
	s_barrier_wait -1
	v_mul_f64_e32 v[94:95], v[18:19], v[36:37]
	v_add_f64_e32 v[2:3], v[2:3], v[98:99]
	v_add_f64_e32 v[56:57], v[104:105], v[56:57]
	;; [unrolled: 1-line block ×8, first 2 shown]
	v_mul_f64_e32 v[84:85], v[20:21], v[32:33]
	v_mul_f64_e32 v[86:87], v[18:19], v[32:33]
	;; [unrolled: 1-line block ×7, first 2 shown]
	v_fma_f64 v[36:37], v[44:45], v[48:49], -v[100:101]
	v_fmac_f64_e32 v[102:103], v[46:47], v[48:49]
	v_fma_f64 v[44:45], v[44:45], v[52:53], -v[108:109]
	v_fmac_f64_e32 v[112:113], v[46:47], v[52:53]
	;; [unrolled: 2-line block ×4, first 2 shown]
	v_fmac_f64_e32 v[94:95], v[20:21], v[34:35]
	v_add_f64_e32 v[2:3], v[2:3], v[90:91]
	v_add_f64_e32 v[52:53], v[92:93], v[56:57]
	;; [unrolled: 1-line block ×8, first 2 shown]
	v_fma_f64 v[68:69], v[18:19], v[30:31], -v[84:85]
	v_fmac_f64_e32 v[86:87], v[20:21], v[30:31]
	v_fma_f64 v[18:19], v[18:19], v[34:35], -v[88:89]
	v_fma_f64 v[20:21], v[22:23], v[30:31], -v[98:99]
	v_fmac_f64_e32 v[104:105], v[24:25], v[30:31]
	v_fma_f64 v[70:71], v[22:23], v[34:35], -v[32:33]
	v_fmac_f64_e32 v[106:107], v[24:25], v[34:35]
	v_add_f64_e32 v[2:3], v[2:3], v[36:37]
	v_add_f64_e32 v[22:23], v[102:103], v[52:53]
	;; [unrolled: 1-line block ×16, first 2 shown]
	s_cbranch_scc0 .LBB417_18
.LBB417_10:                             ;   Parent Loop BB417_7 Depth=1
                                        ; =>  This Inner Loop Header: Depth=2
	s_wait_xcnt 0x2
	v_add_nc_u32_e32 v1, s17, v38
	s_delay_alu instid0(VALU_DEP_1) | instskip(SKIP_3) | instid1(SALU_CYCLE_1)
	v_cmp_le_i32_e32 vcc_lo, s25, v1
	s_or_b32 s24, s5, vcc_lo
	s_wait_xcnt 0x0
	s_and_saveexec_b32 s28, s24
	s_xor_b32 s24, exec_lo, s28
; %bb.11:                               ;   in Loop: Header=BB417_10 Depth=2
	v_dual_mov_b32 v1, v0 :: v_dual_mov_b32 v2, v0
	v_mov_b32_e32 v3, v0
	ds_store_b128 v40, v[0:3]
; %bb.12:                               ;   in Loop: Header=BB417_10 Depth=2
	s_and_not1_saveexec_b32 s24, s24
	s_cbranch_execz .LBB417_14
; %bb.13:                               ;   in Loop: Header=BB417_10 Depth=2
	flat_load_b128 v[44:47], v[26:27]
	s_wait_loadcnt_dscnt 0x0
	ds_store_2addr_b64 v40, v[44:45], v[46:47] offset1:1
.LBB417_14:                             ;   in Loop: Header=BB417_10 Depth=2
	s_wait_xcnt 0x0
	s_or_b32 exec_lo, exec_lo, s24
	v_add_nc_u32_e32 v1, s17, v39
	s_delay_alu instid0(VALU_DEP_1) | instskip(SKIP_1) | instid1(SALU_CYCLE_1)
	v_cmp_le_i32_e32 vcc_lo, s25, v1
	s_or_b32 s24, vcc_lo, s16
	s_and_saveexec_b32 s28, s24
	s_delay_alu instid0(SALU_CYCLE_1)
	s_xor_b32 s24, exec_lo, s28
; %bb.15:                               ;   in Loop: Header=BB417_10 Depth=2
	v_dual_mov_b32 v1, v0 :: v_dual_mov_b32 v2, v0
	v_mov_b32_e32 v3, v0
	ds_store_b128 v41, v[0:3]
; %bb.16:                               ;   in Loop: Header=BB417_10 Depth=2
	s_and_not1_saveexec_b32 s24, s24
	s_cbranch_execz .LBB417_9
; %bb.17:                               ;   in Loop: Header=BB417_10 Depth=2
	flat_load_b128 v[44:47], v[28:29]
	s_wait_loadcnt_dscnt 0x0
	ds_store_2addr_b64 v41, v[44:45], v[46:47] offset1:1
	s_branch .LBB417_9
.LBB417_18:                             ;   in Loop: Header=BB417_7 Depth=1
	s_wait_loadcnt 0x0
	v_add_nc_u64_e32 v[26:27], s[0:1], v[4:5]
	s_delay_alu instid0(VALU_DEP_1)
	v_lshl_add_u64 v[28:29], v[8:9], 4, v[26:27]
	s_wait_xcnt 0x0
	s_and_saveexec_b32 s17, s30
	s_cbranch_execz .LBB417_23
; %bb.19:                               ;   in Loop: Header=BB417_7 Depth=1
	v_mul_f64_e32 v[2:3], s[14:15], v[36:37]
	v_mul_f64_e32 v[4:5], s[12:13], v[36:37]
	s_and_b32 vcc_lo, exec_lo, s22
	s_mov_b32 s24, -1
	s_delay_alu instid0(VALU_DEP_2) | instskip(NEXT) | instid1(VALU_DEP_2)
	v_fma_f64 v[2:3], s[12:13], v[34:35], -v[2:3]
	v_fmac_f64_e32 v[4:5], s[14:15], v[34:35]
	v_lshl_add_u64 v[34:35], v[6:7], 4, v[28:29]
	s_cbranch_vccz .LBB417_21
; %bb.20:                               ;   in Loop: Header=BB417_7 Depth=1
	flat_load_b128 v[44:47], v[34:35]
	s_mov_b32 s24, 0
	s_wait_loadcnt_dscnt 0x0
	v_mul_f64_e32 v[36:37], s[8:9], v[46:47]
	v_mul_f64_e32 v[46:47], s[6:7], v[46:47]
	s_delay_alu instid0(VALU_DEP_2) | instskip(NEXT) | instid1(VALU_DEP_2)
	v_fma_f64 v[36:37], s[6:7], v[44:45], -v[36:37]
	v_fmac_f64_e32 v[46:47], s[8:9], v[44:45]
	s_delay_alu instid0(VALU_DEP_2) | instskip(NEXT) | instid1(VALU_DEP_2)
	v_add_f64_e32 v[44:45], v[2:3], v[36:37]
	v_add_f64_e32 v[46:47], v[4:5], v[46:47]
	flat_store_b128 v[34:35], v[44:47]
.LBB417_21:                             ;   in Loop: Header=BB417_7 Depth=1
	s_and_not1_b32 vcc_lo, exec_lo, s24
	s_cbranch_vccnz .LBB417_23
; %bb.22:                               ;   in Loop: Header=BB417_7 Depth=1
	flat_store_b128 v[34:35], v[2:5]
.LBB417_23:                             ;   in Loop: Header=BB417_7 Depth=1
	s_wait_xcnt 0x0
	s_or_b32 exec_lo, exec_lo, s17
	s_and_saveexec_b32 s17, s31
	s_cbranch_execz .LBB417_28
; %bb.24:                               ;   in Loop: Header=BB417_7 Depth=1
	v_mul_f64_e32 v[2:3], s[14:15], v[32:33]
	v_mul_f64_e32 v[4:5], s[12:13], v[32:33]
	v_lshl_add_u64 v[28:29], v[10:11], 4, v[28:29]
	s_and_not1_b32 vcc_lo, exec_lo, s22
	s_mov_b32 s24, -1
	s_delay_alu instid0(VALU_DEP_3) | instskip(NEXT) | instid1(VALU_DEP_3)
	v_fma_f64 v[2:3], s[12:13], v[30:31], -v[2:3]
	v_fmac_f64_e32 v[4:5], s[14:15], v[30:31]
	s_cbranch_vccnz .LBB417_26
; %bb.25:                               ;   in Loop: Header=BB417_7 Depth=1
	flat_load_b128 v[30:33], v[28:29]
	s_mov_b32 s24, 0
	s_wait_loadcnt_dscnt 0x0
	v_mul_f64_e32 v[34:35], s[8:9], v[32:33]
	v_mul_f64_e32 v[32:33], s[6:7], v[32:33]
	s_delay_alu instid0(VALU_DEP_2) | instskip(NEXT) | instid1(VALU_DEP_2)
	v_fma_f64 v[34:35], s[6:7], v[30:31], -v[34:35]
	v_fmac_f64_e32 v[32:33], s[8:9], v[30:31]
	s_delay_alu instid0(VALU_DEP_2) | instskip(NEXT) | instid1(VALU_DEP_2)
	v_add_f64_e32 v[30:31], v[2:3], v[34:35]
	v_add_f64_e32 v[32:33], v[4:5], v[32:33]
	flat_store_b128 v[28:29], v[30:33]
.LBB417_26:                             ;   in Loop: Header=BB417_7 Depth=1
	s_and_not1_b32 vcc_lo, exec_lo, s24
	s_cbranch_vccnz .LBB417_28
; %bb.27:                               ;   in Loop: Header=BB417_7 Depth=1
	flat_store_b128 v[28:29], v[2:5]
.LBB417_28:                             ;   in Loop: Header=BB417_7 Depth=1
	s_wait_xcnt 0x0
	s_or_b32 exec_lo, exec_lo, s17
	v_lshl_add_u64 v[26:27], v[12:13], 4, v[26:27]
	s_and_saveexec_b32 s17, s2
	s_cbranch_execz .LBB417_33
; %bb.29:                               ;   in Loop: Header=BB417_7 Depth=1
	v_mul_f64_e32 v[2:3], s[14:15], v[24:25]
	v_mul_f64_e32 v[4:5], s[12:13], v[24:25]
	s_and_not1_b32 vcc_lo, exec_lo, s22
	s_mov_b32 s24, -1
	s_delay_alu instid0(VALU_DEP_2) | instskip(NEXT) | instid1(VALU_DEP_2)
	v_fma_f64 v[2:3], s[12:13], v[22:23], -v[2:3]
	v_fmac_f64_e32 v[4:5], s[14:15], v[22:23]
	v_lshl_add_u64 v[22:23], v[6:7], 4, v[26:27]
	s_cbranch_vccnz .LBB417_31
; %bb.30:                               ;   in Loop: Header=BB417_7 Depth=1
	flat_load_b128 v[28:31], v[22:23]
	s_mov_b32 s24, 0
	s_wait_loadcnt_dscnt 0x0
	v_mul_f64_e32 v[24:25], s[8:9], v[30:31]
	v_mul_f64_e32 v[30:31], s[6:7], v[30:31]
	s_delay_alu instid0(VALU_DEP_2) | instskip(NEXT) | instid1(VALU_DEP_2)
	v_fma_f64 v[24:25], s[6:7], v[28:29], -v[24:25]
	v_fmac_f64_e32 v[30:31], s[8:9], v[28:29]
	s_delay_alu instid0(VALU_DEP_2) | instskip(NEXT) | instid1(VALU_DEP_2)
	v_add_f64_e32 v[28:29], v[2:3], v[24:25]
	v_add_f64_e32 v[30:31], v[4:5], v[30:31]
	flat_store_b128 v[22:23], v[28:31]
.LBB417_31:                             ;   in Loop: Header=BB417_7 Depth=1
	s_and_not1_b32 vcc_lo, exec_lo, s24
	s_cbranch_vccnz .LBB417_33
; %bb.32:                               ;   in Loop: Header=BB417_7 Depth=1
	flat_store_b128 v[22:23], v[2:5]
.LBB417_33:                             ;   in Loop: Header=BB417_7 Depth=1
	s_wait_xcnt 0x0
	s_or_b32 exec_lo, exec_lo, s17
	s_and_saveexec_b32 s17, s3
	s_cbranch_execz .LBB417_6
; %bb.34:                               ;   in Loop: Header=BB417_7 Depth=1
	s_delay_alu instid0(VALU_DEP_4) | instskip(SKIP_3) | instid1(VALU_DEP_2)
	v_mul_f64_e32 v[2:3], s[14:15], v[20:21]
	v_mul_f64_e32 v[4:5], s[12:13], v[20:21]
	s_and_not1_b32 vcc_lo, exec_lo, s22
	s_mov_b32 s24, -1
	v_fma_f64 v[2:3], s[12:13], v[18:19], -v[2:3]
	s_delay_alu instid0(VALU_DEP_2)
	v_fmac_f64_e32 v[4:5], s[14:15], v[18:19]
	v_lshl_add_u64 v[18:19], v[10:11], 4, v[26:27]
	s_cbranch_vccnz .LBB417_36
; %bb.35:                               ;   in Loop: Header=BB417_7 Depth=1
	flat_load_b128 v[20:23], v[18:19]
	s_mov_b32 s24, 0
	s_wait_loadcnt_dscnt 0x0
	v_mul_f64_e32 v[24:25], s[8:9], v[22:23]
	v_mul_f64_e32 v[22:23], s[6:7], v[22:23]
	s_delay_alu instid0(VALU_DEP_2) | instskip(NEXT) | instid1(VALU_DEP_2)
	v_fma_f64 v[24:25], s[6:7], v[20:21], -v[24:25]
	v_fmac_f64_e32 v[22:23], s[8:9], v[20:21]
	s_delay_alu instid0(VALU_DEP_2) | instskip(NEXT) | instid1(VALU_DEP_2)
	v_add_f64_e32 v[20:21], v[2:3], v[24:25]
	v_add_f64_e32 v[22:23], v[4:5], v[22:23]
	flat_store_b128 v[18:19], v[20:23]
.LBB417_36:                             ;   in Loop: Header=BB417_7 Depth=1
	s_and_not1_b32 vcc_lo, exec_lo, s24
	s_cbranch_vccnz .LBB417_6
; %bb.37:                               ;   in Loop: Header=BB417_7 Depth=1
	flat_store_b128 v[18:19], v[2:5]
	s_branch .LBB417_6
.LBB417_38:
.LBB417_39:
	s_sendmsg sendmsg(MSG_DEALLOC_VGPRS)
	s_endpgm
	.section	.rodata,"a",@progbits
	.p2align	6, 0x0
	.amdhsa_kernel _ZL29rocblas_internal_gemmt_kernelIiLi16ELi32ELi8ELc84ELc78ELc85ELb0ELb0E19rocblas_complex_numIdES1_PKPKS1_PKPS1_EviT_T9_T10_S9_lSB_S9_lSA_T11_S9_li
		.amdhsa_group_segment_fixed_size 8192
		.amdhsa_private_segment_fixed_size 0
		.amdhsa_kernarg_size 116
		.amdhsa_user_sgpr_count 2
		.amdhsa_user_sgpr_dispatch_ptr 0
		.amdhsa_user_sgpr_queue_ptr 0
		.amdhsa_user_sgpr_kernarg_segment_ptr 1
		.amdhsa_user_sgpr_dispatch_id 0
		.amdhsa_user_sgpr_kernarg_preload_length 0
		.amdhsa_user_sgpr_kernarg_preload_offset 0
		.amdhsa_user_sgpr_private_segment_size 0
		.amdhsa_wavefront_size32 1
		.amdhsa_uses_dynamic_stack 0
		.amdhsa_enable_private_segment 0
		.amdhsa_system_sgpr_workgroup_id_x 1
		.amdhsa_system_sgpr_workgroup_id_y 1
		.amdhsa_system_sgpr_workgroup_id_z 1
		.amdhsa_system_sgpr_workgroup_info 0
		.amdhsa_system_vgpr_workitem_id 1
		.amdhsa_next_free_vgpr 132
		.amdhsa_next_free_sgpr 41
		.amdhsa_named_barrier_count 0
		.amdhsa_reserve_vcc 1
		.amdhsa_float_round_mode_32 0
		.amdhsa_float_round_mode_16_64 0
		.amdhsa_float_denorm_mode_32 3
		.amdhsa_float_denorm_mode_16_64 3
		.amdhsa_fp16_overflow 0
		.amdhsa_memory_ordered 1
		.amdhsa_forward_progress 1
		.amdhsa_inst_pref_size 24
		.amdhsa_round_robin_scheduling 0
		.amdhsa_exception_fp_ieee_invalid_op 0
		.amdhsa_exception_fp_denorm_src 0
		.amdhsa_exception_fp_ieee_div_zero 0
		.amdhsa_exception_fp_ieee_overflow 0
		.amdhsa_exception_fp_ieee_underflow 0
		.amdhsa_exception_fp_ieee_inexact 0
		.amdhsa_exception_int_div_zero 0
	.end_amdhsa_kernel
	.section	.text._ZL29rocblas_internal_gemmt_kernelIiLi16ELi32ELi8ELc84ELc78ELc85ELb0ELb0E19rocblas_complex_numIdES1_PKPKS1_PKPS1_EviT_T9_T10_S9_lSB_S9_lSA_T11_S9_li,"axG",@progbits,_ZL29rocblas_internal_gemmt_kernelIiLi16ELi32ELi8ELc84ELc78ELc85ELb0ELb0E19rocblas_complex_numIdES1_PKPKS1_PKPS1_EviT_T9_T10_S9_lSB_S9_lSA_T11_S9_li,comdat
.Lfunc_end417:
	.size	_ZL29rocblas_internal_gemmt_kernelIiLi16ELi32ELi8ELc84ELc78ELc85ELb0ELb0E19rocblas_complex_numIdES1_PKPKS1_PKPS1_EviT_T9_T10_S9_lSB_S9_lSA_T11_S9_li, .Lfunc_end417-_ZL29rocblas_internal_gemmt_kernelIiLi16ELi32ELi8ELc84ELc78ELc85ELb0ELb0E19rocblas_complex_numIdES1_PKPKS1_PKPS1_EviT_T9_T10_S9_lSB_S9_lSA_T11_S9_li
                                        ; -- End function
	.set _ZL29rocblas_internal_gemmt_kernelIiLi16ELi32ELi8ELc84ELc78ELc85ELb0ELb0E19rocblas_complex_numIdES1_PKPKS1_PKPS1_EviT_T9_T10_S9_lSB_S9_lSA_T11_S9_li.num_vgpr, 132
	.set _ZL29rocblas_internal_gemmt_kernelIiLi16ELi32ELi8ELc84ELc78ELc85ELb0ELb0E19rocblas_complex_numIdES1_PKPKS1_PKPS1_EviT_T9_T10_S9_lSB_S9_lSA_T11_S9_li.num_agpr, 0
	.set _ZL29rocblas_internal_gemmt_kernelIiLi16ELi32ELi8ELc84ELc78ELc85ELb0ELb0E19rocblas_complex_numIdES1_PKPKS1_PKPS1_EviT_T9_T10_S9_lSB_S9_lSA_T11_S9_li.numbered_sgpr, 41
	.set _ZL29rocblas_internal_gemmt_kernelIiLi16ELi32ELi8ELc84ELc78ELc85ELb0ELb0E19rocblas_complex_numIdES1_PKPKS1_PKPS1_EviT_T9_T10_S9_lSB_S9_lSA_T11_S9_li.num_named_barrier, 0
	.set _ZL29rocblas_internal_gemmt_kernelIiLi16ELi32ELi8ELc84ELc78ELc85ELb0ELb0E19rocblas_complex_numIdES1_PKPKS1_PKPS1_EviT_T9_T10_S9_lSB_S9_lSA_T11_S9_li.private_seg_size, 0
	.set _ZL29rocblas_internal_gemmt_kernelIiLi16ELi32ELi8ELc84ELc78ELc85ELb0ELb0E19rocblas_complex_numIdES1_PKPKS1_PKPS1_EviT_T9_T10_S9_lSB_S9_lSA_T11_S9_li.uses_vcc, 1
	.set _ZL29rocblas_internal_gemmt_kernelIiLi16ELi32ELi8ELc84ELc78ELc85ELb0ELb0E19rocblas_complex_numIdES1_PKPKS1_PKPS1_EviT_T9_T10_S9_lSB_S9_lSA_T11_S9_li.uses_flat_scratch, 0
	.set _ZL29rocblas_internal_gemmt_kernelIiLi16ELi32ELi8ELc84ELc78ELc85ELb0ELb0E19rocblas_complex_numIdES1_PKPKS1_PKPS1_EviT_T9_T10_S9_lSB_S9_lSA_T11_S9_li.has_dyn_sized_stack, 0
	.set _ZL29rocblas_internal_gemmt_kernelIiLi16ELi32ELi8ELc84ELc78ELc85ELb0ELb0E19rocblas_complex_numIdES1_PKPKS1_PKPS1_EviT_T9_T10_S9_lSB_S9_lSA_T11_S9_li.has_recursion, 0
	.set _ZL29rocblas_internal_gemmt_kernelIiLi16ELi32ELi8ELc84ELc78ELc85ELb0ELb0E19rocblas_complex_numIdES1_PKPKS1_PKPS1_EviT_T9_T10_S9_lSB_S9_lSA_T11_S9_li.has_indirect_call, 0
	.section	.AMDGPU.csdata,"",@progbits
; Kernel info:
; codeLenInByte = 2976
; TotalNumSgprs: 43
; NumVgprs: 132
; ScratchSize: 0
; MemoryBound: 0
; FloatMode: 240
; IeeeMode: 1
; LDSByteSize: 8192 bytes/workgroup (compile time only)
; SGPRBlocks: 0
; VGPRBlocks: 8
; NumSGPRsForWavesPerEU: 43
; NumVGPRsForWavesPerEU: 132
; NamedBarCnt: 0
; Occupancy: 7
; WaveLimiterHint : 1
; COMPUTE_PGM_RSRC2:SCRATCH_EN: 0
; COMPUTE_PGM_RSRC2:USER_SGPR: 2
; COMPUTE_PGM_RSRC2:TRAP_HANDLER: 0
; COMPUTE_PGM_RSRC2:TGID_X_EN: 1
; COMPUTE_PGM_RSRC2:TGID_Y_EN: 1
; COMPUTE_PGM_RSRC2:TGID_Z_EN: 1
; COMPUTE_PGM_RSRC2:TIDIG_COMP_CNT: 1
	.section	.text._ZL29rocblas_internal_gemmt_kernelIiLi16ELi32ELi8ELc84ELc84ELc85ELb0ELb0E19rocblas_complex_numIdES1_PKPKS1_PKPS1_EviT_T9_T10_S9_lSB_S9_lSA_T11_S9_li,"axG",@progbits,_ZL29rocblas_internal_gemmt_kernelIiLi16ELi32ELi8ELc84ELc84ELc85ELb0ELb0E19rocblas_complex_numIdES1_PKPKS1_PKPS1_EviT_T9_T10_S9_lSB_S9_lSA_T11_S9_li,comdat
	.globl	_ZL29rocblas_internal_gemmt_kernelIiLi16ELi32ELi8ELc84ELc84ELc85ELb0ELb0E19rocblas_complex_numIdES1_PKPKS1_PKPS1_EviT_T9_T10_S9_lSB_S9_lSA_T11_S9_li ; -- Begin function _ZL29rocblas_internal_gemmt_kernelIiLi16ELi32ELi8ELc84ELc84ELc85ELb0ELb0E19rocblas_complex_numIdES1_PKPKS1_PKPS1_EviT_T9_T10_S9_lSB_S9_lSA_T11_S9_li
	.p2align	8
	.type	_ZL29rocblas_internal_gemmt_kernelIiLi16ELi32ELi8ELc84ELc84ELc85ELb0ELb0E19rocblas_complex_numIdES1_PKPKS1_PKPS1_EviT_T9_T10_S9_lSB_S9_lSA_T11_S9_li,@function
_ZL29rocblas_internal_gemmt_kernelIiLi16ELi32ELi8ELc84ELc84ELc85ELb0ELb0E19rocblas_complex_numIdES1_PKPKS1_PKPS1_EviT_T9_T10_S9_lSB_S9_lSA_T11_S9_li: ; @_ZL29rocblas_internal_gemmt_kernelIiLi16ELi32ELi8ELc84ELc84ELc85ELb0ELb0E19rocblas_complex_numIdES1_PKPKS1_PKPS1_EviT_T9_T10_S9_lSB_S9_lSA_T11_S9_li
; %bb.0:
	s_clause 0x2
	s_load_b256 s[4:11], s[0:1], 0x40
	s_load_b64 s[24:25], s[0:1], 0x0
	s_load_b128 s[12:15], s[0:1], 0x8
	s_wait_kmcnt 0x0
	v_cmp_eq_f64_e64 s2, s[6:7], 1.0
	v_cmp_eq_f64_e64 s33, s[8:9], 0
	s_and_b32 s2, s2, s33
	s_delay_alu instid0(SALU_CYCLE_1)
	s_and_not1_b32 vcc_lo, exec_lo, s2
	s_mov_b32 s2, -1
	s_cbranch_vccnz .LBB418_3
; %bb.1:
	s_cmp_lg_u32 s25, 0
	s_cbranch_scc0 .LBB418_38
; %bb.2:
	v_cmp_neq_f64_e64 s2, s[12:13], 0
	v_cmp_neq_f64_e64 s3, s[14:15], 0
	s_or_b32 s2, s2, s3
.LBB418_3:
	s_delay_alu instid0(SALU_CYCLE_1)
	s_and_b32 vcc_lo, exec_lo, s2
	s_cbranch_vccz .LBB418_39
; %bb.4:
	s_load_b32 s23, s[0:1], 0x70
	s_bfe_u32 s2, ttmp6, 0x40014
	s_lshr_b32 s3, ttmp7, 16
	s_add_co_i32 s2, s2, 1
	s_bfe_u32 s16, ttmp6, 0x40008
	s_mul_i32 s2, s3, s2
	s_getreg_b32 s34, hwreg(HW_REG_IB_STS2, 6, 4)
	s_add_co_i32 s16, s16, s2
	s_cmp_eq_u32 s34, 0
	s_mov_b32 s27, 0
	s_cselect_b32 s26, s3, s16
	s_wait_kmcnt 0x0
	s_cmp_ge_u32 s26, s23
	s_cbranch_scc1 .LBB418_39
; %bb.5:
	s_clause 0x2
	s_load_b96 s[20:22], s[0:1], 0x18
	s_load_b32 s28, s[0:1], 0x38
	s_load_b32 s2, s[0:1], 0x60
	v_and_b32_e32 v1, 0x3ff, v0
	v_bfe_u32 v9, v0, 10, 10
	s_clause 0x1
	s_load_b128 s[16:19], s[0:1], 0x28
	s_load_b64 s[30:31], s[0:1], 0x68
	s_wait_xcnt 0x0
	s_bfe_u32 s0, ttmp6, 0x4000c
	s_bfe_u32 s39, ttmp6, 0x40010
	s_and_b32 s38, ttmp7, 0xffff
	s_add_co_i32 s40, s0, 1
	s_add_co_i32 s39, s39, 1
	v_and_b32_e32 v6, 7, v0
	v_lshl_add_u32 v0, v9, 4, v1
	s_and_b32 s37, ttmp6, 15
	s_mul_i32 s39, s38, s39
	v_cmp_neq_f64_e64 s35, s[12:13], 0
	v_cmp_neq_f64_e64 s36, s[14:15], 0
	v_dual_lshrrev_b32 v8, 3, v0 :: v_dual_bitop2_b32 v5, 31, v0 bitop3:0x40
	v_lshrrev_b32_e32 v40, 5, v0
	s_wait_kmcnt 0x0
	s_ashr_i32 s1, s22, 31
	s_mov_b32 s0, s22
	s_mul_i32 s22, ttmp9, s40
	s_bfe_u32 s40, ttmp6, 0x40004
	s_ashr_i32 s29, s28, 31
	s_ashr_i32 s3, s2, 31
	s_add_co_i32 s37, s37, s22
	s_add_co_i32 s40, s40, s39
	s_cmp_eq_u32 s34, 0
	v_mov_b32_e32 v0, 0
	s_cselect_b32 s22, ttmp9, s37
	s_cselect_b32 s34, s38, s40
	s_lshl_b32 s22, s22, 5
	s_lshl_b32 s34, s34, 5
	v_dual_mov_b32 v7, v0 :: v_dual_bitop2_b32 v2, s22, v5 bitop3:0x54
	v_dual_add_nc_u32 v18, s34, v9 :: v_dual_add_nc_u32 v4, s34, v8
	v_cmp_neq_f64_e64 s37, s[6:7], 0
	s_delay_alu instid0(VALU_DEP_3) | instskip(SKIP_3) | instid1(VALU_DEP_4)
	v_ashrrev_i32_e32 v3, 31, v2
	v_cmp_gt_i32_e32 vcc_lo, s24, v2
	v_lshl_add_u32 v43, v9, 7, 0x1000
	v_lshlrev_b32_e32 v42, 4, v1
	v_mul_u64_e32 v[16:17], s[0:1], v[2:3]
	v_dual_lshlrev_b32 v3, 4, v5 :: v_dual_lshlrev_b32 v5, 4, v6
	v_mul_u64_e32 v[20:21], s[28:29], v[6:7]
	v_dual_add_nc_u32 v2, 16, v18 :: v_dual_ashrrev_i32 v19, 31, v18
	s_delay_alu instid0(VALU_DEP_3) | instskip(NEXT) | instid1(VALU_DEP_4)
	v_lshl_or_b32 v7, v40, 9, v3
	v_lshl_or_b32 v5, v8, 7, v5
	s_delay_alu instid0(VALU_DEP_3) | instskip(NEXT) | instid1(VALU_DEP_4)
	v_dual_add_nc_u32 v8, s22, v1 :: v_dual_ashrrev_i32 v3, 31, v2
	v_mul_u64_e32 v[10:11], s[2:3], v[18:19]
	s_or_b32 s35, s35, s36
	v_cmp_gt_i32_e64 s1, s24, v18
	s_delay_alu instid0(VALU_DEP_3)
	v_dual_add_nc_u32 v12, 16, v8 :: v_dual_ashrrev_i32 v9, 31, v8
	v_mul_u64_e32 v[14:15], s[2:3], v[2:3]
	v_cmp_le_i32_e64 s2, v8, v18
	s_cmp_gt_i32 s25, 0
	v_cmp_le_i32_e64 s3, v12, v18
	s_cselect_b32 s36, -1, 0
	s_lshl_b64 s[16:17], s[16:17], 4
	s_xor_b32 s22, s33, -1
	s_and_b32 s33, s1, s2
	s_and_b32 s34, s1, s3
	v_cmp_gt_i32_e64 s1, s24, v2
	v_cmp_le_i32_e64 s2, v8, v2
	v_cmp_le_i32_e64 s3, v12, v2
	s_lshl_b64 s[4:5], s[4:5], 4
	v_add_nc_u32_e32 v41, 0x1000, v5
	v_ashrrev_i32_e32 v5, 31, v4
	v_cmp_gt_i32_e64 s0, s24, v4
	v_ashrrev_i32_e32 v13, 31, v12
	v_lshl_add_u64 v[2:3], v[16:17], 4, s[16:17]
	v_dual_mov_b32 v17, v0 :: v_dual_lshlrev_b32 v16, 4, v40
	v_lshl_add_u64 v[18:19], v[20:21], 4, s[4:5]
	s_or_b32 s22, s37, s22
	s_and_b32 s4, s1, s2
	s_and_b32 s5, s1, s3
	v_add_nc_u64_e32 v[16:17], v[2:3], v[16:17]
	v_lshl_add_u64 v[18:19], v[4:5], 4, v[18:19]
	s_lshl_b64 s[2:3], s[28:29], 7
	s_and_b32 s16, s35, s36
	s_xor_b32 s17, vcc_lo, -1
	s_xor_b32 s24, s0, -1
	s_lshl_b64 s[0:1], s[30:31], 4
	s_branch .LBB418_7
.LBB418_6:                              ;   in Loop: Header=BB418_7 Depth=1
	s_wait_xcnt 0x0
	s_or_b32 exec_lo, exec_lo, s28
	s_add_co_i32 s26, s26, 0x10000
	s_delay_alu instid0(SALU_CYCLE_1)
	s_cmp_lt_u32 s26, s23
	s_cbranch_scc0 .LBB418_39
.LBB418_7:                              ; =>This Loop Header: Depth=1
                                        ;     Child Loop BB418_10 Depth 2
	v_mov_b32_e32 v1, s26
	v_mov_b64_e32 v[36:37], 0
	v_mov_b64_e32 v[38:39], 0
	;; [unrolled: 1-line block ×4, first 2 shown]
	global_load_b64 v[4:5], v1, s[10:11] scale_offset
	v_mov_b64_e32 v[24:25], 0
	v_mov_b64_e32 v[26:27], 0
	;; [unrolled: 1-line block ×4, first 2 shown]
	s_and_not1_b32 vcc_lo, exec_lo, s16
	s_cbranch_vccnz .LBB418_18
; %bb.8:                                ;   in Loop: Header=BB418_7 Depth=1
	s_lshl_b64 s[28:29], s[26:27], 3
	v_mov_b64_e32 v[22:23], 0
	s_add_nc_u64 s[30:31], s[20:21], s[28:29]
	s_add_nc_u64 s[28:29], s[18:19], s[28:29]
	s_clause 0x1
	global_load_b64 v[2:3], v0, s[30:31]
	global_load_b64 v[30:31], v0, s[28:29]
	v_mov_b64_e32 v[20:21], 0
	v_mov_b64_e32 v[26:27], 0
	;; [unrolled: 1-line block ×7, first 2 shown]
	s_wait_xcnt 0x0
	s_mov_b32 s28, 0
	s_wait_loadcnt 0x1
	v_add_nc_u64_e32 v[28:29], v[2:3], v[16:17]
	s_wait_loadcnt 0x0
	v_add_nc_u64_e32 v[30:31], v[30:31], v[18:19]
	s_branch .LBB418_10
.LBB418_9:                              ;   in Loop: Header=BB418_10 Depth=2
	s_wait_xcnt 0x0
	s_or_b32 exec_lo, exec_lo, s29
	s_wait_dscnt 0x0
	s_barrier_signal -1
	s_barrier_wait -1
	ds_load_b128 v[44:47], v43
	ds_load_b128 v[48:51], v42
	ds_load_b128 v[52:55], v42 offset:256
	ds_load_b128 v[56:59], v43 offset:2048
	;; [unrolled: 1-line block ×10, first 2 shown]
	v_add_nc_u64_e32 v[28:29], 0x80, v[28:29]
	v_add_nc_u64_e32 v[30:31], s[2:3], v[30:31]
	s_add_co_i32 s28, s28, 8
	s_delay_alu instid0(SALU_CYCLE_1)
	s_cmp_lt_i32 s28, s25
	s_wait_dscnt 0xa
	v_mul_f64_e32 v[2:3], v[46:47], v[50:51]
	v_mul_f64_e32 v[92:93], v[44:45], v[50:51]
	s_wait_dscnt 0x9
	v_mul_f64_e32 v[94:95], v[46:47], v[54:55]
	v_mul_f64_e32 v[96:97], v[44:45], v[54:55]
	s_wait_dscnt 0x8
	v_mul_f64_e32 v[98:99], v[58:59], v[50:51]
	v_mul_f64_e32 v[100:101], v[56:57], v[50:51]
	v_mul_f64_e32 v[50:51], v[58:59], v[54:55]
	v_mul_f64_e32 v[102:103], v[56:57], v[54:55]
	s_wait_dscnt 0x6
	v_mul_f64_e32 v[104:105], v[62:63], v[66:67]
	v_mul_f64_e32 v[106:107], v[60:61], v[66:67]
	s_wait_dscnt 0x5
	v_mul_f64_e32 v[108:109], v[62:63], v[70:71]
	v_mul_f64_e32 v[110:111], v[60:61], v[70:71]
	s_wait_dscnt 0x4
	v_mul_f64_e32 v[112:113], v[74:75], v[66:67]
	v_mul_f64_e32 v[66:67], v[72:73], v[66:67]
	v_mul_f64_e32 v[114:115], v[74:75], v[70:71]
	v_mul_f64_e32 v[70:71], v[72:73], v[70:71]
	s_wait_dscnt 0x2
	v_mul_f64_e32 v[118:119], v[78:79], v[82:83]
	v_mul_f64_e32 v[120:121], v[76:77], v[82:83]
	s_wait_dscnt 0x1
	v_mul_f64_e32 v[122:123], v[78:79], v[86:87]
	v_mul_f64_e32 v[124:125], v[76:77], v[86:87]
	s_wait_dscnt 0x0
	v_mul_f64_e32 v[126:127], v[90:91], v[82:83]
	v_mul_f64_e32 v[82:83], v[88:89], v[82:83]
	v_mul_f64_e32 v[128:129], v[90:91], v[86:87]
	v_mul_f64_e32 v[86:87], v[88:89], v[86:87]
	v_fma_f64 v[2:3], v[44:45], v[48:49], -v[2:3]
	v_fmac_f64_e32 v[92:93], v[46:47], v[48:49]
	v_fma_f64 v[94:95], v[44:45], v[52:53], -v[94:95]
	v_fmac_f64_e32 v[96:97], v[46:47], v[52:53]
	v_fma_f64 v[98:99], v[56:57], v[48:49], -v[98:99]
	v_fmac_f64_e32 v[100:101], v[58:59], v[48:49]
	v_fma_f64 v[116:117], v[56:57], v[52:53], -v[50:51]
	v_fmac_f64_e32 v[102:103], v[58:59], v[52:53]
	v_fma_f64 v[104:105], v[60:61], v[64:65], -v[104:105]
	v_fmac_f64_e32 v[106:107], v[62:63], v[64:65]
	v_fma_f64 v[60:61], v[60:61], v[68:69], -v[108:109]
	v_fmac_f64_e32 v[110:111], v[62:63], v[68:69]
	v_fma_f64 v[62:63], v[72:73], v[64:65], -v[112:113]
	v_fmac_f64_e32 v[66:67], v[74:75], v[64:65]
	v_fma_f64 v[64:65], v[72:73], v[68:69], -v[114:115]
	v_fmac_f64_e32 v[70:71], v[74:75], v[68:69]
	ds_load_b128 v[44:47], v43 offset:48
	ds_load_b128 v[48:51], v43 offset:2096
	;; [unrolled: 1-line block ×4, first 2 shown]
	v_fma_f64 v[118:119], v[76:77], v[80:81], -v[118:119]
	v_fmac_f64_e32 v[120:121], v[78:79], v[80:81]
	v_fma_f64 v[76:77], v[76:77], v[84:85], -v[122:123]
	v_fmac_f64_e32 v[124:125], v[78:79], v[84:85]
	;; [unrolled: 2-line block ×4, first 2 shown]
	v_add_f64_e32 v[2:3], v[36:37], v[2:3]
	v_add_f64_e32 v[68:69], v[92:93], v[38:39]
	v_add_f64_e32 v[72:73], v[32:33], v[94:95]
	v_add_f64_e32 v[74:75], v[96:97], v[34:35]
	v_add_f64_e32 v[92:93], v[24:25], v[98:99]
	v_add_f64_e32 v[94:95], v[100:101], v[26:27]
	v_add_f64_e32 v[96:97], v[20:21], v[116:117]
	v_add_f64_e32 v[98:99], v[102:103], v[22:23]
	s_wait_dscnt 0x1
	v_mul_f64_e32 v[100:101], v[46:47], v[54:55]
	v_mul_f64_e32 v[102:103], v[44:45], v[54:55]
	s_wait_dscnt 0x0
	v_mul_f64_e32 v[108:109], v[46:47], v[58:59]
	v_mul_f64_e32 v[112:113], v[44:45], v[58:59]
	;; [unrolled: 1-line block ×6, first 2 shown]
	ds_load_b128 v[20:23], v43 offset:64
	ds_load_b128 v[24:27], v42 offset:2048
	;; [unrolled: 1-line block ×4, first 2 shown]
	v_add_f64_e32 v[2:3], v[2:3], v[104:105]
	v_add_f64_e32 v[84:85], v[106:107], v[68:69]
	;; [unrolled: 1-line block ×8, first 2 shown]
	s_wait_dscnt 0x2
	v_mul_f64_e32 v[98:99], v[22:23], v[26:27]
	v_mul_f64_e32 v[104:105], v[20:21], v[26:27]
	s_wait_dscnt 0x1
	v_mul_f64_e32 v[106:107], v[22:23], v[34:35]
	v_mul_f64_e32 v[110:111], v[20:21], v[34:35]
	;; [unrolled: 3-line block ×3, first 2 shown]
	v_mul_f64_e32 v[26:27], v[38:39], v[34:35]
	v_mul_f64_e32 v[128:129], v[36:37], v[34:35]
	v_fma_f64 v[34:35], v[44:45], v[52:53], -v[100:101]
	v_fmac_f64_e32 v[102:103], v[46:47], v[52:53]
	v_fma_f64 v[100:101], v[44:45], v[56:57], -v[108:109]
	v_fmac_f64_e32 v[112:113], v[46:47], v[56:57]
	;; [unrolled: 2-line block ×4, first 2 shown]
	ds_load_b128 v[58:61], v43 offset:80
	ds_load_b128 v[62:65], v43 offset:2128
	;; [unrolled: 1-line block ×4, first 2 shown]
	v_add_f64_e32 v[2:3], v[2:3], v[118:119]
	v_add_f64_e32 v[56:57], v[120:121], v[84:85]
	;; [unrolled: 1-line block ×8, first 2 shown]
	v_fma_f64 v[98:99], v[20:21], v[24:25], -v[98:99]
	v_fmac_f64_e32 v[104:105], v[22:23], v[24:25]
	v_fma_f64 v[106:107], v[20:21], v[32:33], -v[106:107]
	s_wait_dscnt 0x1
	v_mul_f64_e32 v[90:91], v[60:61], v[68:69]
	v_mul_f64_e32 v[92:93], v[58:59], v[68:69]
	s_wait_dscnt 0x0
	v_mul_f64_e32 v[94:95], v[60:61], v[72:73]
	v_mul_f64_e32 v[96:97], v[58:59], v[72:73]
	;; [unrolled: 1-line block ×6, first 2 shown]
	v_fmac_f64_e32 v[110:111], v[22:23], v[32:33]
	v_fma_f64 v[122:123], v[36:37], v[24:25], -v[122:123]
	v_fmac_f64_e32 v[126:127], v[38:39], v[24:25]
	v_fma_f64 v[124:125], v[36:37], v[32:33], -v[26:27]
	v_fmac_f64_e32 v[128:129], v[38:39], v[32:33]
	ds_load_b128 v[44:47], v43 offset:96
	ds_load_b128 v[48:51], v42 offset:3072
	;; [unrolled: 1-line block ×4, first 2 shown]
	v_add_f64_e32 v[2:3], v[2:3], v[34:35]
	v_add_f64_e32 v[56:57], v[102:103], v[56:57]
	;; [unrolled: 1-line block ×8, first 2 shown]
	ds_load_b128 v[20:23], v43 offset:112
	ds_load_b128 v[24:27], v43 offset:2160
	;; [unrolled: 1-line block ×4, first 2 shown]
	s_wait_dscnt 0x0
	v_mul_f64_e32 v[100:101], v[46:47], v[50:51]
	v_mul_f64_e32 v[102:103], v[44:45], v[50:51]
	;; [unrolled: 1-line block ×8, first 2 shown]
	v_fma_f64 v[90:91], v[58:59], v[66:67], -v[90:91]
	v_fmac_f64_e32 v[92:93], v[60:61], v[66:67]
	v_fma_f64 v[58:59], v[58:59], v[70:71], -v[94:95]
	v_fmac_f64_e32 v[96:97], v[60:61], v[70:71]
	;; [unrolled: 2-line block ×4, first 2 shown]
	s_barrier_signal -1
	s_barrier_wait -1
	v_mul_f64_e32 v[94:95], v[20:21], v[38:39]
	v_add_f64_e32 v[2:3], v[2:3], v[98:99]
	v_add_f64_e32 v[56:57], v[104:105], v[56:57]
	;; [unrolled: 1-line block ×8, first 2 shown]
	v_mul_f64_e32 v[84:85], v[22:23], v[34:35]
	v_mul_f64_e32 v[86:87], v[20:21], v[34:35]
	;; [unrolled: 1-line block ×7, first 2 shown]
	v_fma_f64 v[38:39], v[44:45], v[48:49], -v[100:101]
	v_fmac_f64_e32 v[102:103], v[46:47], v[48:49]
	v_fma_f64 v[44:45], v[44:45], v[52:53], -v[108:109]
	v_fmac_f64_e32 v[112:113], v[46:47], v[52:53]
	;; [unrolled: 2-line block ×4, first 2 shown]
	v_fmac_f64_e32 v[94:95], v[22:23], v[36:37]
	v_add_f64_e32 v[2:3], v[2:3], v[90:91]
	v_add_f64_e32 v[52:53], v[92:93], v[56:57]
	;; [unrolled: 1-line block ×8, first 2 shown]
	v_fma_f64 v[68:69], v[20:21], v[32:33], -v[84:85]
	v_fmac_f64_e32 v[86:87], v[22:23], v[32:33]
	v_fma_f64 v[20:21], v[20:21], v[36:37], -v[88:89]
	v_fma_f64 v[22:23], v[24:25], v[32:33], -v[98:99]
	v_fmac_f64_e32 v[104:105], v[26:27], v[32:33]
	v_fma_f64 v[70:71], v[24:25], v[36:37], -v[34:35]
	v_fmac_f64_e32 v[106:107], v[26:27], v[36:37]
	v_add_f64_e32 v[2:3], v[2:3], v[38:39]
	v_add_f64_e32 v[24:25], v[102:103], v[52:53]
	v_add_f64_e32 v[26:27], v[56:57], v[44:45]
	v_add_f64_e32 v[34:35], v[112:113], v[58:59]
	v_add_f64_e32 v[44:45], v[60:61], v[46:47]
	v_add_f64_e32 v[46:47], v[50:51], v[64:65]
	v_add_f64_e32 v[48:49], v[62:63], v[48:49]
	v_add_f64_e32 v[50:51], v[54:55], v[66:67]
	v_add_f64_e32 v[36:37], v[2:3], v[68:69]
	v_add_f64_e32 v[38:39], v[86:87], v[24:25]
	v_add_f64_e32 v[32:33], v[26:27], v[20:21]
	v_add_f64_e32 v[34:35], v[94:95], v[34:35]
	v_add_f64_e32 v[24:25], v[44:45], v[22:23]
	v_add_f64_e32 v[26:27], v[104:105], v[46:47]
	v_add_f64_e32 v[20:21], v[48:49], v[70:71]
	v_add_f64_e32 v[22:23], v[106:107], v[50:51]
	s_cbranch_scc0 .LBB418_18
.LBB418_10:                             ;   Parent Loop BB418_7 Depth=1
                                        ; =>  This Inner Loop Header: Depth=2
	v_add_nc_u32_e32 v1, s28, v40
	s_delay_alu instid0(VALU_DEP_1) | instskip(SKIP_1) | instid1(SALU_CYCLE_1)
	v_cmp_le_i32_e32 vcc_lo, s25, v1
	s_or_b32 s29, s17, vcc_lo
	s_and_saveexec_b32 s30, s29
	s_delay_alu instid0(SALU_CYCLE_1)
	s_xor_b32 s29, exec_lo, s30
; %bb.11:                               ;   in Loop: Header=BB418_10 Depth=2
	v_dual_mov_b32 v1, v0 :: v_dual_mov_b32 v2, v0
	v_mov_b32_e32 v3, v0
	ds_store_b128 v7, v[0:3]
; %bb.12:                               ;   in Loop: Header=BB418_10 Depth=2
	s_and_not1_saveexec_b32 s29, s29
	s_cbranch_execz .LBB418_14
; %bb.13:                               ;   in Loop: Header=BB418_10 Depth=2
	flat_load_b128 v[44:47], v[28:29]
	s_wait_loadcnt_dscnt 0x0
	ds_store_2addr_b64 v7, v[44:45], v[46:47] offset1:1
.LBB418_14:                             ;   in Loop: Header=BB418_10 Depth=2
	s_wait_xcnt 0x0
	s_or_b32 exec_lo, exec_lo, s29
	v_add_nc_u32_e32 v1, s28, v6
	s_delay_alu instid0(VALU_DEP_1) | instskip(SKIP_1) | instid1(SALU_CYCLE_1)
	v_cmp_le_i32_e32 vcc_lo, s25, v1
	s_or_b32 s29, vcc_lo, s24
	s_and_saveexec_b32 s30, s29
	s_delay_alu instid0(SALU_CYCLE_1)
	s_xor_b32 s29, exec_lo, s30
; %bb.15:                               ;   in Loop: Header=BB418_10 Depth=2
	v_dual_mov_b32 v1, v0 :: v_dual_mov_b32 v2, v0
	v_mov_b32_e32 v3, v0
	ds_store_b128 v41, v[0:3]
; %bb.16:                               ;   in Loop: Header=BB418_10 Depth=2
	s_and_not1_saveexec_b32 s29, s29
	s_cbranch_execz .LBB418_9
; %bb.17:                               ;   in Loop: Header=BB418_10 Depth=2
	flat_load_b128 v[44:47], v[30:31]
	s_wait_loadcnt_dscnt 0x0
	ds_store_2addr_b64 v41, v[44:45], v[46:47] offset1:1
	s_branch .LBB418_9
.LBB418_18:                             ;   in Loop: Header=BB418_7 Depth=1
	s_wait_loadcnt 0x0
	v_add_nc_u64_e32 v[28:29], s[0:1], v[4:5]
	s_delay_alu instid0(VALU_DEP_1)
	v_lshl_add_u64 v[30:31], v[10:11], 4, v[28:29]
	s_wait_xcnt 0x0
	s_and_saveexec_b32 s28, s33
	s_cbranch_execz .LBB418_23
; %bb.19:                               ;   in Loop: Header=BB418_7 Depth=1
	v_mul_f64_e32 v[2:3], s[14:15], v[38:39]
	v_mul_f64_e32 v[4:5], s[12:13], v[38:39]
	s_and_b32 vcc_lo, exec_lo, s22
	s_mov_b32 s29, -1
	s_delay_alu instid0(VALU_DEP_2) | instskip(NEXT) | instid1(VALU_DEP_2)
	v_fma_f64 v[2:3], s[12:13], v[36:37], -v[2:3]
	v_fmac_f64_e32 v[4:5], s[14:15], v[36:37]
	v_lshl_add_u64 v[36:37], v[8:9], 4, v[30:31]
	s_cbranch_vccz .LBB418_21
; %bb.20:                               ;   in Loop: Header=BB418_7 Depth=1
	flat_load_b128 v[44:47], v[36:37]
	s_mov_b32 s29, 0
	s_wait_loadcnt_dscnt 0x0
	v_mul_f64_e32 v[38:39], s[8:9], v[46:47]
	v_mul_f64_e32 v[46:47], s[6:7], v[46:47]
	s_delay_alu instid0(VALU_DEP_2) | instskip(NEXT) | instid1(VALU_DEP_2)
	v_fma_f64 v[38:39], s[6:7], v[44:45], -v[38:39]
	v_fmac_f64_e32 v[46:47], s[8:9], v[44:45]
	s_delay_alu instid0(VALU_DEP_2) | instskip(NEXT) | instid1(VALU_DEP_2)
	v_add_f64_e32 v[44:45], v[2:3], v[38:39]
	v_add_f64_e32 v[46:47], v[4:5], v[46:47]
	flat_store_b128 v[36:37], v[44:47]
.LBB418_21:                             ;   in Loop: Header=BB418_7 Depth=1
	s_and_not1_b32 vcc_lo, exec_lo, s29
	s_cbranch_vccnz .LBB418_23
; %bb.22:                               ;   in Loop: Header=BB418_7 Depth=1
	flat_store_b128 v[36:37], v[2:5]
.LBB418_23:                             ;   in Loop: Header=BB418_7 Depth=1
	s_wait_xcnt 0x0
	s_or_b32 exec_lo, exec_lo, s28
	s_and_saveexec_b32 s28, s34
	s_cbranch_execz .LBB418_28
; %bb.24:                               ;   in Loop: Header=BB418_7 Depth=1
	v_mul_f64_e32 v[2:3], s[14:15], v[34:35]
	v_mul_f64_e32 v[4:5], s[12:13], v[34:35]
	v_lshl_add_u64 v[30:31], v[12:13], 4, v[30:31]
	s_and_not1_b32 vcc_lo, exec_lo, s22
	s_mov_b32 s29, -1
	s_delay_alu instid0(VALU_DEP_3) | instskip(NEXT) | instid1(VALU_DEP_3)
	v_fma_f64 v[2:3], s[12:13], v[32:33], -v[2:3]
	v_fmac_f64_e32 v[4:5], s[14:15], v[32:33]
	s_cbranch_vccnz .LBB418_26
; %bb.25:                               ;   in Loop: Header=BB418_7 Depth=1
	flat_load_b128 v[32:35], v[30:31]
	s_mov_b32 s29, 0
	s_wait_loadcnt_dscnt 0x0
	v_mul_f64_e32 v[36:37], s[8:9], v[34:35]
	v_mul_f64_e32 v[34:35], s[6:7], v[34:35]
	s_delay_alu instid0(VALU_DEP_2) | instskip(NEXT) | instid1(VALU_DEP_2)
	v_fma_f64 v[36:37], s[6:7], v[32:33], -v[36:37]
	v_fmac_f64_e32 v[34:35], s[8:9], v[32:33]
	s_delay_alu instid0(VALU_DEP_2) | instskip(NEXT) | instid1(VALU_DEP_2)
	v_add_f64_e32 v[32:33], v[2:3], v[36:37]
	v_add_f64_e32 v[34:35], v[4:5], v[34:35]
	flat_store_b128 v[30:31], v[32:35]
.LBB418_26:                             ;   in Loop: Header=BB418_7 Depth=1
	s_and_not1_b32 vcc_lo, exec_lo, s29
	s_cbranch_vccnz .LBB418_28
; %bb.27:                               ;   in Loop: Header=BB418_7 Depth=1
	flat_store_b128 v[30:31], v[2:5]
.LBB418_28:                             ;   in Loop: Header=BB418_7 Depth=1
	s_wait_xcnt 0x0
	s_or_b32 exec_lo, exec_lo, s28
	v_lshl_add_u64 v[28:29], v[14:15], 4, v[28:29]
	s_and_saveexec_b32 s28, s4
	s_cbranch_execz .LBB418_33
; %bb.29:                               ;   in Loop: Header=BB418_7 Depth=1
	v_mul_f64_e32 v[2:3], s[14:15], v[26:27]
	v_mul_f64_e32 v[4:5], s[12:13], v[26:27]
	s_and_not1_b32 vcc_lo, exec_lo, s22
	s_mov_b32 s29, -1
	s_delay_alu instid0(VALU_DEP_2) | instskip(NEXT) | instid1(VALU_DEP_2)
	v_fma_f64 v[2:3], s[12:13], v[24:25], -v[2:3]
	v_fmac_f64_e32 v[4:5], s[14:15], v[24:25]
	v_lshl_add_u64 v[24:25], v[8:9], 4, v[28:29]
	s_cbranch_vccnz .LBB418_31
; %bb.30:                               ;   in Loop: Header=BB418_7 Depth=1
	flat_load_b128 v[30:33], v[24:25]
	s_mov_b32 s29, 0
	s_wait_loadcnt_dscnt 0x0
	v_mul_f64_e32 v[26:27], s[8:9], v[32:33]
	v_mul_f64_e32 v[32:33], s[6:7], v[32:33]
	s_delay_alu instid0(VALU_DEP_2) | instskip(NEXT) | instid1(VALU_DEP_2)
	v_fma_f64 v[26:27], s[6:7], v[30:31], -v[26:27]
	v_fmac_f64_e32 v[32:33], s[8:9], v[30:31]
	s_delay_alu instid0(VALU_DEP_2) | instskip(NEXT) | instid1(VALU_DEP_2)
	v_add_f64_e32 v[30:31], v[2:3], v[26:27]
	v_add_f64_e32 v[32:33], v[4:5], v[32:33]
	flat_store_b128 v[24:25], v[30:33]
.LBB418_31:                             ;   in Loop: Header=BB418_7 Depth=1
	s_and_not1_b32 vcc_lo, exec_lo, s29
	s_cbranch_vccnz .LBB418_33
; %bb.32:                               ;   in Loop: Header=BB418_7 Depth=1
	flat_store_b128 v[24:25], v[2:5]
.LBB418_33:                             ;   in Loop: Header=BB418_7 Depth=1
	s_wait_xcnt 0x0
	s_or_b32 exec_lo, exec_lo, s28
	s_and_saveexec_b32 s28, s5
	s_cbranch_execz .LBB418_6
; %bb.34:                               ;   in Loop: Header=BB418_7 Depth=1
	s_delay_alu instid0(VALU_DEP_4) | instskip(SKIP_3) | instid1(VALU_DEP_2)
	v_mul_f64_e32 v[2:3], s[14:15], v[22:23]
	v_mul_f64_e32 v[4:5], s[12:13], v[22:23]
	s_and_not1_b32 vcc_lo, exec_lo, s22
	s_mov_b32 s29, -1
	v_fma_f64 v[2:3], s[12:13], v[20:21], -v[2:3]
	s_delay_alu instid0(VALU_DEP_2)
	v_fmac_f64_e32 v[4:5], s[14:15], v[20:21]
	v_lshl_add_u64 v[20:21], v[12:13], 4, v[28:29]
	s_cbranch_vccnz .LBB418_36
; %bb.35:                               ;   in Loop: Header=BB418_7 Depth=1
	flat_load_b128 v[22:25], v[20:21]
	s_mov_b32 s29, 0
	s_wait_loadcnt_dscnt 0x0
	v_mul_f64_e32 v[26:27], s[8:9], v[24:25]
	v_mul_f64_e32 v[24:25], s[6:7], v[24:25]
	s_delay_alu instid0(VALU_DEP_2) | instskip(NEXT) | instid1(VALU_DEP_2)
	v_fma_f64 v[26:27], s[6:7], v[22:23], -v[26:27]
	v_fmac_f64_e32 v[24:25], s[8:9], v[22:23]
	s_delay_alu instid0(VALU_DEP_2) | instskip(NEXT) | instid1(VALU_DEP_2)
	v_add_f64_e32 v[22:23], v[2:3], v[26:27]
	v_add_f64_e32 v[24:25], v[4:5], v[24:25]
	flat_store_b128 v[20:21], v[22:25]
.LBB418_36:                             ;   in Loop: Header=BB418_7 Depth=1
	s_and_not1_b32 vcc_lo, exec_lo, s29
	s_cbranch_vccnz .LBB418_6
; %bb.37:                               ;   in Loop: Header=BB418_7 Depth=1
	flat_store_b128 v[20:21], v[2:5]
	s_branch .LBB418_6
.LBB418_38:
.LBB418_39:
	s_sendmsg sendmsg(MSG_DEALLOC_VGPRS)
	s_endpgm
	.section	.rodata,"a",@progbits
	.p2align	6, 0x0
	.amdhsa_kernel _ZL29rocblas_internal_gemmt_kernelIiLi16ELi32ELi8ELc84ELc84ELc85ELb0ELb0E19rocblas_complex_numIdES1_PKPKS1_PKPS1_EviT_T9_T10_S9_lSB_S9_lSA_T11_S9_li
		.amdhsa_group_segment_fixed_size 8192
		.amdhsa_private_segment_fixed_size 0
		.amdhsa_kernarg_size 116
		.amdhsa_user_sgpr_count 2
		.amdhsa_user_sgpr_dispatch_ptr 0
		.amdhsa_user_sgpr_queue_ptr 0
		.amdhsa_user_sgpr_kernarg_segment_ptr 1
		.amdhsa_user_sgpr_dispatch_id 0
		.amdhsa_user_sgpr_kernarg_preload_length 0
		.amdhsa_user_sgpr_kernarg_preload_offset 0
		.amdhsa_user_sgpr_private_segment_size 0
		.amdhsa_wavefront_size32 1
		.amdhsa_uses_dynamic_stack 0
		.amdhsa_enable_private_segment 0
		.amdhsa_system_sgpr_workgroup_id_x 1
		.amdhsa_system_sgpr_workgroup_id_y 1
		.amdhsa_system_sgpr_workgroup_id_z 1
		.amdhsa_system_sgpr_workgroup_info 0
		.amdhsa_system_vgpr_workitem_id 1
		.amdhsa_next_free_vgpr 132
		.amdhsa_next_free_sgpr 41
		.amdhsa_named_barrier_count 0
		.amdhsa_reserve_vcc 1
		.amdhsa_float_round_mode_32 0
		.amdhsa_float_round_mode_16_64 0
		.amdhsa_float_denorm_mode_32 3
		.amdhsa_float_denorm_mode_16_64 3
		.amdhsa_fp16_overflow 0
		.amdhsa_memory_ordered 1
		.amdhsa_forward_progress 1
		.amdhsa_inst_pref_size 24
		.amdhsa_round_robin_scheduling 0
		.amdhsa_exception_fp_ieee_invalid_op 0
		.amdhsa_exception_fp_denorm_src 0
		.amdhsa_exception_fp_ieee_div_zero 0
		.amdhsa_exception_fp_ieee_overflow 0
		.amdhsa_exception_fp_ieee_underflow 0
		.amdhsa_exception_fp_ieee_inexact 0
		.amdhsa_exception_int_div_zero 0
	.end_amdhsa_kernel
	.section	.text._ZL29rocblas_internal_gemmt_kernelIiLi16ELi32ELi8ELc84ELc84ELc85ELb0ELb0E19rocblas_complex_numIdES1_PKPKS1_PKPS1_EviT_T9_T10_S9_lSB_S9_lSA_T11_S9_li,"axG",@progbits,_ZL29rocblas_internal_gemmt_kernelIiLi16ELi32ELi8ELc84ELc84ELc85ELb0ELb0E19rocblas_complex_numIdES1_PKPKS1_PKPS1_EviT_T9_T10_S9_lSB_S9_lSA_T11_S9_li,comdat
.Lfunc_end418:
	.size	_ZL29rocblas_internal_gemmt_kernelIiLi16ELi32ELi8ELc84ELc84ELc85ELb0ELb0E19rocblas_complex_numIdES1_PKPKS1_PKPS1_EviT_T9_T10_S9_lSB_S9_lSA_T11_S9_li, .Lfunc_end418-_ZL29rocblas_internal_gemmt_kernelIiLi16ELi32ELi8ELc84ELc84ELc85ELb0ELb0E19rocblas_complex_numIdES1_PKPKS1_PKPS1_EviT_T9_T10_S9_lSB_S9_lSA_T11_S9_li
                                        ; -- End function
	.set _ZL29rocblas_internal_gemmt_kernelIiLi16ELi32ELi8ELc84ELc84ELc85ELb0ELb0E19rocblas_complex_numIdES1_PKPKS1_PKPS1_EviT_T9_T10_S9_lSB_S9_lSA_T11_S9_li.num_vgpr, 132
	.set _ZL29rocblas_internal_gemmt_kernelIiLi16ELi32ELi8ELc84ELc84ELc85ELb0ELb0E19rocblas_complex_numIdES1_PKPKS1_PKPS1_EviT_T9_T10_S9_lSB_S9_lSA_T11_S9_li.num_agpr, 0
	.set _ZL29rocblas_internal_gemmt_kernelIiLi16ELi32ELi8ELc84ELc84ELc85ELb0ELb0E19rocblas_complex_numIdES1_PKPKS1_PKPS1_EviT_T9_T10_S9_lSB_S9_lSA_T11_S9_li.numbered_sgpr, 41
	.set _ZL29rocblas_internal_gemmt_kernelIiLi16ELi32ELi8ELc84ELc84ELc85ELb0ELb0E19rocblas_complex_numIdES1_PKPKS1_PKPS1_EviT_T9_T10_S9_lSB_S9_lSA_T11_S9_li.num_named_barrier, 0
	.set _ZL29rocblas_internal_gemmt_kernelIiLi16ELi32ELi8ELc84ELc84ELc85ELb0ELb0E19rocblas_complex_numIdES1_PKPKS1_PKPS1_EviT_T9_T10_S9_lSB_S9_lSA_T11_S9_li.private_seg_size, 0
	.set _ZL29rocblas_internal_gemmt_kernelIiLi16ELi32ELi8ELc84ELc84ELc85ELb0ELb0E19rocblas_complex_numIdES1_PKPKS1_PKPS1_EviT_T9_T10_S9_lSB_S9_lSA_T11_S9_li.uses_vcc, 1
	.set _ZL29rocblas_internal_gemmt_kernelIiLi16ELi32ELi8ELc84ELc84ELc85ELb0ELb0E19rocblas_complex_numIdES1_PKPKS1_PKPS1_EviT_T9_T10_S9_lSB_S9_lSA_T11_S9_li.uses_flat_scratch, 0
	.set _ZL29rocblas_internal_gemmt_kernelIiLi16ELi32ELi8ELc84ELc84ELc85ELb0ELb0E19rocblas_complex_numIdES1_PKPKS1_PKPS1_EviT_T9_T10_S9_lSB_S9_lSA_T11_S9_li.has_dyn_sized_stack, 0
	.set _ZL29rocblas_internal_gemmt_kernelIiLi16ELi32ELi8ELc84ELc84ELc85ELb0ELb0E19rocblas_complex_numIdES1_PKPKS1_PKPS1_EviT_T9_T10_S9_lSB_S9_lSA_T11_S9_li.has_recursion, 0
	.set _ZL29rocblas_internal_gemmt_kernelIiLi16ELi32ELi8ELc84ELc84ELc85ELb0ELb0E19rocblas_complex_numIdES1_PKPKS1_PKPS1_EviT_T9_T10_S9_lSB_S9_lSA_T11_S9_li.has_indirect_call, 0
	.section	.AMDGPU.csdata,"",@progbits
; Kernel info:
; codeLenInByte = 2984
; TotalNumSgprs: 43
; NumVgprs: 132
; ScratchSize: 0
; MemoryBound: 0
; FloatMode: 240
; IeeeMode: 1
; LDSByteSize: 8192 bytes/workgroup (compile time only)
; SGPRBlocks: 0
; VGPRBlocks: 8
; NumSGPRsForWavesPerEU: 43
; NumVGPRsForWavesPerEU: 132
; NamedBarCnt: 0
; Occupancy: 7
; WaveLimiterHint : 1
; COMPUTE_PGM_RSRC2:SCRATCH_EN: 0
; COMPUTE_PGM_RSRC2:USER_SGPR: 2
; COMPUTE_PGM_RSRC2:TRAP_HANDLER: 0
; COMPUTE_PGM_RSRC2:TGID_X_EN: 1
; COMPUTE_PGM_RSRC2:TGID_Y_EN: 1
; COMPUTE_PGM_RSRC2:TGID_Z_EN: 1
; COMPUTE_PGM_RSRC2:TIDIG_COMP_CNT: 1
	.section	.text._ZL29rocblas_internal_gemmt_kernelIiLi16ELi32ELi8ELc84ELc67ELc85ELb0ELb1E19rocblas_complex_numIdES1_PKPKS1_PKPS1_EviT_T9_T10_S9_lSB_S9_lSA_T11_S9_li,"axG",@progbits,_ZL29rocblas_internal_gemmt_kernelIiLi16ELi32ELi8ELc84ELc67ELc85ELb0ELb1E19rocblas_complex_numIdES1_PKPKS1_PKPS1_EviT_T9_T10_S9_lSB_S9_lSA_T11_S9_li,comdat
	.globl	_ZL29rocblas_internal_gemmt_kernelIiLi16ELi32ELi8ELc84ELc67ELc85ELb0ELb1E19rocblas_complex_numIdES1_PKPKS1_PKPS1_EviT_T9_T10_S9_lSB_S9_lSA_T11_S9_li ; -- Begin function _ZL29rocblas_internal_gemmt_kernelIiLi16ELi32ELi8ELc84ELc67ELc85ELb0ELb1E19rocblas_complex_numIdES1_PKPKS1_PKPS1_EviT_T9_T10_S9_lSB_S9_lSA_T11_S9_li
	.p2align	8
	.type	_ZL29rocblas_internal_gemmt_kernelIiLi16ELi32ELi8ELc84ELc67ELc85ELb0ELb1E19rocblas_complex_numIdES1_PKPKS1_PKPS1_EviT_T9_T10_S9_lSB_S9_lSA_T11_S9_li,@function
_ZL29rocblas_internal_gemmt_kernelIiLi16ELi32ELi8ELc84ELc67ELc85ELb0ELb1E19rocblas_complex_numIdES1_PKPKS1_PKPS1_EviT_T9_T10_S9_lSB_S9_lSA_T11_S9_li: ; @_ZL29rocblas_internal_gemmt_kernelIiLi16ELi32ELi8ELc84ELc67ELc85ELb0ELb1E19rocblas_complex_numIdES1_PKPKS1_PKPS1_EviT_T9_T10_S9_lSB_S9_lSA_T11_S9_li
; %bb.0:
	s_clause 0x2
	s_load_b256 s[4:11], s[0:1], 0x40
	s_load_b64 s[24:25], s[0:1], 0x0
	s_load_b128 s[12:15], s[0:1], 0x8
	s_wait_kmcnt 0x0
	v_cmp_eq_f64_e64 s2, s[6:7], 1.0
	v_cmp_eq_f64_e64 s33, s[8:9], 0
	s_and_b32 s2, s2, s33
	s_delay_alu instid0(SALU_CYCLE_1)
	s_and_not1_b32 vcc_lo, exec_lo, s2
	s_mov_b32 s2, -1
	s_cbranch_vccnz .LBB419_3
; %bb.1:
	s_cmp_lg_u32 s25, 0
	s_cbranch_scc0 .LBB419_36
; %bb.2:
	v_cmp_neq_f64_e64 s2, s[12:13], 0
	v_cmp_neq_f64_e64 s3, s[14:15], 0
	s_or_b32 s2, s2, s3
.LBB419_3:
	s_delay_alu instid0(SALU_CYCLE_1)
	s_and_b32 vcc_lo, exec_lo, s2
	s_cbranch_vccz .LBB419_37
; %bb.4:
	s_load_b32 s23, s[0:1], 0x70
	s_bfe_u32 s2, ttmp6, 0x40014
	s_lshr_b32 s3, ttmp7, 16
	s_add_co_i32 s2, s2, 1
	s_bfe_u32 s16, ttmp6, 0x40008
	s_mul_i32 s2, s3, s2
	s_getreg_b32 s34, hwreg(HW_REG_IB_STS2, 6, 4)
	s_add_co_i32 s16, s16, s2
	s_cmp_eq_u32 s34, 0
	s_mov_b32 s27, 0
	s_cselect_b32 s26, s3, s16
	s_wait_kmcnt 0x0
	s_cmp_ge_u32 s26, s23
	s_cbranch_scc1 .LBB419_37
; %bb.5:
	s_clause 0x2
	s_load_b96 s[20:22], s[0:1], 0x18
	s_load_b32 s28, s[0:1], 0x38
	s_load_b32 s2, s[0:1], 0x60
	v_and_b32_e32 v1, 0x3ff, v0
	v_bfe_u32 v9, v0, 10, 10
	s_clause 0x1
	s_load_b128 s[16:19], s[0:1], 0x28
	s_load_b64 s[30:31], s[0:1], 0x68
	s_wait_xcnt 0x0
	s_bfe_u32 s1, ttmp6, 0x4000c
	s_bfe_u32 s3, ttmp6, 0x40010
	s_and_b32 s37, ttmp7, 0xffff
	s_add_co_i32 s38, s1, 1
	s_add_co_i32 s39, s3, 1
	v_and_b32_e32 v6, 7, v0
	v_lshl_add_u32 v0, v9, 4, v1
	s_and_b32 s0, ttmp6, 15
	s_mul_i32 s38, ttmp9, s38
	s_mul_i32 s39, s37, s39
	s_bfe_u32 s40, ttmp6, 0x40004
	s_add_co_i32 s0, s0, s38
	s_add_co_i32 s40, s40, s39
	v_dual_lshrrev_b32 v8, 3, v0 :: v_dual_bitop2_b32 v5, 31, v0 bitop3:0x40
	s_wait_kmcnt 0x0
	s_ashr_i32 s1, s22, 31
	s_ashr_i32 s29, s28, 31
	;; [unrolled: 1-line block ×3, first 2 shown]
	s_cmp_eq_u32 s34, 0
	v_lshrrev_b32_e32 v42, 5, v0
	s_cselect_b32 s0, ttmp9, s0
	s_cselect_b32 s34, s37, s40
	s_lshl_b32 s37, s0, 5
	s_delay_alu instid0(SALU_CYCLE_1) | instskip(SKIP_3) | instid1(VALU_DEP_3)
	v_dual_mov_b32 v0, 0 :: v_dual_bitop2_b32 v2, s37, v5 bitop3:0x54
	s_lshl_b32 s34, s34, 5
	v_cmp_neq_f64_e64 s35, s[12:13], 0
	v_cmp_neq_f64_e64 s36, s[14:15], 0
	v_dual_mov_b32 v7, v0 :: v_dual_add_nc_u32 v4, s34, v8
	v_dual_ashrrev_i32 v3, 31, v2 :: v_dual_lshlrev_b32 v5, 4, v5
	v_add_nc_u32_e32 v18, s34, v9
	s_mov_b32 s0, s22
	s_delay_alu instid0(VALU_DEP_3) | instskip(NEXT) | instid1(VALU_DEP_3)
	v_mul_u64_e32 v[16:17], s[28:29], v[6:7]
	v_mul_u64_e32 v[20:21], s[0:1], v[2:3]
	v_lshlrev_b32_e32 v3, 4, v6
	v_cmp_gt_i32_e32 vcc_lo, s24, v2
	v_dual_add_nc_u32 v2, 16, v18 :: v_dual_ashrrev_i32 v19, 31, v18
	v_lshl_or_b32 v7, v42, 9, v5
	s_delay_alu instid0(VALU_DEP_4) | instskip(NEXT) | instid1(VALU_DEP_3)
	v_lshl_or_b32 v5, v8, 7, v3
	v_dual_add_nc_u32 v8, s37, v1 :: v_dual_ashrrev_i32 v3, 31, v2
	v_cmp_neq_f64_e64 s38, s[6:7], 0
	v_mul_u64_e32 v[10:11], s[2:3], v[18:19]
	v_cmp_gt_i32_e64 s1, s24, v18
	s_delay_alu instid0(VALU_DEP_4)
	v_add_nc_u32_e32 v12, 16, v8
	v_mul_u64_e32 v[14:15], s[2:3], v[2:3]
	v_cmp_le_i32_e64 s2, v8, v18
	v_lshl_add_u32 v45, v9, 7, 0x1000
	v_ashrrev_i32_e32 v9, 31, v8
	v_cmp_le_i32_e64 s3, v12, v18
	v_add_nc_u32_e32 v43, 0x1000, v5
	v_dual_ashrrev_i32 v5, 31, v4 :: v_dual_lshlrev_b32 v44, 4, v1
	v_dual_mov_b32 v19, v0 :: v_dual_lshlrev_b32 v18, 4, v42
	v_cmp_gt_i32_e64 s0, s24, v4
	s_or_b32 s35, s35, s36
	s_cmp_gt_i32 s25, 0
	v_ashrrev_i32_e32 v13, 31, v12
	s_cselect_b32 s36, -1, 0
	s_lshl_b64 s[4:5], s[4:5], 4
	s_lshl_b64 s[16:17], s[16:17], 4
	s_xor_b32 s22, s33, -1
	v_lshl_add_u64 v[16:17], v[16:17], 4, s[4:5]
	s_and_b32 s33, s1, s2
	s_and_b32 s34, s1, s3
	v_cmp_gt_i32_e64 s1, s24, v2
	v_cmp_le_i32_e64 s2, v8, v2
	v_cmp_le_i32_e64 s3, v12, v2
	v_lshl_add_u64 v[2:3], v[20:21], 4, s[16:17]
	v_lshl_add_u64 v[16:17], v[4:5], 4, v[16:17]
	s_and_b32 s17, s35, s36
	s_and_b32 s16, s1, s2
	s_or_b32 s22, s38, s22
	v_add_nc_u64_e32 v[18:19], v[2:3], v[18:19]
	v_or_b32_e32 v16, 8, v16
	s_and_b32 s1, s1, s3
	s_lshl_b64 s[2:3], s[28:29], 7
	s_xor_b32 s24, vcc_lo, -1
	s_lshl_b64 s[4:5], s[30:31], 4
	s_branch .LBB419_7
.LBB419_6:                              ;   in Loop: Header=BB419_7 Depth=1
	s_wait_xcnt 0x0
	s_or_b32 exec_lo, exec_lo, s28
	s_add_co_i32 s26, s26, 0x10000
	s_delay_alu instid0(SALU_CYCLE_1)
	s_cmp_lt_u32 s26, s23
	s_cbranch_scc0 .LBB419_37
.LBB419_7:                              ; =>This Loop Header: Depth=1
                                        ;     Child Loop BB419_10 Depth 2
	v_mov_b32_e32 v1, s26
	v_mov_b64_e32 v[38:39], 0
	v_mov_b64_e32 v[40:41], 0
	;; [unrolled: 1-line block ×4, first 2 shown]
	global_load_b64 v[24:25], v1, s[10:11] scale_offset
	v_mov_b64_e32 v[26:27], 0
	v_mov_b64_e32 v[28:29], 0
	v_mov_b64_e32 v[20:21], 0
	v_mov_b64_e32 v[22:23], 0
	s_and_not1_b32 vcc_lo, exec_lo, s17
	s_cbranch_vccnz .LBB419_16
; %bb.8:                                ;   in Loop: Header=BB419_7 Depth=1
	s_lshl_b64 s[28:29], s[26:27], 3
	v_mov_b64_e32 v[22:23], 0
	s_add_nc_u64 s[30:31], s[20:21], s[28:29]
	s_add_nc_u64 s[28:29], s[18:19], s[28:29]
	s_clause 0x1
	global_load_b64 v[2:3], v0, s[30:31]
	global_load_b64 v[4:5], v0, s[28:29]
	v_mov_b64_e32 v[20:21], 0
	v_mov_b64_e32 v[28:29], 0
	v_mov_b64_e32 v[26:27], 0
	v_mov_b64_e32 v[36:37], 0
	v_mov_b64_e32 v[34:35], 0
	v_mov_b64_e32 v[40:41], 0
	v_mov_b64_e32 v[38:39], 0
	s_wait_xcnt 0x0
	s_mov_b32 s28, 0
	s_wait_loadcnt 0x1
	v_add_nc_u64_e32 v[30:31], v[2:3], v[18:19]
	s_wait_loadcnt 0x0
	v_add_nc_u64_e32 v[32:33], v[4:5], v[16:17]
	s_branch .LBB419_10
.LBB419_9:                              ;   in Loop: Header=BB419_10 Depth=2
	s_wait_xcnt 0x0
	s_or_b32 exec_lo, exec_lo, s29
	ds_store_b128 v43, v[2:5]
	s_wait_dscnt 0x0
	s_barrier_signal -1
	s_barrier_wait -1
	ds_load_b128 v[2:5], v45
	ds_load_b128 v[46:49], v44
	ds_load_b128 v[50:53], v44 offset:256
	ds_load_b128 v[54:57], v45 offset:2048
	ds_load_b128 v[58:61], v45 offset:16
	ds_load_b128 v[62:65], v44 offset:512
	ds_load_b128 v[66:69], v44 offset:768
	ds_load_b128 v[70:73], v45 offset:2064
	ds_load_b128 v[74:77], v45 offset:32
	ds_load_b128 v[78:81], v44 offset:1024
	ds_load_b128 v[82:85], v44 offset:1280
	ds_load_b128 v[86:89], v45 offset:2080
	v_add_nc_u64_e32 v[30:31], 0x80, v[30:31]
	v_add_nc_u64_e32 v[32:33], s[2:3], v[32:33]
	s_add_co_i32 s28, s28, 8
	s_delay_alu instid0(SALU_CYCLE_1)
	s_cmp_lt_i32 s28, s25
	s_wait_dscnt 0xa
	v_mul_f64_e32 v[90:91], v[4:5], v[48:49]
	v_mul_f64_e32 v[92:93], v[2:3], v[48:49]
	s_wait_dscnt 0x9
	v_mul_f64_e32 v[94:95], v[4:5], v[52:53]
	v_mul_f64_e32 v[96:97], v[2:3], v[52:53]
	s_wait_dscnt 0x8
	v_mul_f64_e32 v[98:99], v[56:57], v[48:49]
	v_mul_f64_e32 v[100:101], v[54:55], v[48:49]
	v_mul_f64_e32 v[48:49], v[56:57], v[52:53]
	v_mul_f64_e32 v[102:103], v[54:55], v[52:53]
	s_wait_dscnt 0x6
	v_mul_f64_e32 v[104:105], v[60:61], v[64:65]
	v_mul_f64_e32 v[106:107], v[58:59], v[64:65]
	s_wait_dscnt 0x5
	v_mul_f64_e32 v[108:109], v[60:61], v[68:69]
	v_mul_f64_e32 v[110:111], v[58:59], v[68:69]
	s_wait_dscnt 0x4
	v_mul_f64_e32 v[112:113], v[72:73], v[64:65]
	v_mul_f64_e32 v[64:65], v[70:71], v[64:65]
	v_mul_f64_e32 v[114:115], v[72:73], v[68:69]
	v_mul_f64_e32 v[68:69], v[70:71], v[68:69]
	;; [unrolled: 11-line block ×3, first 2 shown]
	v_fma_f64 v[90:91], v[2:3], v[46:47], -v[90:91]
	v_fmac_f64_e32 v[92:93], v[4:5], v[46:47]
	v_fma_f64 v[94:95], v[2:3], v[50:51], -v[94:95]
	v_fmac_f64_e32 v[96:97], v[4:5], v[50:51]
	;; [unrolled: 2-line block ×8, first 2 shown]
	ds_load_b128 v[2:5], v45 offset:48
	ds_load_b128 v[46:49], v45 offset:2096
	;; [unrolled: 1-line block ×4, first 2 shown]
	v_fma_f64 v[118:119], v[74:75], v[78:79], -v[118:119]
	v_fmac_f64_e32 v[120:121], v[76:77], v[78:79]
	v_fma_f64 v[74:75], v[74:75], v[82:83], -v[122:123]
	v_fmac_f64_e32 v[124:125], v[76:77], v[82:83]
	;; [unrolled: 2-line block ×4, first 2 shown]
	v_add_f64_e32 v[66:67], v[38:39], v[90:91]
	v_add_f64_e32 v[70:71], v[92:93], v[40:41]
	;; [unrolled: 1-line block ×8, first 2 shown]
	s_wait_dscnt 0x1
	v_mul_f64_e32 v[100:101], v[4:5], v[52:53]
	v_mul_f64_e32 v[102:103], v[2:3], v[52:53]
	s_wait_dscnt 0x0
	v_mul_f64_e32 v[108:109], v[4:5], v[56:57]
	v_mul_f64_e32 v[112:113], v[2:3], v[56:57]
	;; [unrolled: 1-line block ×6, first 2 shown]
	ds_load_b128 v[20:23], v45 offset:64
	ds_load_b128 v[26:29], v44 offset:2048
	;; [unrolled: 1-line block ×4, first 2 shown]
	v_add_f64_e32 v[82:83], v[66:67], v[104:105]
	v_add_f64_e32 v[86:87], v[106:107], v[70:71]
	;; [unrolled: 1-line block ×8, first 2 shown]
	s_wait_dscnt 0x2
	v_mul_f64_e32 v[98:99], v[22:23], v[28:29]
	v_mul_f64_e32 v[104:105], v[20:21], v[28:29]
	s_wait_dscnt 0x1
	v_mul_f64_e32 v[106:107], v[22:23], v[36:37]
	v_mul_f64_e32 v[110:111], v[20:21], v[36:37]
	;; [unrolled: 3-line block ×3, first 2 shown]
	v_mul_f64_e32 v[28:29], v[40:41], v[36:37]
	v_mul_f64_e32 v[128:129], v[38:39], v[36:37]
	v_fma_f64 v[36:37], v[2:3], v[50:51], -v[100:101]
	v_fmac_f64_e32 v[102:103], v[4:5], v[50:51]
	v_fma_f64 v[100:101], v[2:3], v[54:55], -v[108:109]
	v_fmac_f64_e32 v[112:113], v[4:5], v[54:55]
	;; [unrolled: 2-line block ×4, first 2 shown]
	ds_load_b128 v[56:59], v45 offset:80
	ds_load_b128 v[60:63], v45 offset:2128
	;; [unrolled: 1-line block ×4, first 2 shown]
	v_add_f64_e32 v[54:55], v[82:83], v[118:119]
	v_add_f64_e32 v[82:83], v[120:121], v[86:87]
	;; [unrolled: 1-line block ×8, first 2 shown]
	v_fma_f64 v[98:99], v[20:21], v[26:27], -v[98:99]
	v_fmac_f64_e32 v[104:105], v[22:23], v[26:27]
	v_fma_f64 v[106:107], v[20:21], v[34:35], -v[106:107]
	s_wait_dscnt 0x1
	v_mul_f64_e32 v[90:91], v[58:59], v[66:67]
	v_mul_f64_e32 v[92:93], v[56:57], v[66:67]
	s_wait_dscnt 0x0
	v_mul_f64_e32 v[94:95], v[58:59], v[70:71]
	v_mul_f64_e32 v[96:97], v[56:57], v[70:71]
	;; [unrolled: 1-line block ×6, first 2 shown]
	v_fmac_f64_e32 v[110:111], v[22:23], v[34:35]
	v_fma_f64 v[122:123], v[38:39], v[26:27], -v[122:123]
	v_fmac_f64_e32 v[126:127], v[40:41], v[26:27]
	v_fma_f64 v[124:125], v[38:39], v[34:35], -v[28:29]
	v_fmac_f64_e32 v[128:129], v[40:41], v[34:35]
	ds_load_b128 v[2:5], v45 offset:96
	ds_load_b128 v[46:49], v44 offset:3072
	;; [unrolled: 1-line block ×4, first 2 shown]
	v_add_f64_e32 v[54:55], v[54:55], v[36:37]
	v_add_f64_e32 v[82:83], v[102:103], v[82:83]
	;; [unrolled: 1-line block ×8, first 2 shown]
	ds_load_b128 v[20:23], v45 offset:112
	ds_load_b128 v[26:29], v45 offset:2160
	;; [unrolled: 1-line block ×4, first 2 shown]
	s_wait_dscnt 0x0
	v_mul_f64_e32 v[100:101], v[4:5], v[48:49]
	v_mul_f64_e32 v[102:103], v[2:3], v[48:49]
	;; [unrolled: 1-line block ×8, first 2 shown]
	v_fma_f64 v[90:91], v[56:57], v[64:65], -v[90:91]
	v_fmac_f64_e32 v[92:93], v[58:59], v[64:65]
	v_fma_f64 v[56:57], v[56:57], v[68:69], -v[94:95]
	v_fmac_f64_e32 v[96:97], v[58:59], v[68:69]
	;; [unrolled: 2-line block ×4, first 2 shown]
	s_barrier_signal -1
	s_barrier_wait -1
	v_mul_f64_e32 v[94:95], v[20:21], v[40:41]
	v_add_f64_e32 v[54:55], v[54:55], v[98:99]
	v_add_f64_e32 v[62:63], v[104:105], v[82:83]
	;; [unrolled: 1-line block ×8, first 2 shown]
	v_mul_f64_e32 v[84:85], v[22:23], v[36:37]
	v_mul_f64_e32 v[86:87], v[20:21], v[36:37]
	;; [unrolled: 1-line block ×7, first 2 shown]
	v_fma_f64 v[40:41], v[2:3], v[46:47], -v[100:101]
	v_fmac_f64_e32 v[102:103], v[4:5], v[46:47]
	v_fma_f64 v[2:3], v[2:3], v[50:51], -v[108:109]
	v_fmac_f64_e32 v[112:113], v[4:5], v[50:51]
	;; [unrolled: 2-line block ×4, first 2 shown]
	v_fmac_f64_e32 v[94:95], v[22:23], v[38:39]
	v_add_f64_e32 v[50:51], v[54:55], v[90:91]
	v_add_f64_e32 v[54:55], v[92:93], v[62:63]
	;; [unrolled: 1-line block ×8, first 2 shown]
	v_fma_f64 v[68:69], v[20:21], v[34:35], -v[84:85]
	v_fmac_f64_e32 v[86:87], v[22:23], v[34:35]
	v_fma_f64 v[20:21], v[20:21], v[38:39], -v[88:89]
	v_fma_f64 v[22:23], v[26:27], v[34:35], -v[98:99]
	v_fmac_f64_e32 v[104:105], v[28:29], v[34:35]
	v_fma_f64 v[70:71], v[26:27], v[38:39], -v[36:37]
	v_fmac_f64_e32 v[106:107], v[28:29], v[38:39]
	v_add_f64_e32 v[26:27], v[50:51], v[40:41]
	v_add_f64_e32 v[28:29], v[102:103], v[54:55]
	;; [unrolled: 1-line block ×16, first 2 shown]
	s_cbranch_scc0 .LBB419_16
.LBB419_10:                             ;   Parent Loop BB419_7 Depth=1
                                        ; =>  This Inner Loop Header: Depth=2
	v_add_nc_u32_e32 v1, s28, v42
	s_delay_alu instid0(VALU_DEP_1) | instskip(SKIP_1) | instid1(SALU_CYCLE_1)
	v_cmp_le_i32_e32 vcc_lo, s25, v1
	s_or_b32 s29, s24, vcc_lo
	s_and_saveexec_b32 s30, s29
	s_delay_alu instid0(SALU_CYCLE_1)
	s_xor_b32 s29, exec_lo, s30
; %bb.11:                               ;   in Loop: Header=BB419_10 Depth=2
	v_dual_mov_b32 v1, v0 :: v_dual_mov_b32 v2, v0
	v_mov_b32_e32 v3, v0
	ds_store_b128 v7, v[0:3]
; %bb.12:                               ;   in Loop: Header=BB419_10 Depth=2
	s_and_not1_saveexec_b32 s29, s29
	s_cbranch_execz .LBB419_14
; %bb.13:                               ;   in Loop: Header=BB419_10 Depth=2
	flat_load_b128 v[2:5], v[30:31]
	s_wait_loadcnt_dscnt 0x0
	ds_store_2addr_b64 v7, v[2:3], v[4:5] offset1:1
.LBB419_14:                             ;   in Loop: Header=BB419_10 Depth=2
	s_wait_xcnt 0x0
	s_or_b32 exec_lo, exec_lo, s29
	v_add_nc_u32_e32 v1, s28, v6
	v_mov_b64_e32 v[2:3], 0
	v_mov_b64_e32 v[4:5], 0
	s_delay_alu instid0(VALU_DEP_3) | instskip(SKIP_1) | instid1(SALU_CYCLE_1)
	v_cmp_gt_i32_e32 vcc_lo, s25, v1
	s_and_b32 s30, vcc_lo, s0
	s_and_saveexec_b32 s29, s30
	s_cbranch_execz .LBB419_9
; %bb.15:                               ;   in Loop: Header=BB419_10 Depth=2
	flat_load_b128 v[2:5], v[32:33] offset:-8
	s_wait_loadcnt_dscnt 0x0
	v_xor_b32_e32 v5, 0x80000000, v5
	s_branch .LBB419_9
.LBB419_16:                             ;   in Loop: Header=BB419_7 Depth=1
	s_wait_loadcnt 0x0
	v_add_nc_u64_e32 v[24:25], s[4:5], v[24:25]
	s_delay_alu instid0(VALU_DEP_1)
	v_lshl_add_u64 v[30:31], v[10:11], 4, v[24:25]
	s_wait_xcnt 0x0
	s_and_saveexec_b32 s28, s33
	s_cbranch_execz .LBB419_21
; %bb.17:                               ;   in Loop: Header=BB419_7 Depth=1
	v_mul_f64_e32 v[2:3], s[14:15], v[40:41]
	v_mul_f64_e32 v[4:5], s[12:13], v[40:41]
	v_lshl_add_u64 v[32:33], v[8:9], 4, v[30:31]
	s_and_b32 vcc_lo, exec_lo, s22
	s_mov_b32 s29, -1
	s_delay_alu instid0(VALU_DEP_3) | instskip(NEXT) | instid1(VALU_DEP_3)
	v_fma_f64 v[2:3], s[12:13], v[38:39], -v[2:3]
	v_fmac_f64_e32 v[4:5], s[14:15], v[38:39]
	s_cbranch_vccz .LBB419_19
; %bb.18:                               ;   in Loop: Header=BB419_7 Depth=1
	flat_load_b128 v[38:41], v[32:33]
	s_mov_b32 s29, 0
	s_wait_loadcnt_dscnt 0x0
	v_mul_f64_e32 v[46:47], s[8:9], v[40:41]
	v_mul_f64_e32 v[40:41], s[6:7], v[40:41]
	s_delay_alu instid0(VALU_DEP_2) | instskip(NEXT) | instid1(VALU_DEP_2)
	v_fma_f64 v[46:47], s[6:7], v[38:39], -v[46:47]
	v_fmac_f64_e32 v[40:41], s[8:9], v[38:39]
	s_delay_alu instid0(VALU_DEP_2) | instskip(NEXT) | instid1(VALU_DEP_2)
	v_add_f64_e32 v[38:39], v[2:3], v[46:47]
	v_add_f64_e32 v[40:41], v[4:5], v[40:41]
	flat_store_b128 v[32:33], v[38:41]
.LBB419_19:                             ;   in Loop: Header=BB419_7 Depth=1
	s_and_not1_b32 vcc_lo, exec_lo, s29
	s_cbranch_vccnz .LBB419_21
; %bb.20:                               ;   in Loop: Header=BB419_7 Depth=1
	flat_store_b128 v[32:33], v[2:5]
.LBB419_21:                             ;   in Loop: Header=BB419_7 Depth=1
	s_wait_xcnt 0x0
	s_or_b32 exec_lo, exec_lo, s28
	s_and_saveexec_b32 s28, s34
	s_cbranch_execz .LBB419_26
; %bb.22:                               ;   in Loop: Header=BB419_7 Depth=1
	v_mul_f64_e32 v[2:3], s[14:15], v[36:37]
	v_mul_f64_e32 v[4:5], s[12:13], v[36:37]
	v_lshl_add_u64 v[30:31], v[12:13], 4, v[30:31]
	s_and_not1_b32 vcc_lo, exec_lo, s22
	s_mov_b32 s29, -1
	s_delay_alu instid0(VALU_DEP_3) | instskip(NEXT) | instid1(VALU_DEP_3)
	v_fma_f64 v[2:3], s[12:13], v[34:35], -v[2:3]
	v_fmac_f64_e32 v[4:5], s[14:15], v[34:35]
	s_cbranch_vccnz .LBB419_24
; %bb.23:                               ;   in Loop: Header=BB419_7 Depth=1
	flat_load_b128 v[32:35], v[30:31]
	s_mov_b32 s29, 0
	s_wait_loadcnt_dscnt 0x0
	v_mul_f64_e32 v[36:37], s[8:9], v[34:35]
	v_mul_f64_e32 v[34:35], s[6:7], v[34:35]
	s_delay_alu instid0(VALU_DEP_2) | instskip(NEXT) | instid1(VALU_DEP_2)
	v_fma_f64 v[36:37], s[6:7], v[32:33], -v[36:37]
	v_fmac_f64_e32 v[34:35], s[8:9], v[32:33]
	s_delay_alu instid0(VALU_DEP_2) | instskip(NEXT) | instid1(VALU_DEP_2)
	v_add_f64_e32 v[32:33], v[2:3], v[36:37]
	v_add_f64_e32 v[34:35], v[4:5], v[34:35]
	flat_store_b128 v[30:31], v[32:35]
.LBB419_24:                             ;   in Loop: Header=BB419_7 Depth=1
	s_and_not1_b32 vcc_lo, exec_lo, s29
	s_cbranch_vccnz .LBB419_26
; %bb.25:                               ;   in Loop: Header=BB419_7 Depth=1
	flat_store_b128 v[30:31], v[2:5]
.LBB419_26:                             ;   in Loop: Header=BB419_7 Depth=1
	s_wait_xcnt 0x0
	s_or_b32 exec_lo, exec_lo, s28
	v_lshl_add_u64 v[24:25], v[14:15], 4, v[24:25]
	s_and_saveexec_b32 s28, s16
	s_cbranch_execz .LBB419_31
; %bb.27:                               ;   in Loop: Header=BB419_7 Depth=1
	v_mul_f64_e32 v[2:3], s[14:15], v[28:29]
	v_mul_f64_e32 v[4:5], s[12:13], v[28:29]
	s_and_not1_b32 vcc_lo, exec_lo, s22
	s_mov_b32 s29, -1
	s_delay_alu instid0(VALU_DEP_2) | instskip(NEXT) | instid1(VALU_DEP_2)
	v_fma_f64 v[2:3], s[12:13], v[26:27], -v[2:3]
	v_fmac_f64_e32 v[4:5], s[14:15], v[26:27]
	v_lshl_add_u64 v[26:27], v[8:9], 4, v[24:25]
	s_cbranch_vccnz .LBB419_29
; %bb.28:                               ;   in Loop: Header=BB419_7 Depth=1
	flat_load_b128 v[28:31], v[26:27]
	s_mov_b32 s29, 0
	s_wait_loadcnt_dscnt 0x0
	v_mul_f64_e32 v[32:33], s[8:9], v[30:31]
	v_mul_f64_e32 v[30:31], s[6:7], v[30:31]
	s_delay_alu instid0(VALU_DEP_2) | instskip(NEXT) | instid1(VALU_DEP_2)
	v_fma_f64 v[32:33], s[6:7], v[28:29], -v[32:33]
	v_fmac_f64_e32 v[30:31], s[8:9], v[28:29]
	s_delay_alu instid0(VALU_DEP_2) | instskip(NEXT) | instid1(VALU_DEP_2)
	v_add_f64_e32 v[28:29], v[2:3], v[32:33]
	v_add_f64_e32 v[30:31], v[4:5], v[30:31]
	flat_store_b128 v[26:27], v[28:31]
.LBB419_29:                             ;   in Loop: Header=BB419_7 Depth=1
	s_and_not1_b32 vcc_lo, exec_lo, s29
	s_cbranch_vccnz .LBB419_31
; %bb.30:                               ;   in Loop: Header=BB419_7 Depth=1
	flat_store_b128 v[26:27], v[2:5]
.LBB419_31:                             ;   in Loop: Header=BB419_7 Depth=1
	s_wait_xcnt 0x0
	s_or_b32 exec_lo, exec_lo, s28
	s_and_saveexec_b32 s28, s1
	s_cbranch_execz .LBB419_6
; %bb.32:                               ;   in Loop: Header=BB419_7 Depth=1
	s_delay_alu instid0(VALU_DEP_4) | instskip(SKIP_3) | instid1(VALU_DEP_2)
	v_mul_f64_e32 v[2:3], s[14:15], v[22:23]
	v_mul_f64_e32 v[4:5], s[12:13], v[22:23]
	s_and_not1_b32 vcc_lo, exec_lo, s22
	s_mov_b32 s29, -1
	v_fma_f64 v[2:3], s[12:13], v[20:21], -v[2:3]
	s_delay_alu instid0(VALU_DEP_2)
	v_fmac_f64_e32 v[4:5], s[14:15], v[20:21]
	v_lshl_add_u64 v[20:21], v[12:13], 4, v[24:25]
	s_cbranch_vccnz .LBB419_34
; %bb.33:                               ;   in Loop: Header=BB419_7 Depth=1
	flat_load_b128 v[22:25], v[20:21]
	s_mov_b32 s29, 0
	s_wait_loadcnt_dscnt 0x0
	v_mul_f64_e32 v[26:27], s[8:9], v[24:25]
	v_mul_f64_e32 v[24:25], s[6:7], v[24:25]
	s_delay_alu instid0(VALU_DEP_2) | instskip(NEXT) | instid1(VALU_DEP_2)
	v_fma_f64 v[26:27], s[6:7], v[22:23], -v[26:27]
	v_fmac_f64_e32 v[24:25], s[8:9], v[22:23]
	s_delay_alu instid0(VALU_DEP_2) | instskip(NEXT) | instid1(VALU_DEP_2)
	v_add_f64_e32 v[22:23], v[2:3], v[26:27]
	v_add_f64_e32 v[24:25], v[4:5], v[24:25]
	flat_store_b128 v[20:21], v[22:25]
.LBB419_34:                             ;   in Loop: Header=BB419_7 Depth=1
	s_and_not1_b32 vcc_lo, exec_lo, s29
	s_cbranch_vccnz .LBB419_6
; %bb.35:                               ;   in Loop: Header=BB419_7 Depth=1
	flat_store_b128 v[20:21], v[2:5]
	s_branch .LBB419_6
.LBB419_36:
.LBB419_37:
	s_sendmsg sendmsg(MSG_DEALLOC_VGPRS)
	s_endpgm
	.section	.rodata,"a",@progbits
	.p2align	6, 0x0
	.amdhsa_kernel _ZL29rocblas_internal_gemmt_kernelIiLi16ELi32ELi8ELc84ELc67ELc85ELb0ELb1E19rocblas_complex_numIdES1_PKPKS1_PKPS1_EviT_T9_T10_S9_lSB_S9_lSA_T11_S9_li
		.amdhsa_group_segment_fixed_size 8192
		.amdhsa_private_segment_fixed_size 0
		.amdhsa_kernarg_size 116
		.amdhsa_user_sgpr_count 2
		.amdhsa_user_sgpr_dispatch_ptr 0
		.amdhsa_user_sgpr_queue_ptr 0
		.amdhsa_user_sgpr_kernarg_segment_ptr 1
		.amdhsa_user_sgpr_dispatch_id 0
		.amdhsa_user_sgpr_kernarg_preload_length 0
		.amdhsa_user_sgpr_kernarg_preload_offset 0
		.amdhsa_user_sgpr_private_segment_size 0
		.amdhsa_wavefront_size32 1
		.amdhsa_uses_dynamic_stack 0
		.amdhsa_enable_private_segment 0
		.amdhsa_system_sgpr_workgroup_id_x 1
		.amdhsa_system_sgpr_workgroup_id_y 1
		.amdhsa_system_sgpr_workgroup_id_z 1
		.amdhsa_system_sgpr_workgroup_info 0
		.amdhsa_system_vgpr_workitem_id 1
		.amdhsa_next_free_vgpr 132
		.amdhsa_next_free_sgpr 41
		.amdhsa_named_barrier_count 0
		.amdhsa_reserve_vcc 1
		.amdhsa_float_round_mode_32 0
		.amdhsa_float_round_mode_16_64 0
		.amdhsa_float_denorm_mode_32 3
		.amdhsa_float_denorm_mode_16_64 3
		.amdhsa_fp16_overflow 0
		.amdhsa_memory_ordered 1
		.amdhsa_forward_progress 1
		.amdhsa_inst_pref_size 24
		.amdhsa_round_robin_scheduling 0
		.amdhsa_exception_fp_ieee_invalid_op 0
		.amdhsa_exception_fp_denorm_src 0
		.amdhsa_exception_fp_ieee_div_zero 0
		.amdhsa_exception_fp_ieee_overflow 0
		.amdhsa_exception_fp_ieee_underflow 0
		.amdhsa_exception_fp_ieee_inexact 0
		.amdhsa_exception_int_div_zero 0
	.end_amdhsa_kernel
	.section	.text._ZL29rocblas_internal_gemmt_kernelIiLi16ELi32ELi8ELc84ELc67ELc85ELb0ELb1E19rocblas_complex_numIdES1_PKPKS1_PKPS1_EviT_T9_T10_S9_lSB_S9_lSA_T11_S9_li,"axG",@progbits,_ZL29rocblas_internal_gemmt_kernelIiLi16ELi32ELi8ELc84ELc67ELc85ELb0ELb1E19rocblas_complex_numIdES1_PKPKS1_PKPS1_EviT_T9_T10_S9_lSB_S9_lSA_T11_S9_li,comdat
.Lfunc_end419:
	.size	_ZL29rocblas_internal_gemmt_kernelIiLi16ELi32ELi8ELc84ELc67ELc85ELb0ELb1E19rocblas_complex_numIdES1_PKPKS1_PKPS1_EviT_T9_T10_S9_lSB_S9_lSA_T11_S9_li, .Lfunc_end419-_ZL29rocblas_internal_gemmt_kernelIiLi16ELi32ELi8ELc84ELc67ELc85ELb0ELb1E19rocblas_complex_numIdES1_PKPKS1_PKPS1_EviT_T9_T10_S9_lSB_S9_lSA_T11_S9_li
                                        ; -- End function
	.set _ZL29rocblas_internal_gemmt_kernelIiLi16ELi32ELi8ELc84ELc67ELc85ELb0ELb1E19rocblas_complex_numIdES1_PKPKS1_PKPS1_EviT_T9_T10_S9_lSB_S9_lSA_T11_S9_li.num_vgpr, 132
	.set _ZL29rocblas_internal_gemmt_kernelIiLi16ELi32ELi8ELc84ELc67ELc85ELb0ELb1E19rocblas_complex_numIdES1_PKPKS1_PKPS1_EviT_T9_T10_S9_lSB_S9_lSA_T11_S9_li.num_agpr, 0
	.set _ZL29rocblas_internal_gemmt_kernelIiLi16ELi32ELi8ELc84ELc67ELc85ELb0ELb1E19rocblas_complex_numIdES1_PKPKS1_PKPS1_EviT_T9_T10_S9_lSB_S9_lSA_T11_S9_li.numbered_sgpr, 41
	.set _ZL29rocblas_internal_gemmt_kernelIiLi16ELi32ELi8ELc84ELc67ELc85ELb0ELb1E19rocblas_complex_numIdES1_PKPKS1_PKPS1_EviT_T9_T10_S9_lSB_S9_lSA_T11_S9_li.num_named_barrier, 0
	.set _ZL29rocblas_internal_gemmt_kernelIiLi16ELi32ELi8ELc84ELc67ELc85ELb0ELb1E19rocblas_complex_numIdES1_PKPKS1_PKPS1_EviT_T9_T10_S9_lSB_S9_lSA_T11_S9_li.private_seg_size, 0
	.set _ZL29rocblas_internal_gemmt_kernelIiLi16ELi32ELi8ELc84ELc67ELc85ELb0ELb1E19rocblas_complex_numIdES1_PKPKS1_PKPS1_EviT_T9_T10_S9_lSB_S9_lSA_T11_S9_li.uses_vcc, 1
	.set _ZL29rocblas_internal_gemmt_kernelIiLi16ELi32ELi8ELc84ELc67ELc85ELb0ELb1E19rocblas_complex_numIdES1_PKPKS1_PKPS1_EviT_T9_T10_S9_lSB_S9_lSA_T11_S9_li.uses_flat_scratch, 0
	.set _ZL29rocblas_internal_gemmt_kernelIiLi16ELi32ELi8ELc84ELc67ELc85ELb0ELb1E19rocblas_complex_numIdES1_PKPKS1_PKPS1_EviT_T9_T10_S9_lSB_S9_lSA_T11_S9_li.has_dyn_sized_stack, 0
	.set _ZL29rocblas_internal_gemmt_kernelIiLi16ELi32ELi8ELc84ELc67ELc85ELb0ELb1E19rocblas_complex_numIdES1_PKPKS1_PKPS1_EviT_T9_T10_S9_lSB_S9_lSA_T11_S9_li.has_recursion, 0
	.set _ZL29rocblas_internal_gemmt_kernelIiLi16ELi32ELi8ELc84ELc67ELc85ELb0ELb1E19rocblas_complex_numIdES1_PKPKS1_PKPS1_EviT_T9_T10_S9_lSB_S9_lSA_T11_S9_li.has_indirect_call, 0
	.section	.AMDGPU.csdata,"",@progbits
; Kernel info:
; codeLenInByte = 2964
; TotalNumSgprs: 43
; NumVgprs: 132
; ScratchSize: 0
; MemoryBound: 1
; FloatMode: 240
; IeeeMode: 1
; LDSByteSize: 8192 bytes/workgroup (compile time only)
; SGPRBlocks: 0
; VGPRBlocks: 8
; NumSGPRsForWavesPerEU: 43
; NumVGPRsForWavesPerEU: 132
; NamedBarCnt: 0
; Occupancy: 7
; WaveLimiterHint : 1
; COMPUTE_PGM_RSRC2:SCRATCH_EN: 0
; COMPUTE_PGM_RSRC2:USER_SGPR: 2
; COMPUTE_PGM_RSRC2:TRAP_HANDLER: 0
; COMPUTE_PGM_RSRC2:TGID_X_EN: 1
; COMPUTE_PGM_RSRC2:TGID_Y_EN: 1
; COMPUTE_PGM_RSRC2:TGID_Z_EN: 1
; COMPUTE_PGM_RSRC2:TIDIG_COMP_CNT: 1
	.section	.text._ZL29rocblas_internal_gemmt_kernelIiLi16ELi32ELi8ELc67ELc78ELc85ELb1ELb0E19rocblas_complex_numIdES1_PKPKS1_PKPS1_EviT_T9_T10_S9_lSB_S9_lSA_T11_S9_li,"axG",@progbits,_ZL29rocblas_internal_gemmt_kernelIiLi16ELi32ELi8ELc67ELc78ELc85ELb1ELb0E19rocblas_complex_numIdES1_PKPKS1_PKPS1_EviT_T9_T10_S9_lSB_S9_lSA_T11_S9_li,comdat
	.globl	_ZL29rocblas_internal_gemmt_kernelIiLi16ELi32ELi8ELc67ELc78ELc85ELb1ELb0E19rocblas_complex_numIdES1_PKPKS1_PKPS1_EviT_T9_T10_S9_lSB_S9_lSA_T11_S9_li ; -- Begin function _ZL29rocblas_internal_gemmt_kernelIiLi16ELi32ELi8ELc67ELc78ELc85ELb1ELb0E19rocblas_complex_numIdES1_PKPKS1_PKPS1_EviT_T9_T10_S9_lSB_S9_lSA_T11_S9_li
	.p2align	8
	.type	_ZL29rocblas_internal_gemmt_kernelIiLi16ELi32ELi8ELc67ELc78ELc85ELb1ELb0E19rocblas_complex_numIdES1_PKPKS1_PKPS1_EviT_T9_T10_S9_lSB_S9_lSA_T11_S9_li,@function
_ZL29rocblas_internal_gemmt_kernelIiLi16ELi32ELi8ELc67ELc78ELc85ELb1ELb0E19rocblas_complex_numIdES1_PKPKS1_PKPS1_EviT_T9_T10_S9_lSB_S9_lSA_T11_S9_li: ; @_ZL29rocblas_internal_gemmt_kernelIiLi16ELi32ELi8ELc67ELc78ELc85ELb1ELb0E19rocblas_complex_numIdES1_PKPKS1_PKPS1_EviT_T9_T10_S9_lSB_S9_lSA_T11_S9_li
; %bb.0:
	s_clause 0x2
	s_load_b256 s[8:15], s[0:1], 0x40
	s_load_b64 s[24:25], s[0:1], 0x0
	s_load_b128 s[16:19], s[0:1], 0x8
	s_wait_kmcnt 0x0
	v_cmp_eq_f64_e64 s2, s[10:11], 1.0
	v_cmp_eq_f64_e64 s33, s[12:13], 0
	s_and_b32 s2, s2, s33
	s_delay_alu instid0(SALU_CYCLE_1)
	s_and_not1_b32 vcc_lo, exec_lo, s2
	s_mov_b32 s2, -1
	s_cbranch_vccnz .LBB420_3
; %bb.1:
	s_cmp_lg_u32 s25, 0
	s_cbranch_scc0 .LBB420_36
; %bb.2:
	v_cmp_neq_f64_e64 s2, s[16:17], 0
	v_cmp_neq_f64_e64 s3, s[18:19], 0
	s_or_b32 s2, s2, s3
.LBB420_3:
	s_delay_alu instid0(SALU_CYCLE_1)
	s_and_b32 vcc_lo, exec_lo, s2
	s_cbranch_vccz .LBB420_37
; %bb.4:
	s_load_b32 s23, s[0:1], 0x70
	s_bfe_u32 s2, ttmp6, 0x40014
	s_lshr_b32 s3, ttmp7, 16
	s_add_co_i32 s2, s2, 1
	s_bfe_u32 s4, ttmp6, 0x40008
	s_mul_i32 s2, s3, s2
	s_getreg_b32 s34, hwreg(HW_REG_IB_STS2, 6, 4)
	s_add_co_i32 s4, s4, s2
	s_cmp_eq_u32 s34, 0
	s_mov_b32 s27, 0
	s_cselect_b32 s26, s3, s4
	s_wait_kmcnt 0x0
	s_cmp_ge_u32 s26, s23
	s_cbranch_scc1 .LBB420_37
; %bb.5:
	s_clause 0x2
	s_load_b96 s[20:22], s[0:1], 0x18
	s_load_b32 s2, s[0:1], 0x38
	s_load_b32 s30, s[0:1], 0x60
	v_and_b32_e32 v1, 0x3ff, v0
	v_bfe_u32 v6, v0, 10, 10
	s_clause 0x1
	s_load_b128 s[4:7], s[0:1], 0x28
	s_load_b64 s[28:29], s[0:1], 0x68
	s_wait_xcnt 0x0
	s_bfe_u32 s1, ttmp6, 0x4000c
	s_bfe_u32 s3, ttmp6, 0x40010
	s_and_b32 s35, ttmp7, 0xffff
	s_add_co_i32 s1, s1, 1
	s_add_co_i32 s3, s3, 1
	v_lshl_add_u32 v7, v6, 4, v1
	s_and_b32 s0, ttmp6, 15
	s_bfe_u32 s36, ttmp6, 0x40004
	s_mul_i32 s1, ttmp9, s1
	s_mul_i32 s37, s35, s3
	s_add_co_i32 s0, s0, s1
	s_add_co_i32 s36, s36, s37
	v_dual_lshrrev_b32 v9, 3, v7 :: v_dual_bitop2_b32 v8, 31, v7 bitop3:0x40
	s_wait_kmcnt 0x0
	s_ashr_i32 s1, s22, 31
	s_ashr_i32 s3, s2, 31
	;; [unrolled: 1-line block ×3, first 2 shown]
	s_cmp_eq_u32 s34, 0
	v_cmp_neq_f64_e64 s34, s[16:17], 0
	s_cselect_b32 s0, ttmp9, s0
	s_cselect_b32 s35, s35, s36
	s_lshl_b32 s36, s0, 5
	s_lshl_b32 s35, s35, 5
	s_delay_alu instid0(SALU_CYCLE_1)
	v_dual_add_nc_u32 v4, s35, v9 :: v_dual_bitop2_b32 v2, s36, v8 bitop3:0x54
	v_cmp_neq_f64_e64 s37, s[18:19], 0
	v_and_b32_e32 v40, 7, v0
	s_mov_b32 s0, s22
	v_dual_ashrrev_i32 v3, 31, v2 :: v_dual_lshlrev_b32 v41, 4, v1
	v_dual_ashrrev_i32 v5, 31, v4 :: v_dual_add_nc_u32 v18, s35, v6
	v_lshrrev_b32_e32 v42, 5, v7
	s_delay_alu instid0(VALU_DEP_3) | instskip(SKIP_1) | instid1(VALU_DEP_4)
	v_mul_u64_e32 v[14:15], s[0:1], v[2:3]
	v_lshl_add_u32 v43, v6, 7, 0x1000
	v_mul_u64_e32 v[20:21], s[2:3], v[4:5]
	v_dual_add_nc_u32 v6, s36, v1 :: v_dual_add_nc_u32 v24, 16, v18
	v_ashrrev_i32_e32 v19, 31, v18
	v_cmp_neq_f64_e64 s38, s[10:11], 0
	v_dual_mov_b32 v0, 0 :: v_dual_lshlrev_b32 v16, 4, v40
	v_dual_lshlrev_b32 v3, 4, v8 :: v_dual_lshlrev_b32 v22, 4, v42
	v_ashrrev_i32_e32 v25, 31, v24
	v_cmp_gt_i32_e64 s0, s24, v2
	s_delay_alu instid0(VALU_DEP_4)
	v_lshl_or_b32 v7, v9, 7, v16
	v_mul_u64_e32 v[8:9], s[30:31], v[18:19]
	v_lshl_or_b32 v44, v42, 9, v3
	v_mul_u64_e32 v[10:11], s[30:31], v[24:25]
	v_cmp_gt_i32_e64 s1, s24, v18
	v_cmp_le_i32_e64 s2, v6, v18
	v_dual_mov_b32 v23, v0 :: v_dual_add_nc_u32 v12, 16, v6
	v_add_nc_u32_e32 v45, 0x1000, v7
	v_dual_ashrrev_i32 v7, 31, v6 :: v_dual_mov_b32 v17, v0
	s_or_b32 s34, s34, s37
	s_cmp_gt_i32 s25, 0
	v_cmp_gt_i32_e32 vcc_lo, s24, v4
	s_cselect_b32 s35, -1, 0
	s_lshl_b64 s[30:31], s[4:5], 4
	s_and_b32 s22, s1, s2
	v_cmp_le_i32_e64 s2, v12, v18
	s_xor_b32 s3, s33, -1
	v_lshl_add_u64 v[2:3], v[14:15], 4, s[30:31]
	s_lshl_b64 s[30:31], s[8:9], 4
	v_cmp_le_i32_e64 s4, v6, v24
	s_and_b32 s8, s1, s2
	v_cmp_le_i32_e64 s1, v12, v24
	v_add_nc_u64_e32 v[14:15], v[2:3], v[22:23]
	v_lshl_add_u64 v[2:3], v[20:21], 4, s[30:31]
	s_or_b32 s5, s38, s3
	v_cmp_gt_i32_e64 s3, s24, v24
	v_ashrrev_i32_e32 v13, 31, v12
	s_and_b32 s9, s34, s35
	v_add_nc_u64_e32 v[16:17], v[2:3], v[16:17]
	v_or_b32_e32 v14, 8, v14
	s_and_b32 s4, s3, s4
	s_and_b32 s1, s3, s1
	s_xor_b32 s24, vcc_lo, -1
	s_lshl_b64 s[2:3], s[28:29], 4
	s_branch .LBB420_7
.LBB420_6:                              ;   in Loop: Header=BB420_7 Depth=1
	s_wait_xcnt 0x0
	s_or_b32 exec_lo, exec_lo, s28
	s_add_co_i32 s26, s26, 0x10000
	s_delay_alu instid0(SALU_CYCLE_1)
	s_cmp_lt_u32 s26, s23
	s_cbranch_scc0 .LBB420_37
.LBB420_7:                              ; =>This Loop Header: Depth=1
                                        ;     Child Loop BB420_10 Depth 2
	v_mov_b32_e32 v1, s26
	v_mov_b64_e32 v[36:37], 0
	v_mov_b64_e32 v[38:39], 0
	;; [unrolled: 1-line block ×4, first 2 shown]
	global_load_b64 v[22:23], v1, s[14:15] scale_offset
	v_mov_b64_e32 v[24:25], 0
	v_mov_b64_e32 v[26:27], 0
	;; [unrolled: 1-line block ×4, first 2 shown]
	s_and_not1_b32 vcc_lo, exec_lo, s9
	s_cbranch_vccnz .LBB420_16
; %bb.8:                                ;   in Loop: Header=BB420_7 Depth=1
	s_lshl_b64 s[28:29], s[26:27], 3
	v_mov_b64_e32 v[20:21], 0
	s_add_nc_u64 s[30:31], s[20:21], s[28:29]
	s_add_nc_u64 s[28:29], s[6:7], s[28:29]
	s_clause 0x1
	global_load_b64 v[2:3], v0, s[30:31]
	global_load_b64 v[4:5], v0, s[28:29]
	v_mov_b64_e32 v[18:19], 0
	v_mov_b64_e32 v[26:27], 0
	;; [unrolled: 1-line block ×7, first 2 shown]
	s_wait_xcnt 0x0
	s_mov_b32 s28, 0
	s_wait_loadcnt 0x1
	v_add_nc_u64_e32 v[28:29], v[2:3], v[14:15]
	s_wait_loadcnt 0x0
	v_add_nc_u64_e32 v[30:31], v[4:5], v[16:17]
	s_branch .LBB420_10
.LBB420_9:                              ;   in Loop: Header=BB420_10 Depth=2
	s_wait_xcnt 0x0
	s_or_b32 exec_lo, exec_lo, s29
	s_wait_dscnt 0x0
	s_barrier_signal -1
	s_barrier_wait -1
	ds_load_b128 v[2:5], v43
	ds_load_b128 v[46:49], v41
	ds_load_b128 v[50:53], v41 offset:256
	ds_load_b128 v[54:57], v43 offset:2048
	;; [unrolled: 1-line block ×10, first 2 shown]
	v_add_nc_u64_e32 v[28:29], 0x80, v[28:29]
	v_add_nc_u64_e32 v[30:31], 0x80, v[30:31]
	s_add_co_i32 s28, s28, 8
	s_delay_alu instid0(SALU_CYCLE_1)
	s_cmp_lt_i32 s28, s25
	s_wait_dscnt 0xa
	v_mul_f64_e32 v[90:91], v[4:5], v[48:49]
	v_mul_f64_e32 v[92:93], v[2:3], v[48:49]
	s_wait_dscnt 0x9
	v_mul_f64_e32 v[94:95], v[4:5], v[52:53]
	v_mul_f64_e32 v[96:97], v[2:3], v[52:53]
	s_wait_dscnt 0x8
	v_mul_f64_e32 v[98:99], v[56:57], v[48:49]
	v_mul_f64_e32 v[100:101], v[54:55], v[48:49]
	v_mul_f64_e32 v[48:49], v[56:57], v[52:53]
	v_mul_f64_e32 v[102:103], v[54:55], v[52:53]
	s_wait_dscnt 0x6
	v_mul_f64_e32 v[104:105], v[60:61], v[64:65]
	v_mul_f64_e32 v[106:107], v[58:59], v[64:65]
	s_wait_dscnt 0x5
	v_mul_f64_e32 v[108:109], v[60:61], v[68:69]
	v_mul_f64_e32 v[110:111], v[58:59], v[68:69]
	s_wait_dscnt 0x4
	v_mul_f64_e32 v[112:113], v[72:73], v[64:65]
	v_mul_f64_e32 v[64:65], v[70:71], v[64:65]
	v_mul_f64_e32 v[114:115], v[72:73], v[68:69]
	v_mul_f64_e32 v[68:69], v[70:71], v[68:69]
	;; [unrolled: 11-line block ×3, first 2 shown]
	v_fma_f64 v[90:91], v[2:3], v[46:47], -v[90:91]
	v_fmac_f64_e32 v[92:93], v[4:5], v[46:47]
	v_fma_f64 v[94:95], v[2:3], v[50:51], -v[94:95]
	v_fmac_f64_e32 v[96:97], v[4:5], v[50:51]
	;; [unrolled: 2-line block ×8, first 2 shown]
	ds_load_b128 v[2:5], v43 offset:48
	ds_load_b128 v[46:49], v43 offset:2096
	;; [unrolled: 1-line block ×4, first 2 shown]
	v_fma_f64 v[118:119], v[74:75], v[78:79], -v[118:119]
	v_fmac_f64_e32 v[120:121], v[76:77], v[78:79]
	v_fma_f64 v[74:75], v[74:75], v[82:83], -v[122:123]
	v_fmac_f64_e32 v[124:125], v[76:77], v[82:83]
	;; [unrolled: 2-line block ×4, first 2 shown]
	v_add_f64_e32 v[66:67], v[36:37], v[90:91]
	v_add_f64_e32 v[70:71], v[92:93], v[38:39]
	;; [unrolled: 1-line block ×8, first 2 shown]
	s_wait_dscnt 0x1
	v_mul_f64_e32 v[100:101], v[4:5], v[52:53]
	v_mul_f64_e32 v[102:103], v[2:3], v[52:53]
	s_wait_dscnt 0x0
	v_mul_f64_e32 v[108:109], v[4:5], v[56:57]
	v_mul_f64_e32 v[112:113], v[2:3], v[56:57]
	;; [unrolled: 1-line block ×6, first 2 shown]
	ds_load_b128 v[18:21], v43 offset:64
	ds_load_b128 v[24:27], v41 offset:2048
	;; [unrolled: 1-line block ×4, first 2 shown]
	v_add_f64_e32 v[82:83], v[66:67], v[104:105]
	v_add_f64_e32 v[86:87], v[106:107], v[70:71]
	;; [unrolled: 1-line block ×8, first 2 shown]
	s_wait_dscnt 0x2
	v_mul_f64_e32 v[98:99], v[20:21], v[26:27]
	v_mul_f64_e32 v[104:105], v[18:19], v[26:27]
	s_wait_dscnt 0x1
	v_mul_f64_e32 v[106:107], v[20:21], v[34:35]
	v_mul_f64_e32 v[110:111], v[18:19], v[34:35]
	;; [unrolled: 3-line block ×3, first 2 shown]
	v_mul_f64_e32 v[26:27], v[38:39], v[34:35]
	v_mul_f64_e32 v[128:129], v[36:37], v[34:35]
	v_fma_f64 v[34:35], v[2:3], v[50:51], -v[100:101]
	v_fmac_f64_e32 v[102:103], v[4:5], v[50:51]
	v_fma_f64 v[100:101], v[2:3], v[54:55], -v[108:109]
	v_fmac_f64_e32 v[112:113], v[4:5], v[54:55]
	v_fma_f64 v[108:109], v[46:47], v[50:51], -v[114:115]
	v_fmac_f64_e32 v[116:117], v[48:49], v[50:51]
	v_fma_f64 v[114:115], v[46:47], v[54:55], -v[52:53]
	v_fmac_f64_e32 v[130:131], v[48:49], v[54:55]
	ds_load_b128 v[56:59], v43 offset:80
	ds_load_b128 v[60:63], v43 offset:2128
	;; [unrolled: 1-line block ×4, first 2 shown]
	v_add_f64_e32 v[54:55], v[82:83], v[118:119]
	v_add_f64_e32 v[82:83], v[120:121], v[86:87]
	;; [unrolled: 1-line block ×8, first 2 shown]
	v_fma_f64 v[98:99], v[18:19], v[24:25], -v[98:99]
	v_fmac_f64_e32 v[104:105], v[20:21], v[24:25]
	v_fma_f64 v[106:107], v[18:19], v[32:33], -v[106:107]
	s_wait_dscnt 0x1
	v_mul_f64_e32 v[90:91], v[58:59], v[66:67]
	v_mul_f64_e32 v[92:93], v[56:57], v[66:67]
	s_wait_dscnt 0x0
	v_mul_f64_e32 v[94:95], v[58:59], v[70:71]
	v_mul_f64_e32 v[96:97], v[56:57], v[70:71]
	;; [unrolled: 1-line block ×6, first 2 shown]
	v_fmac_f64_e32 v[110:111], v[20:21], v[32:33]
	v_fma_f64 v[122:123], v[36:37], v[24:25], -v[122:123]
	v_fmac_f64_e32 v[126:127], v[38:39], v[24:25]
	v_fma_f64 v[124:125], v[36:37], v[32:33], -v[26:27]
	v_fmac_f64_e32 v[128:129], v[38:39], v[32:33]
	ds_load_b128 v[2:5], v43 offset:96
	ds_load_b128 v[46:49], v41 offset:3072
	;; [unrolled: 1-line block ×4, first 2 shown]
	v_add_f64_e32 v[54:55], v[54:55], v[34:35]
	v_add_f64_e32 v[82:83], v[102:103], v[82:83]
	;; [unrolled: 1-line block ×8, first 2 shown]
	ds_load_b128 v[18:21], v43 offset:112
	ds_load_b128 v[24:27], v43 offset:2160
	;; [unrolled: 1-line block ×4, first 2 shown]
	s_wait_dscnt 0x0
	v_mul_f64_e32 v[100:101], v[4:5], v[48:49]
	v_mul_f64_e32 v[102:103], v[2:3], v[48:49]
	;; [unrolled: 1-line block ×8, first 2 shown]
	v_fma_f64 v[90:91], v[56:57], v[64:65], -v[90:91]
	v_fmac_f64_e32 v[92:93], v[58:59], v[64:65]
	v_fma_f64 v[56:57], v[56:57], v[68:69], -v[94:95]
	v_fmac_f64_e32 v[96:97], v[58:59], v[68:69]
	;; [unrolled: 2-line block ×4, first 2 shown]
	s_barrier_signal -1
	s_barrier_wait -1
	v_mul_f64_e32 v[94:95], v[18:19], v[38:39]
	v_add_f64_e32 v[54:55], v[54:55], v[98:99]
	v_add_f64_e32 v[62:63], v[104:105], v[82:83]
	;; [unrolled: 1-line block ×8, first 2 shown]
	v_mul_f64_e32 v[84:85], v[20:21], v[34:35]
	v_mul_f64_e32 v[86:87], v[18:19], v[34:35]
	;; [unrolled: 1-line block ×7, first 2 shown]
	v_fma_f64 v[38:39], v[2:3], v[46:47], -v[100:101]
	v_fmac_f64_e32 v[102:103], v[4:5], v[46:47]
	v_fma_f64 v[2:3], v[2:3], v[50:51], -v[108:109]
	v_fmac_f64_e32 v[112:113], v[4:5], v[50:51]
	;; [unrolled: 2-line block ×4, first 2 shown]
	v_fmac_f64_e32 v[94:95], v[20:21], v[36:37]
	v_add_f64_e32 v[50:51], v[54:55], v[90:91]
	v_add_f64_e32 v[54:55], v[92:93], v[62:63]
	v_add_f64_e32 v[56:57], v[64:65], v[56:57]
	v_add_f64_e32 v[62:63], v[96:97], v[68:69]
	v_add_f64_e32 v[58:59], v[76:77], v[58:59]
	v_add_f64_e32 v[64:65], v[66:67], v[80:81]
	v_add_f64_e32 v[60:61], v[78:79], v[60:61]
	v_add_f64_e32 v[66:67], v[70:71], v[82:83]
	v_fma_f64 v[68:69], v[18:19], v[32:33], -v[84:85]
	v_fmac_f64_e32 v[86:87], v[20:21], v[32:33]
	v_fma_f64 v[18:19], v[18:19], v[36:37], -v[88:89]
	v_fma_f64 v[20:21], v[24:25], v[32:33], -v[98:99]
	v_fmac_f64_e32 v[104:105], v[26:27], v[32:33]
	v_fma_f64 v[70:71], v[24:25], v[36:37], -v[34:35]
	v_fmac_f64_e32 v[106:107], v[26:27], v[36:37]
	v_add_f64_e32 v[24:25], v[50:51], v[38:39]
	v_add_f64_e32 v[26:27], v[102:103], v[54:55]
	v_add_f64_e32 v[2:3], v[56:57], v[2:3]
	v_add_f64_e32 v[34:35], v[112:113], v[62:63]
	v_add_f64_e32 v[4:5], v[58:59], v[4:5]
	v_add_f64_e32 v[48:49], v[48:49], v[64:65]
	v_add_f64_e32 v[46:47], v[60:61], v[46:47]
	v_add_f64_e32 v[50:51], v[52:53], v[66:67]
	v_add_f64_e32 v[36:37], v[24:25], v[68:69]
	v_add_f64_e32 v[38:39], v[86:87], v[26:27]
	v_add_f64_e32 v[32:33], v[2:3], v[18:19]
	v_add_f64_e32 v[34:35], v[94:95], v[34:35]
	v_add_f64_e32 v[24:25], v[4:5], v[20:21]
	v_add_f64_e32 v[26:27], v[104:105], v[48:49]
	v_add_f64_e32 v[18:19], v[46:47], v[70:71]
	v_add_f64_e32 v[20:21], v[106:107], v[50:51]
	s_cbranch_scc0 .LBB420_16
.LBB420_10:                             ;   Parent Loop BB420_7 Depth=1
                                        ; =>  This Inner Loop Header: Depth=2
	v_add_nc_u32_e32 v1, s28, v42
	v_mov_b64_e32 v[2:3], 0
	v_mov_b64_e32 v[4:5], 0
	s_delay_alu instid0(VALU_DEP_3) | instskip(SKIP_1) | instid1(SALU_CYCLE_1)
	v_cmp_gt_i32_e32 vcc_lo, s25, v1
	s_and_b32 s30, s0, vcc_lo
	s_and_saveexec_b32 s29, s30
	s_cbranch_execz .LBB420_12
; %bb.11:                               ;   in Loop: Header=BB420_10 Depth=2
	flat_load_b128 v[2:5], v[28:29] offset:-8
	s_wait_loadcnt_dscnt 0x0
	v_xor_b32_e32 v5, 0x80000000, v5
.LBB420_12:                             ;   in Loop: Header=BB420_10 Depth=2
	s_wait_xcnt 0x0
	s_or_b32 exec_lo, exec_lo, s29
	v_add_nc_u32_e32 v1, s28, v40
	ds_store_b128 v44, v[2:5]
	v_cmp_le_i32_e32 vcc_lo, s25, v1
	s_or_b32 s29, vcc_lo, s24
	s_delay_alu instid0(SALU_CYCLE_1) | instskip(NEXT) | instid1(SALU_CYCLE_1)
	s_and_saveexec_b32 s30, s29
	s_xor_b32 s29, exec_lo, s30
; %bb.13:                               ;   in Loop: Header=BB420_10 Depth=2
	v_dual_mov_b32 v1, v0 :: v_dual_mov_b32 v2, v0
	v_mov_b32_e32 v3, v0
	ds_store_b128 v45, v[0:3]
; %bb.14:                               ;   in Loop: Header=BB420_10 Depth=2
	s_and_not1_saveexec_b32 s29, s29
	s_cbranch_execz .LBB420_9
; %bb.15:                               ;   in Loop: Header=BB420_10 Depth=2
	flat_load_b128 v[2:5], v[30:31]
	s_wait_loadcnt_dscnt 0x0
	ds_store_2addr_b64 v45, v[2:3], v[4:5] offset1:1
	s_branch .LBB420_9
.LBB420_16:                             ;   in Loop: Header=BB420_7 Depth=1
	s_wait_loadcnt 0x0
	v_add_nc_u64_e32 v[22:23], s[2:3], v[22:23]
	s_delay_alu instid0(VALU_DEP_1)
	v_lshl_add_u64 v[28:29], v[8:9], 4, v[22:23]
	s_wait_xcnt 0x0
	s_and_saveexec_b32 s28, s22
	s_cbranch_execz .LBB420_21
; %bb.17:                               ;   in Loop: Header=BB420_7 Depth=1
	v_mul_f64_e32 v[2:3], s[18:19], v[38:39]
	v_mul_f64_e32 v[4:5], s[16:17], v[38:39]
	v_lshl_add_u64 v[30:31], v[6:7], 4, v[28:29]
	s_and_b32 vcc_lo, exec_lo, s5
	s_mov_b32 s29, -1
	s_delay_alu instid0(VALU_DEP_3) | instskip(NEXT) | instid1(VALU_DEP_3)
	v_fma_f64 v[2:3], s[16:17], v[36:37], -v[2:3]
	v_fmac_f64_e32 v[4:5], s[18:19], v[36:37]
	s_cbranch_vccz .LBB420_19
; %bb.18:                               ;   in Loop: Header=BB420_7 Depth=1
	flat_load_b128 v[36:39], v[30:31]
	s_mov_b32 s29, 0
	s_wait_loadcnt_dscnt 0x0
	v_mul_f64_e32 v[46:47], s[12:13], v[38:39]
	v_mul_f64_e32 v[38:39], s[10:11], v[38:39]
	s_delay_alu instid0(VALU_DEP_2) | instskip(NEXT) | instid1(VALU_DEP_2)
	v_fma_f64 v[46:47], s[10:11], v[36:37], -v[46:47]
	v_fmac_f64_e32 v[38:39], s[12:13], v[36:37]
	s_delay_alu instid0(VALU_DEP_2) | instskip(NEXT) | instid1(VALU_DEP_2)
	v_add_f64_e32 v[36:37], v[2:3], v[46:47]
	v_add_f64_e32 v[38:39], v[4:5], v[38:39]
	flat_store_b128 v[30:31], v[36:39]
.LBB420_19:                             ;   in Loop: Header=BB420_7 Depth=1
	s_and_not1_b32 vcc_lo, exec_lo, s29
	s_cbranch_vccnz .LBB420_21
; %bb.20:                               ;   in Loop: Header=BB420_7 Depth=1
	flat_store_b128 v[30:31], v[2:5]
.LBB420_21:                             ;   in Loop: Header=BB420_7 Depth=1
	s_wait_xcnt 0x0
	s_or_b32 exec_lo, exec_lo, s28
	s_and_saveexec_b32 s28, s8
	s_cbranch_execz .LBB420_26
; %bb.22:                               ;   in Loop: Header=BB420_7 Depth=1
	v_mul_f64_e32 v[2:3], s[18:19], v[34:35]
	v_mul_f64_e32 v[4:5], s[16:17], v[34:35]
	v_lshl_add_u64 v[28:29], v[12:13], 4, v[28:29]
	s_and_not1_b32 vcc_lo, exec_lo, s5
	s_mov_b32 s29, -1
	s_delay_alu instid0(VALU_DEP_3) | instskip(NEXT) | instid1(VALU_DEP_3)
	v_fma_f64 v[2:3], s[16:17], v[32:33], -v[2:3]
	v_fmac_f64_e32 v[4:5], s[18:19], v[32:33]
	s_cbranch_vccnz .LBB420_24
; %bb.23:                               ;   in Loop: Header=BB420_7 Depth=1
	flat_load_b128 v[30:33], v[28:29]
	s_mov_b32 s29, 0
	s_wait_loadcnt_dscnt 0x0
	v_mul_f64_e32 v[34:35], s[12:13], v[32:33]
	v_mul_f64_e32 v[32:33], s[10:11], v[32:33]
	s_delay_alu instid0(VALU_DEP_2) | instskip(NEXT) | instid1(VALU_DEP_2)
	v_fma_f64 v[34:35], s[10:11], v[30:31], -v[34:35]
	v_fmac_f64_e32 v[32:33], s[12:13], v[30:31]
	s_delay_alu instid0(VALU_DEP_2) | instskip(NEXT) | instid1(VALU_DEP_2)
	v_add_f64_e32 v[30:31], v[2:3], v[34:35]
	v_add_f64_e32 v[32:33], v[4:5], v[32:33]
	flat_store_b128 v[28:29], v[30:33]
.LBB420_24:                             ;   in Loop: Header=BB420_7 Depth=1
	s_and_not1_b32 vcc_lo, exec_lo, s29
	s_cbranch_vccnz .LBB420_26
; %bb.25:                               ;   in Loop: Header=BB420_7 Depth=1
	flat_store_b128 v[28:29], v[2:5]
.LBB420_26:                             ;   in Loop: Header=BB420_7 Depth=1
	s_wait_xcnt 0x0
	s_or_b32 exec_lo, exec_lo, s28
	v_lshl_add_u64 v[22:23], v[10:11], 4, v[22:23]
	s_and_saveexec_b32 s28, s4
	s_cbranch_execz .LBB420_31
; %bb.27:                               ;   in Loop: Header=BB420_7 Depth=1
	v_mul_f64_e32 v[2:3], s[18:19], v[26:27]
	v_mul_f64_e32 v[4:5], s[16:17], v[26:27]
	s_and_not1_b32 vcc_lo, exec_lo, s5
	s_mov_b32 s29, -1
	s_delay_alu instid0(VALU_DEP_2) | instskip(NEXT) | instid1(VALU_DEP_2)
	v_fma_f64 v[2:3], s[16:17], v[24:25], -v[2:3]
	v_fmac_f64_e32 v[4:5], s[18:19], v[24:25]
	v_lshl_add_u64 v[24:25], v[6:7], 4, v[22:23]
	s_cbranch_vccnz .LBB420_29
; %bb.28:                               ;   in Loop: Header=BB420_7 Depth=1
	flat_load_b128 v[26:29], v[24:25]
	s_mov_b32 s29, 0
	s_wait_loadcnt_dscnt 0x0
	v_mul_f64_e32 v[30:31], s[12:13], v[28:29]
	v_mul_f64_e32 v[28:29], s[10:11], v[28:29]
	s_delay_alu instid0(VALU_DEP_2) | instskip(NEXT) | instid1(VALU_DEP_2)
	v_fma_f64 v[30:31], s[10:11], v[26:27], -v[30:31]
	v_fmac_f64_e32 v[28:29], s[12:13], v[26:27]
	s_delay_alu instid0(VALU_DEP_2) | instskip(NEXT) | instid1(VALU_DEP_2)
	v_add_f64_e32 v[26:27], v[2:3], v[30:31]
	v_add_f64_e32 v[28:29], v[4:5], v[28:29]
	flat_store_b128 v[24:25], v[26:29]
.LBB420_29:                             ;   in Loop: Header=BB420_7 Depth=1
	s_and_not1_b32 vcc_lo, exec_lo, s29
	s_cbranch_vccnz .LBB420_31
; %bb.30:                               ;   in Loop: Header=BB420_7 Depth=1
	flat_store_b128 v[24:25], v[2:5]
.LBB420_31:                             ;   in Loop: Header=BB420_7 Depth=1
	s_wait_xcnt 0x0
	s_or_b32 exec_lo, exec_lo, s28
	s_and_saveexec_b32 s28, s1
	s_cbranch_execz .LBB420_6
; %bb.32:                               ;   in Loop: Header=BB420_7 Depth=1
	s_delay_alu instid0(VALU_DEP_4) | instskip(SKIP_3) | instid1(VALU_DEP_2)
	v_mul_f64_e32 v[2:3], s[18:19], v[20:21]
	v_mul_f64_e32 v[4:5], s[16:17], v[20:21]
	s_and_not1_b32 vcc_lo, exec_lo, s5
	s_mov_b32 s29, -1
	v_fma_f64 v[2:3], s[16:17], v[18:19], -v[2:3]
	s_delay_alu instid0(VALU_DEP_2)
	v_fmac_f64_e32 v[4:5], s[18:19], v[18:19]
	v_lshl_add_u64 v[18:19], v[12:13], 4, v[22:23]
	s_cbranch_vccnz .LBB420_34
; %bb.33:                               ;   in Loop: Header=BB420_7 Depth=1
	flat_load_b128 v[20:23], v[18:19]
	s_mov_b32 s29, 0
	s_wait_loadcnt_dscnt 0x0
	v_mul_f64_e32 v[24:25], s[12:13], v[22:23]
	v_mul_f64_e32 v[22:23], s[10:11], v[22:23]
	s_delay_alu instid0(VALU_DEP_2) | instskip(NEXT) | instid1(VALU_DEP_2)
	v_fma_f64 v[24:25], s[10:11], v[20:21], -v[24:25]
	v_fmac_f64_e32 v[22:23], s[12:13], v[20:21]
	s_delay_alu instid0(VALU_DEP_2) | instskip(NEXT) | instid1(VALU_DEP_2)
	v_add_f64_e32 v[20:21], v[2:3], v[24:25]
	v_add_f64_e32 v[22:23], v[4:5], v[22:23]
	flat_store_b128 v[18:19], v[20:23]
.LBB420_34:                             ;   in Loop: Header=BB420_7 Depth=1
	s_and_not1_b32 vcc_lo, exec_lo, s29
	s_cbranch_vccnz .LBB420_6
; %bb.35:                               ;   in Loop: Header=BB420_7 Depth=1
	flat_store_b128 v[18:19], v[2:5]
	s_branch .LBB420_6
.LBB420_36:
.LBB420_37:
	s_sendmsg sendmsg(MSG_DEALLOC_VGPRS)
	s_endpgm
	.section	.rodata,"a",@progbits
	.p2align	6, 0x0
	.amdhsa_kernel _ZL29rocblas_internal_gemmt_kernelIiLi16ELi32ELi8ELc67ELc78ELc85ELb1ELb0E19rocblas_complex_numIdES1_PKPKS1_PKPS1_EviT_T9_T10_S9_lSB_S9_lSA_T11_S9_li
		.amdhsa_group_segment_fixed_size 8192
		.amdhsa_private_segment_fixed_size 0
		.amdhsa_kernarg_size 116
		.amdhsa_user_sgpr_count 2
		.amdhsa_user_sgpr_dispatch_ptr 0
		.amdhsa_user_sgpr_queue_ptr 0
		.amdhsa_user_sgpr_kernarg_segment_ptr 1
		.amdhsa_user_sgpr_dispatch_id 0
		.amdhsa_user_sgpr_kernarg_preload_length 0
		.amdhsa_user_sgpr_kernarg_preload_offset 0
		.amdhsa_user_sgpr_private_segment_size 0
		.amdhsa_wavefront_size32 1
		.amdhsa_uses_dynamic_stack 0
		.amdhsa_enable_private_segment 0
		.amdhsa_system_sgpr_workgroup_id_x 1
		.amdhsa_system_sgpr_workgroup_id_y 1
		.amdhsa_system_sgpr_workgroup_id_z 1
		.amdhsa_system_sgpr_workgroup_info 0
		.amdhsa_system_vgpr_workitem_id 1
		.amdhsa_next_free_vgpr 132
		.amdhsa_next_free_sgpr 39
		.amdhsa_named_barrier_count 0
		.amdhsa_reserve_vcc 1
		.amdhsa_float_round_mode_32 0
		.amdhsa_float_round_mode_16_64 0
		.amdhsa_float_denorm_mode_32 3
		.amdhsa_float_denorm_mode_16_64 3
		.amdhsa_fp16_overflow 0
		.amdhsa_memory_ordered 1
		.amdhsa_forward_progress 1
		.amdhsa_inst_pref_size 24
		.amdhsa_round_robin_scheduling 0
		.amdhsa_exception_fp_ieee_invalid_op 0
		.amdhsa_exception_fp_denorm_src 0
		.amdhsa_exception_fp_ieee_div_zero 0
		.amdhsa_exception_fp_ieee_overflow 0
		.amdhsa_exception_fp_ieee_underflow 0
		.amdhsa_exception_fp_ieee_inexact 0
		.amdhsa_exception_int_div_zero 0
	.end_amdhsa_kernel
	.section	.text._ZL29rocblas_internal_gemmt_kernelIiLi16ELi32ELi8ELc67ELc78ELc85ELb1ELb0E19rocblas_complex_numIdES1_PKPKS1_PKPS1_EviT_T9_T10_S9_lSB_S9_lSA_T11_S9_li,"axG",@progbits,_ZL29rocblas_internal_gemmt_kernelIiLi16ELi32ELi8ELc67ELc78ELc85ELb1ELb0E19rocblas_complex_numIdES1_PKPKS1_PKPS1_EviT_T9_T10_S9_lSB_S9_lSA_T11_S9_li,comdat
.Lfunc_end420:
	.size	_ZL29rocblas_internal_gemmt_kernelIiLi16ELi32ELi8ELc67ELc78ELc85ELb1ELb0E19rocblas_complex_numIdES1_PKPKS1_PKPS1_EviT_T9_T10_S9_lSB_S9_lSA_T11_S9_li, .Lfunc_end420-_ZL29rocblas_internal_gemmt_kernelIiLi16ELi32ELi8ELc67ELc78ELc85ELb1ELb0E19rocblas_complex_numIdES1_PKPKS1_PKPS1_EviT_T9_T10_S9_lSB_S9_lSA_T11_S9_li
                                        ; -- End function
	.set _ZL29rocblas_internal_gemmt_kernelIiLi16ELi32ELi8ELc67ELc78ELc85ELb1ELb0E19rocblas_complex_numIdES1_PKPKS1_PKPS1_EviT_T9_T10_S9_lSB_S9_lSA_T11_S9_li.num_vgpr, 132
	.set _ZL29rocblas_internal_gemmt_kernelIiLi16ELi32ELi8ELc67ELc78ELc85ELb1ELb0E19rocblas_complex_numIdES1_PKPKS1_PKPS1_EviT_T9_T10_S9_lSB_S9_lSA_T11_S9_li.num_agpr, 0
	.set _ZL29rocblas_internal_gemmt_kernelIiLi16ELi32ELi8ELc67ELc78ELc85ELb1ELb0E19rocblas_complex_numIdES1_PKPKS1_PKPS1_EviT_T9_T10_S9_lSB_S9_lSA_T11_S9_li.numbered_sgpr, 39
	.set _ZL29rocblas_internal_gemmt_kernelIiLi16ELi32ELi8ELc67ELc78ELc85ELb1ELb0E19rocblas_complex_numIdES1_PKPKS1_PKPS1_EviT_T9_T10_S9_lSB_S9_lSA_T11_S9_li.num_named_barrier, 0
	.set _ZL29rocblas_internal_gemmt_kernelIiLi16ELi32ELi8ELc67ELc78ELc85ELb1ELb0E19rocblas_complex_numIdES1_PKPKS1_PKPS1_EviT_T9_T10_S9_lSB_S9_lSA_T11_S9_li.private_seg_size, 0
	.set _ZL29rocblas_internal_gemmt_kernelIiLi16ELi32ELi8ELc67ELc78ELc85ELb1ELb0E19rocblas_complex_numIdES1_PKPKS1_PKPS1_EviT_T9_T10_S9_lSB_S9_lSA_T11_S9_li.uses_vcc, 1
	.set _ZL29rocblas_internal_gemmt_kernelIiLi16ELi32ELi8ELc67ELc78ELc85ELb1ELb0E19rocblas_complex_numIdES1_PKPKS1_PKPS1_EviT_T9_T10_S9_lSB_S9_lSA_T11_S9_li.uses_flat_scratch, 0
	.set _ZL29rocblas_internal_gemmt_kernelIiLi16ELi32ELi8ELc67ELc78ELc85ELb1ELb0E19rocblas_complex_numIdES1_PKPKS1_PKPS1_EviT_T9_T10_S9_lSB_S9_lSA_T11_S9_li.has_dyn_sized_stack, 0
	.set _ZL29rocblas_internal_gemmt_kernelIiLi16ELi32ELi8ELc67ELc78ELc85ELb1ELb0E19rocblas_complex_numIdES1_PKPKS1_PKPS1_EviT_T9_T10_S9_lSB_S9_lSA_T11_S9_li.has_recursion, 0
	.set _ZL29rocblas_internal_gemmt_kernelIiLi16ELi32ELi8ELc67ELc78ELc85ELb1ELb0E19rocblas_complex_numIdES1_PKPKS1_PKPS1_EviT_T9_T10_S9_lSB_S9_lSA_T11_S9_li.has_indirect_call, 0
	.section	.AMDGPU.csdata,"",@progbits
; Kernel info:
; codeLenInByte = 2960
; TotalNumSgprs: 41
; NumVgprs: 132
; ScratchSize: 0
; MemoryBound: 1
; FloatMode: 240
; IeeeMode: 1
; LDSByteSize: 8192 bytes/workgroup (compile time only)
; SGPRBlocks: 0
; VGPRBlocks: 8
; NumSGPRsForWavesPerEU: 41
; NumVGPRsForWavesPerEU: 132
; NamedBarCnt: 0
; Occupancy: 7
; WaveLimiterHint : 1
; COMPUTE_PGM_RSRC2:SCRATCH_EN: 0
; COMPUTE_PGM_RSRC2:USER_SGPR: 2
; COMPUTE_PGM_RSRC2:TRAP_HANDLER: 0
; COMPUTE_PGM_RSRC2:TGID_X_EN: 1
; COMPUTE_PGM_RSRC2:TGID_Y_EN: 1
; COMPUTE_PGM_RSRC2:TGID_Z_EN: 1
; COMPUTE_PGM_RSRC2:TIDIG_COMP_CNT: 1
	.section	.text._ZL29rocblas_internal_gemmt_kernelIiLi16ELi32ELi8ELc67ELc84ELc85ELb1ELb0E19rocblas_complex_numIdES1_PKPKS1_PKPS1_EviT_T9_T10_S9_lSB_S9_lSA_T11_S9_li,"axG",@progbits,_ZL29rocblas_internal_gemmt_kernelIiLi16ELi32ELi8ELc67ELc84ELc85ELb1ELb0E19rocblas_complex_numIdES1_PKPKS1_PKPS1_EviT_T9_T10_S9_lSB_S9_lSA_T11_S9_li,comdat
	.globl	_ZL29rocblas_internal_gemmt_kernelIiLi16ELi32ELi8ELc67ELc84ELc85ELb1ELb0E19rocblas_complex_numIdES1_PKPKS1_PKPS1_EviT_T9_T10_S9_lSB_S9_lSA_T11_S9_li ; -- Begin function _ZL29rocblas_internal_gemmt_kernelIiLi16ELi32ELi8ELc67ELc84ELc85ELb1ELb0E19rocblas_complex_numIdES1_PKPKS1_PKPS1_EviT_T9_T10_S9_lSB_S9_lSA_T11_S9_li
	.p2align	8
	.type	_ZL29rocblas_internal_gemmt_kernelIiLi16ELi32ELi8ELc67ELc84ELc85ELb1ELb0E19rocblas_complex_numIdES1_PKPKS1_PKPS1_EviT_T9_T10_S9_lSB_S9_lSA_T11_S9_li,@function
_ZL29rocblas_internal_gemmt_kernelIiLi16ELi32ELi8ELc67ELc84ELc85ELb1ELb0E19rocblas_complex_numIdES1_PKPKS1_PKPS1_EviT_T9_T10_S9_lSB_S9_lSA_T11_S9_li: ; @_ZL29rocblas_internal_gemmt_kernelIiLi16ELi32ELi8ELc67ELc84ELc85ELb1ELb0E19rocblas_complex_numIdES1_PKPKS1_PKPS1_EviT_T9_T10_S9_lSB_S9_lSA_T11_S9_li
; %bb.0:
	s_clause 0x2
	s_load_b256 s[8:15], s[0:1], 0x40
	s_load_b64 s[24:25], s[0:1], 0x0
	s_load_b128 s[16:19], s[0:1], 0x8
	s_wait_kmcnt 0x0
	v_cmp_eq_f64_e64 s2, s[10:11], 1.0
	v_cmp_eq_f64_e64 s33, s[12:13], 0
	s_and_b32 s2, s2, s33
	s_delay_alu instid0(SALU_CYCLE_1)
	s_and_not1_b32 vcc_lo, exec_lo, s2
	s_mov_b32 s2, -1
	s_cbranch_vccnz .LBB421_3
; %bb.1:
	s_cmp_lg_u32 s25, 0
	s_cbranch_scc0 .LBB421_36
; %bb.2:
	v_cmp_neq_f64_e64 s2, s[16:17], 0
	v_cmp_neq_f64_e64 s3, s[18:19], 0
	s_or_b32 s2, s2, s3
.LBB421_3:
	s_delay_alu instid0(SALU_CYCLE_1)
	s_and_b32 vcc_lo, exec_lo, s2
	s_cbranch_vccz .LBB421_37
; %bb.4:
	s_load_b32 s23, s[0:1], 0x70
	s_bfe_u32 s2, ttmp6, 0x40014
	s_lshr_b32 s3, ttmp7, 16
	s_add_co_i32 s2, s2, 1
	s_bfe_u32 s4, ttmp6, 0x40008
	s_mul_i32 s2, s3, s2
	s_getreg_b32 s34, hwreg(HW_REG_IB_STS2, 6, 4)
	s_add_co_i32 s4, s4, s2
	s_cmp_eq_u32 s34, 0
	s_mov_b32 s27, 0
	s_cselect_b32 s26, s3, s4
	s_wait_kmcnt 0x0
	s_cmp_ge_u32 s26, s23
	s_cbranch_scc1 .LBB421_37
; %bb.5:
	s_clause 0x2
	s_load_b96 s[20:22], s[0:1], 0x18
	s_load_b32 s28, s[0:1], 0x38
	s_load_b32 s2, s[0:1], 0x60
	v_and_b32_e32 v1, 0x3ff, v0
	v_bfe_u32 v9, v0, 10, 10
	s_clause 0x1
	s_load_b128 s[4:7], s[0:1], 0x28
	s_load_b64 s[30:31], s[0:1], 0x68
	s_wait_xcnt 0x0
	s_bfe_u32 s1, ttmp6, 0x4000c
	s_bfe_u32 s3, ttmp6, 0x40010
	s_and_b32 s35, ttmp7, 0xffff
	s_add_co_i32 s1, s1, 1
	s_add_co_i32 s3, s3, 1
	v_lshl_add_u32 v4, v9, 4, v1
	s_and_b32 s0, ttmp6, 15
	s_mul_i32 s38, ttmp9, s1
	s_mul_i32 s39, s35, s3
	s_bfe_u32 s40, ttmp6, 0x40004
	s_add_co_i32 s0, s0, s38
	s_add_co_i32 s40, s40, s39
	v_and_b32_e32 v8, 31, v4
	v_cmp_neq_f64_e64 s36, s[16:17], 0
	s_wait_kmcnt 0x0
	s_ashr_i32 s1, s22, 31
	s_ashr_i32 s29, s28, 31
	;; [unrolled: 1-line block ×3, first 2 shown]
	s_cmp_eq_u32 s34, 0
	v_cmp_neq_f64_e64 s37, s[18:19], 0
	s_cselect_b32 s0, ttmp9, s0
	s_cselect_b32 s34, s35, s40
	s_lshl_b32 s35, s0, 5
	v_dual_lshrrev_b32 v42, 5, v4 :: v_dual_lshrrev_b32 v10, 3, v4
	v_or_b32_e32 v2, s35, v8
	s_mov_b32 s0, s22
	s_lshl_b32 s22, s34, 5
	s_delay_alu instid0(VALU_DEP_2) | instid1(SALU_CYCLE_1)
	v_dual_add_nc_u32 v18, s22, v10 :: v_dual_bitop2_b32 v6, 7, v0 bitop3:0x40
	s_delay_alu instid0(VALU_DEP_2) | instskip(SKIP_2) | instid1(VALU_DEP_3)
	v_dual_mov_b32 v0, 0 :: v_dual_ashrrev_i32 v3, 31, v2
	v_cmp_neq_f64_e64 s38, s[10:11], 0
	v_dual_add_nc_u32 v16, s22, v9 :: v_dual_lshlrev_b32 v8, 4, v8
	v_mov_b32_e32 v7, v0
	s_delay_alu instid0(VALU_DEP_4) | instskip(SKIP_4) | instid1(VALU_DEP_4)
	v_mul_u64_e32 v[4:5], s[0:1], v[2:3]
	v_lshlrev_b32_e32 v3, 4, v6
	v_cmp_gt_i32_e64 s0, s24, v2
	v_dual_add_nc_u32 v2, 16, v16 :: v_dual_ashrrev_i32 v17, 31, v16
	v_mul_u64_e32 v[20:21], s[28:29], v[6:7]
	v_lshl_or_b32 v3, v10, 7, v3
	v_lshl_or_b32 v7, v42, 9, v8
	v_add_nc_u32_e32 v8, s35, v1
	v_mul_u64_e32 v[10:11], s[2:3], v[16:17]
	v_cmp_gt_i32_e64 s1, s24, v16
	v_add_nc_u32_e32 v43, 0x1000, v3
	s_delay_alu instid0(VALU_DEP_4) | instskip(SKIP_2) | instid1(VALU_DEP_2)
	v_dual_ashrrev_i32 v3, 31, v2 :: v_dual_add_nc_u32 v14, 16, v8
	v_dual_mov_b32 v23, v0 :: v_dual_lshlrev_b32 v22, 4, v42
	s_or_b32 s34, s36, s37
	v_mul_u64_e32 v[12:13], s[2:3], v[2:3]
	v_cmp_le_i32_e64 s2, v8, v16
	s_cmp_gt_i32 s25, 0
	v_lshl_add_u32 v45, v9, 7, 0x1000
	s_cselect_b32 s36, -1, 0
	s_xor_b32 s3, s33, -1
	s_and_b32 s33, s1, s2
	v_ashrrev_i32_e32 v9, 31, v8
	s_lshl_b64 s[8:9], s[8:9], 4
	v_dual_ashrrev_i32 v19, 31, v18 :: v_dual_lshlrev_b32 v44, 4, v1
	s_or_b32 s22, s38, s3
	s_lshl_b64 s[2:3], s[4:5], 4
	v_cmp_le_i32_e64 s4, v8, v2
	v_cmp_le_i32_e64 s5, v14, v2
	v_lshl_add_u64 v[4:5], v[4:5], 4, s[2:3]
	v_cmp_le_i32_e64 s2, v14, v16
	v_cmp_gt_i32_e64 s3, s24, v2
	v_cmp_gt_i32_e32 vcc_lo, s24, v18
	s_and_b32 s24, s34, s36
	v_add_nc_u64_e32 v[16:17], v[4:5], v[22:23]
	v_lshl_add_u64 v[2:3], v[20:21], 4, s[8:9]
	v_ashrrev_i32_e32 v15, 31, v14
	s_and_b32 s1, s1, s2
	s_and_b32 s8, s3, s4
	;; [unrolled: 1-line block ×3, first 2 shown]
	v_lshl_add_u64 v[18:19], v[18:19], 4, v[2:3]
	v_or_b32_e32 v16, 8, v16
	s_lshl_b64 s[2:3], s[28:29], 7
	s_xor_b32 s28, vcc_lo, -1
	s_lshl_b64 s[4:5], s[30:31], 4
	s_branch .LBB421_7
.LBB421_6:                              ;   in Loop: Header=BB421_7 Depth=1
	s_wait_xcnt 0x0
	s_or_b32 exec_lo, exec_lo, s29
	s_add_co_i32 s26, s26, 0x10000
	s_delay_alu instid0(SALU_CYCLE_1)
	s_cmp_lt_u32 s26, s23
	s_cbranch_scc0 .LBB421_37
.LBB421_7:                              ; =>This Loop Header: Depth=1
                                        ;     Child Loop BB421_10 Depth 2
	v_mov_b32_e32 v1, s26
	v_mov_b64_e32 v[38:39], 0
	v_mov_b64_e32 v[40:41], 0
	;; [unrolled: 1-line block ×4, first 2 shown]
	global_load_b64 v[24:25], v1, s[14:15] scale_offset
	v_mov_b64_e32 v[26:27], 0
	v_mov_b64_e32 v[28:29], 0
	;; [unrolled: 1-line block ×4, first 2 shown]
	s_and_not1_b32 vcc_lo, exec_lo, s24
	s_cbranch_vccnz .LBB421_16
; %bb.8:                                ;   in Loop: Header=BB421_7 Depth=1
	s_lshl_b64 s[30:31], s[26:27], 3
	v_mov_b64_e32 v[22:23], 0
	s_add_nc_u64 s[34:35], s[20:21], s[30:31]
	s_add_nc_u64 s[30:31], s[6:7], s[30:31]
	s_clause 0x1
	global_load_b64 v[2:3], v0, s[34:35]
	global_load_b64 v[4:5], v0, s[30:31]
	v_mov_b64_e32 v[20:21], 0
	v_mov_b64_e32 v[28:29], 0
	;; [unrolled: 1-line block ×7, first 2 shown]
	s_mov_b32 s29, 0
	s_wait_loadcnt 0x1
	v_add_nc_u64_e32 v[30:31], v[2:3], v[16:17]
	s_wait_loadcnt 0x0
	v_add_nc_u64_e32 v[32:33], v[4:5], v[18:19]
	s_branch .LBB421_10
.LBB421_9:                              ;   in Loop: Header=BB421_10 Depth=2
	s_wait_xcnt 0x0
	s_or_b32 exec_lo, exec_lo, s30
	s_wait_dscnt 0x0
	s_barrier_signal -1
	s_barrier_wait -1
	ds_load_b128 v[2:5], v45
	ds_load_b128 v[46:49], v44
	ds_load_b128 v[50:53], v44 offset:256
	ds_load_b128 v[54:57], v45 offset:2048
	;; [unrolled: 1-line block ×10, first 2 shown]
	v_add_nc_u64_e32 v[30:31], 0x80, v[30:31]
	v_add_nc_u64_e32 v[32:33], s[2:3], v[32:33]
	s_add_co_i32 s29, s29, 8
	s_delay_alu instid0(SALU_CYCLE_1)
	s_cmp_lt_i32 s29, s25
	s_wait_dscnt 0xa
	v_mul_f64_e32 v[90:91], v[4:5], v[48:49]
	v_mul_f64_e32 v[92:93], v[2:3], v[48:49]
	s_wait_dscnt 0x9
	v_mul_f64_e32 v[94:95], v[4:5], v[52:53]
	v_mul_f64_e32 v[96:97], v[2:3], v[52:53]
	s_wait_dscnt 0x8
	v_mul_f64_e32 v[98:99], v[56:57], v[48:49]
	v_mul_f64_e32 v[100:101], v[54:55], v[48:49]
	v_mul_f64_e32 v[48:49], v[56:57], v[52:53]
	v_mul_f64_e32 v[102:103], v[54:55], v[52:53]
	s_wait_dscnt 0x6
	v_mul_f64_e32 v[104:105], v[60:61], v[64:65]
	v_mul_f64_e32 v[106:107], v[58:59], v[64:65]
	s_wait_dscnt 0x5
	v_mul_f64_e32 v[108:109], v[60:61], v[68:69]
	v_mul_f64_e32 v[110:111], v[58:59], v[68:69]
	s_wait_dscnt 0x4
	v_mul_f64_e32 v[112:113], v[72:73], v[64:65]
	v_mul_f64_e32 v[64:65], v[70:71], v[64:65]
	v_mul_f64_e32 v[114:115], v[72:73], v[68:69]
	v_mul_f64_e32 v[68:69], v[70:71], v[68:69]
	;; [unrolled: 11-line block ×3, first 2 shown]
	v_fma_f64 v[90:91], v[2:3], v[46:47], -v[90:91]
	v_fmac_f64_e32 v[92:93], v[4:5], v[46:47]
	v_fma_f64 v[94:95], v[2:3], v[50:51], -v[94:95]
	v_fmac_f64_e32 v[96:97], v[4:5], v[50:51]
	;; [unrolled: 2-line block ×8, first 2 shown]
	ds_load_b128 v[2:5], v45 offset:48
	ds_load_b128 v[46:49], v45 offset:2096
	;; [unrolled: 1-line block ×4, first 2 shown]
	v_fma_f64 v[118:119], v[74:75], v[78:79], -v[118:119]
	v_fmac_f64_e32 v[120:121], v[76:77], v[78:79]
	v_fma_f64 v[74:75], v[74:75], v[82:83], -v[122:123]
	v_fmac_f64_e32 v[124:125], v[76:77], v[82:83]
	;; [unrolled: 2-line block ×4, first 2 shown]
	v_add_f64_e32 v[66:67], v[38:39], v[90:91]
	v_add_f64_e32 v[70:71], v[92:93], v[40:41]
	;; [unrolled: 1-line block ×8, first 2 shown]
	s_wait_dscnt 0x1
	v_mul_f64_e32 v[100:101], v[4:5], v[52:53]
	v_mul_f64_e32 v[102:103], v[2:3], v[52:53]
	s_wait_dscnt 0x0
	v_mul_f64_e32 v[108:109], v[4:5], v[56:57]
	v_mul_f64_e32 v[112:113], v[2:3], v[56:57]
	;; [unrolled: 1-line block ×6, first 2 shown]
	ds_load_b128 v[20:23], v45 offset:64
	ds_load_b128 v[26:29], v44 offset:2048
	ds_load_b128 v[34:37], v44 offset:2304
	ds_load_b128 v[38:41], v45 offset:2112
	v_add_f64_e32 v[82:83], v[66:67], v[104:105]
	v_add_f64_e32 v[86:87], v[106:107], v[70:71]
	;; [unrolled: 1-line block ×8, first 2 shown]
	s_wait_dscnt 0x2
	v_mul_f64_e32 v[98:99], v[22:23], v[28:29]
	v_mul_f64_e32 v[104:105], v[20:21], v[28:29]
	s_wait_dscnt 0x1
	v_mul_f64_e32 v[106:107], v[22:23], v[36:37]
	v_mul_f64_e32 v[110:111], v[20:21], v[36:37]
	;; [unrolled: 3-line block ×3, first 2 shown]
	v_mul_f64_e32 v[28:29], v[40:41], v[36:37]
	v_mul_f64_e32 v[128:129], v[38:39], v[36:37]
	v_fma_f64 v[36:37], v[2:3], v[50:51], -v[100:101]
	v_fmac_f64_e32 v[102:103], v[4:5], v[50:51]
	v_fma_f64 v[100:101], v[2:3], v[54:55], -v[108:109]
	v_fmac_f64_e32 v[112:113], v[4:5], v[54:55]
	;; [unrolled: 2-line block ×4, first 2 shown]
	ds_load_b128 v[56:59], v45 offset:80
	ds_load_b128 v[60:63], v45 offset:2128
	;; [unrolled: 1-line block ×4, first 2 shown]
	v_add_f64_e32 v[54:55], v[82:83], v[118:119]
	v_add_f64_e32 v[82:83], v[120:121], v[86:87]
	;; [unrolled: 1-line block ×8, first 2 shown]
	v_fma_f64 v[98:99], v[20:21], v[26:27], -v[98:99]
	v_fmac_f64_e32 v[104:105], v[22:23], v[26:27]
	v_fma_f64 v[106:107], v[20:21], v[34:35], -v[106:107]
	s_wait_dscnt 0x1
	v_mul_f64_e32 v[90:91], v[58:59], v[66:67]
	v_mul_f64_e32 v[92:93], v[56:57], v[66:67]
	s_wait_dscnt 0x0
	v_mul_f64_e32 v[94:95], v[58:59], v[70:71]
	v_mul_f64_e32 v[96:97], v[56:57], v[70:71]
	;; [unrolled: 1-line block ×6, first 2 shown]
	v_fmac_f64_e32 v[110:111], v[22:23], v[34:35]
	v_fma_f64 v[122:123], v[38:39], v[26:27], -v[122:123]
	v_fmac_f64_e32 v[126:127], v[40:41], v[26:27]
	v_fma_f64 v[124:125], v[38:39], v[34:35], -v[28:29]
	v_fmac_f64_e32 v[128:129], v[40:41], v[34:35]
	ds_load_b128 v[2:5], v45 offset:96
	ds_load_b128 v[46:49], v44 offset:3072
	;; [unrolled: 1-line block ×4, first 2 shown]
	v_add_f64_e32 v[54:55], v[54:55], v[36:37]
	v_add_f64_e32 v[82:83], v[102:103], v[82:83]
	;; [unrolled: 1-line block ×8, first 2 shown]
	ds_load_b128 v[20:23], v45 offset:112
	ds_load_b128 v[26:29], v45 offset:2160
	;; [unrolled: 1-line block ×4, first 2 shown]
	s_wait_dscnt 0x0
	v_mul_f64_e32 v[100:101], v[4:5], v[48:49]
	v_mul_f64_e32 v[102:103], v[2:3], v[48:49]
	;; [unrolled: 1-line block ×8, first 2 shown]
	v_fma_f64 v[90:91], v[56:57], v[64:65], -v[90:91]
	v_fmac_f64_e32 v[92:93], v[58:59], v[64:65]
	v_fma_f64 v[56:57], v[56:57], v[68:69], -v[94:95]
	v_fmac_f64_e32 v[96:97], v[58:59], v[68:69]
	;; [unrolled: 2-line block ×4, first 2 shown]
	s_barrier_signal -1
	s_barrier_wait -1
	v_mul_f64_e32 v[94:95], v[20:21], v[40:41]
	v_add_f64_e32 v[54:55], v[54:55], v[98:99]
	v_add_f64_e32 v[62:63], v[104:105], v[82:83]
	;; [unrolled: 1-line block ×8, first 2 shown]
	v_mul_f64_e32 v[84:85], v[22:23], v[36:37]
	v_mul_f64_e32 v[86:87], v[20:21], v[36:37]
	v_mul_f64_e32 v[88:89], v[22:23], v[40:41]
	v_mul_f64_e32 v[98:99], v[28:29], v[36:37]
	v_mul_f64_e32 v[104:105], v[26:27], v[36:37]
	v_mul_f64_e32 v[36:37], v[28:29], v[40:41]
	v_mul_f64_e32 v[106:107], v[26:27], v[40:41]
	v_fma_f64 v[40:41], v[2:3], v[46:47], -v[100:101]
	v_fmac_f64_e32 v[102:103], v[4:5], v[46:47]
	v_fma_f64 v[2:3], v[2:3], v[50:51], -v[108:109]
	v_fmac_f64_e32 v[112:113], v[4:5], v[50:51]
	;; [unrolled: 2-line block ×4, first 2 shown]
	v_fmac_f64_e32 v[94:95], v[22:23], v[38:39]
	v_add_f64_e32 v[50:51], v[54:55], v[90:91]
	v_add_f64_e32 v[54:55], v[92:93], v[62:63]
	v_add_f64_e32 v[56:57], v[64:65], v[56:57]
	v_add_f64_e32 v[62:63], v[96:97], v[68:69]
	v_add_f64_e32 v[58:59], v[76:77], v[58:59]
	v_add_f64_e32 v[64:65], v[66:67], v[80:81]
	v_add_f64_e32 v[60:61], v[78:79], v[60:61]
	v_add_f64_e32 v[66:67], v[70:71], v[82:83]
	v_fma_f64 v[68:69], v[20:21], v[34:35], -v[84:85]
	v_fmac_f64_e32 v[86:87], v[22:23], v[34:35]
	v_fma_f64 v[20:21], v[20:21], v[38:39], -v[88:89]
	v_fma_f64 v[22:23], v[26:27], v[34:35], -v[98:99]
	v_fmac_f64_e32 v[104:105], v[28:29], v[34:35]
	v_fma_f64 v[70:71], v[26:27], v[38:39], -v[36:37]
	v_fmac_f64_e32 v[106:107], v[28:29], v[38:39]
	v_add_f64_e32 v[26:27], v[50:51], v[40:41]
	v_add_f64_e32 v[28:29], v[102:103], v[54:55]
	v_add_f64_e32 v[2:3], v[56:57], v[2:3]
	v_add_f64_e32 v[36:37], v[112:113], v[62:63]
	v_add_f64_e32 v[4:5], v[58:59], v[4:5]
	v_add_f64_e32 v[48:49], v[48:49], v[64:65]
	v_add_f64_e32 v[46:47], v[60:61], v[46:47]
	v_add_f64_e32 v[50:51], v[52:53], v[66:67]
	v_add_f64_e32 v[38:39], v[26:27], v[68:69]
	v_add_f64_e32 v[40:41], v[86:87], v[28:29]
	v_add_f64_e32 v[34:35], v[2:3], v[20:21]
	v_add_f64_e32 v[36:37], v[94:95], v[36:37]
	v_add_f64_e32 v[26:27], v[4:5], v[22:23]
	v_add_f64_e32 v[28:29], v[104:105], v[48:49]
	v_add_f64_e32 v[20:21], v[46:47], v[70:71]
	v_add_f64_e32 v[22:23], v[106:107], v[50:51]
	s_cbranch_scc0 .LBB421_16
.LBB421_10:                             ;   Parent Loop BB421_7 Depth=1
                                        ; =>  This Inner Loop Header: Depth=2
	s_wait_xcnt 0x2
	v_add_nc_u32_e32 v1, s29, v42
	v_mov_b64_e32 v[2:3], 0
	v_mov_b64_e32 v[4:5], 0
	s_delay_alu instid0(VALU_DEP_3) | instskip(SKIP_2) | instid1(SALU_CYCLE_1)
	v_cmp_gt_i32_e32 vcc_lo, s25, v1
	s_wait_xcnt 0x0
	s_and_b32 s31, s0, vcc_lo
	s_and_saveexec_b32 s30, s31
	s_cbranch_execz .LBB421_12
; %bb.11:                               ;   in Loop: Header=BB421_10 Depth=2
	flat_load_b128 v[2:5], v[30:31] offset:-8
	s_wait_loadcnt_dscnt 0x0
	v_xor_b32_e32 v5, 0x80000000, v5
.LBB421_12:                             ;   in Loop: Header=BB421_10 Depth=2
	s_wait_xcnt 0x0
	s_or_b32 exec_lo, exec_lo, s30
	v_add_nc_u32_e32 v1, s29, v6
	ds_store_b128 v7, v[2:5]
	v_cmp_le_i32_e32 vcc_lo, s25, v1
	s_or_b32 s30, vcc_lo, s28
	s_delay_alu instid0(SALU_CYCLE_1) | instskip(NEXT) | instid1(SALU_CYCLE_1)
	s_and_saveexec_b32 s31, s30
	s_xor_b32 s30, exec_lo, s31
; %bb.13:                               ;   in Loop: Header=BB421_10 Depth=2
	v_dual_mov_b32 v1, v0 :: v_dual_mov_b32 v2, v0
	v_mov_b32_e32 v3, v0
	ds_store_b128 v43, v[0:3]
; %bb.14:                               ;   in Loop: Header=BB421_10 Depth=2
	s_and_not1_saveexec_b32 s30, s30
	s_cbranch_execz .LBB421_9
; %bb.15:                               ;   in Loop: Header=BB421_10 Depth=2
	flat_load_b128 v[2:5], v[32:33]
	s_wait_loadcnt_dscnt 0x0
	ds_store_2addr_b64 v43, v[2:3], v[4:5] offset1:1
	s_branch .LBB421_9
.LBB421_16:                             ;   in Loop: Header=BB421_7 Depth=1
	s_wait_loadcnt 0x0
	v_add_nc_u64_e32 v[24:25], s[4:5], v[24:25]
	s_delay_alu instid0(VALU_DEP_1)
	v_lshl_add_u64 v[30:31], v[10:11], 4, v[24:25]
	s_wait_xcnt 0x0
	s_and_saveexec_b32 s29, s33
	s_cbranch_execz .LBB421_21
; %bb.17:                               ;   in Loop: Header=BB421_7 Depth=1
	v_mul_f64_e32 v[2:3], s[18:19], v[40:41]
	v_mul_f64_e32 v[4:5], s[16:17], v[40:41]
	v_lshl_add_u64 v[32:33], v[8:9], 4, v[30:31]
	s_and_b32 vcc_lo, exec_lo, s22
	s_mov_b32 s30, -1
	s_delay_alu instid0(VALU_DEP_3) | instskip(NEXT) | instid1(VALU_DEP_3)
	v_fma_f64 v[2:3], s[16:17], v[38:39], -v[2:3]
	v_fmac_f64_e32 v[4:5], s[18:19], v[38:39]
	s_cbranch_vccz .LBB421_19
; %bb.18:                               ;   in Loop: Header=BB421_7 Depth=1
	flat_load_b128 v[38:41], v[32:33]
	s_mov_b32 s30, 0
	s_wait_loadcnt_dscnt 0x0
	v_mul_f64_e32 v[46:47], s[12:13], v[40:41]
	v_mul_f64_e32 v[40:41], s[10:11], v[40:41]
	s_delay_alu instid0(VALU_DEP_2) | instskip(NEXT) | instid1(VALU_DEP_2)
	v_fma_f64 v[46:47], s[10:11], v[38:39], -v[46:47]
	v_fmac_f64_e32 v[40:41], s[12:13], v[38:39]
	s_delay_alu instid0(VALU_DEP_2) | instskip(NEXT) | instid1(VALU_DEP_2)
	v_add_f64_e32 v[38:39], v[2:3], v[46:47]
	v_add_f64_e32 v[40:41], v[4:5], v[40:41]
	flat_store_b128 v[32:33], v[38:41]
.LBB421_19:                             ;   in Loop: Header=BB421_7 Depth=1
	s_and_not1_b32 vcc_lo, exec_lo, s30
	s_cbranch_vccnz .LBB421_21
; %bb.20:                               ;   in Loop: Header=BB421_7 Depth=1
	flat_store_b128 v[32:33], v[2:5]
.LBB421_21:                             ;   in Loop: Header=BB421_7 Depth=1
	s_wait_xcnt 0x0
	s_or_b32 exec_lo, exec_lo, s29
	s_and_saveexec_b32 s29, s1
	s_cbranch_execz .LBB421_26
; %bb.22:                               ;   in Loop: Header=BB421_7 Depth=1
	v_mul_f64_e32 v[2:3], s[18:19], v[36:37]
	v_mul_f64_e32 v[4:5], s[16:17], v[36:37]
	v_lshl_add_u64 v[30:31], v[14:15], 4, v[30:31]
	s_and_not1_b32 vcc_lo, exec_lo, s22
	s_mov_b32 s30, -1
	s_delay_alu instid0(VALU_DEP_3) | instskip(NEXT) | instid1(VALU_DEP_3)
	v_fma_f64 v[2:3], s[16:17], v[34:35], -v[2:3]
	v_fmac_f64_e32 v[4:5], s[18:19], v[34:35]
	s_cbranch_vccnz .LBB421_24
; %bb.23:                               ;   in Loop: Header=BB421_7 Depth=1
	flat_load_b128 v[32:35], v[30:31]
	s_mov_b32 s30, 0
	s_wait_loadcnt_dscnt 0x0
	v_mul_f64_e32 v[36:37], s[12:13], v[34:35]
	v_mul_f64_e32 v[34:35], s[10:11], v[34:35]
	s_delay_alu instid0(VALU_DEP_2) | instskip(NEXT) | instid1(VALU_DEP_2)
	v_fma_f64 v[36:37], s[10:11], v[32:33], -v[36:37]
	v_fmac_f64_e32 v[34:35], s[12:13], v[32:33]
	s_delay_alu instid0(VALU_DEP_2) | instskip(NEXT) | instid1(VALU_DEP_2)
	v_add_f64_e32 v[32:33], v[2:3], v[36:37]
	v_add_f64_e32 v[34:35], v[4:5], v[34:35]
	flat_store_b128 v[30:31], v[32:35]
.LBB421_24:                             ;   in Loop: Header=BB421_7 Depth=1
	s_and_not1_b32 vcc_lo, exec_lo, s30
	s_cbranch_vccnz .LBB421_26
; %bb.25:                               ;   in Loop: Header=BB421_7 Depth=1
	flat_store_b128 v[30:31], v[2:5]
.LBB421_26:                             ;   in Loop: Header=BB421_7 Depth=1
	s_wait_xcnt 0x0
	s_or_b32 exec_lo, exec_lo, s29
	v_lshl_add_u64 v[24:25], v[12:13], 4, v[24:25]
	s_and_saveexec_b32 s29, s8
	s_cbranch_execz .LBB421_31
; %bb.27:                               ;   in Loop: Header=BB421_7 Depth=1
	v_mul_f64_e32 v[2:3], s[18:19], v[28:29]
	v_mul_f64_e32 v[4:5], s[16:17], v[28:29]
	s_and_not1_b32 vcc_lo, exec_lo, s22
	s_mov_b32 s30, -1
	s_delay_alu instid0(VALU_DEP_2) | instskip(NEXT) | instid1(VALU_DEP_2)
	v_fma_f64 v[2:3], s[16:17], v[26:27], -v[2:3]
	v_fmac_f64_e32 v[4:5], s[18:19], v[26:27]
	v_lshl_add_u64 v[26:27], v[8:9], 4, v[24:25]
	s_cbranch_vccnz .LBB421_29
; %bb.28:                               ;   in Loop: Header=BB421_7 Depth=1
	flat_load_b128 v[28:31], v[26:27]
	s_mov_b32 s30, 0
	s_wait_loadcnt_dscnt 0x0
	v_mul_f64_e32 v[32:33], s[12:13], v[30:31]
	v_mul_f64_e32 v[30:31], s[10:11], v[30:31]
	s_delay_alu instid0(VALU_DEP_2) | instskip(NEXT) | instid1(VALU_DEP_2)
	v_fma_f64 v[32:33], s[10:11], v[28:29], -v[32:33]
	v_fmac_f64_e32 v[30:31], s[12:13], v[28:29]
	s_delay_alu instid0(VALU_DEP_2) | instskip(NEXT) | instid1(VALU_DEP_2)
	v_add_f64_e32 v[28:29], v[2:3], v[32:33]
	v_add_f64_e32 v[30:31], v[4:5], v[30:31]
	flat_store_b128 v[26:27], v[28:31]
.LBB421_29:                             ;   in Loop: Header=BB421_7 Depth=1
	s_and_not1_b32 vcc_lo, exec_lo, s30
	s_cbranch_vccnz .LBB421_31
; %bb.30:                               ;   in Loop: Header=BB421_7 Depth=1
	flat_store_b128 v[26:27], v[2:5]
.LBB421_31:                             ;   in Loop: Header=BB421_7 Depth=1
	s_wait_xcnt 0x0
	s_or_b32 exec_lo, exec_lo, s29
	s_and_saveexec_b32 s29, s9
	s_cbranch_execz .LBB421_6
; %bb.32:                               ;   in Loop: Header=BB421_7 Depth=1
	s_delay_alu instid0(VALU_DEP_4) | instskip(SKIP_3) | instid1(VALU_DEP_2)
	v_mul_f64_e32 v[2:3], s[18:19], v[22:23]
	v_mul_f64_e32 v[4:5], s[16:17], v[22:23]
	s_and_not1_b32 vcc_lo, exec_lo, s22
	s_mov_b32 s30, -1
	v_fma_f64 v[2:3], s[16:17], v[20:21], -v[2:3]
	s_delay_alu instid0(VALU_DEP_2)
	v_fmac_f64_e32 v[4:5], s[18:19], v[20:21]
	v_lshl_add_u64 v[20:21], v[14:15], 4, v[24:25]
	s_cbranch_vccnz .LBB421_34
; %bb.33:                               ;   in Loop: Header=BB421_7 Depth=1
	flat_load_b128 v[22:25], v[20:21]
	s_mov_b32 s30, 0
	s_wait_loadcnt_dscnt 0x0
	v_mul_f64_e32 v[26:27], s[12:13], v[24:25]
	v_mul_f64_e32 v[24:25], s[10:11], v[24:25]
	s_delay_alu instid0(VALU_DEP_2) | instskip(NEXT) | instid1(VALU_DEP_2)
	v_fma_f64 v[26:27], s[10:11], v[22:23], -v[26:27]
	v_fmac_f64_e32 v[24:25], s[12:13], v[22:23]
	s_delay_alu instid0(VALU_DEP_2) | instskip(NEXT) | instid1(VALU_DEP_2)
	v_add_f64_e32 v[22:23], v[2:3], v[26:27]
	v_add_f64_e32 v[24:25], v[4:5], v[24:25]
	flat_store_b128 v[20:21], v[22:25]
.LBB421_34:                             ;   in Loop: Header=BB421_7 Depth=1
	s_and_not1_b32 vcc_lo, exec_lo, s30
	s_cbranch_vccnz .LBB421_6
; %bb.35:                               ;   in Loop: Header=BB421_7 Depth=1
	flat_store_b128 v[20:21], v[2:5]
	s_branch .LBB421_6
.LBB421_36:
.LBB421_37:
	s_sendmsg sendmsg(MSG_DEALLOC_VGPRS)
	s_endpgm
	.section	.rodata,"a",@progbits
	.p2align	6, 0x0
	.amdhsa_kernel _ZL29rocblas_internal_gemmt_kernelIiLi16ELi32ELi8ELc67ELc84ELc85ELb1ELb0E19rocblas_complex_numIdES1_PKPKS1_PKPS1_EviT_T9_T10_S9_lSB_S9_lSA_T11_S9_li
		.amdhsa_group_segment_fixed_size 8192
		.amdhsa_private_segment_fixed_size 0
		.amdhsa_kernarg_size 116
		.amdhsa_user_sgpr_count 2
		.amdhsa_user_sgpr_dispatch_ptr 0
		.amdhsa_user_sgpr_queue_ptr 0
		.amdhsa_user_sgpr_kernarg_segment_ptr 1
		.amdhsa_user_sgpr_dispatch_id 0
		.amdhsa_user_sgpr_kernarg_preload_length 0
		.amdhsa_user_sgpr_kernarg_preload_offset 0
		.amdhsa_user_sgpr_private_segment_size 0
		.amdhsa_wavefront_size32 1
		.amdhsa_uses_dynamic_stack 0
		.amdhsa_enable_private_segment 0
		.amdhsa_system_sgpr_workgroup_id_x 1
		.amdhsa_system_sgpr_workgroup_id_y 1
		.amdhsa_system_sgpr_workgroup_id_z 1
		.amdhsa_system_sgpr_workgroup_info 0
		.amdhsa_system_vgpr_workitem_id 1
		.amdhsa_next_free_vgpr 132
		.amdhsa_next_free_sgpr 41
		.amdhsa_named_barrier_count 0
		.amdhsa_reserve_vcc 1
		.amdhsa_float_round_mode_32 0
		.amdhsa_float_round_mode_16_64 0
		.amdhsa_float_denorm_mode_32 3
		.amdhsa_float_denorm_mode_16_64 3
		.amdhsa_fp16_overflow 0
		.amdhsa_memory_ordered 1
		.amdhsa_forward_progress 1
		.amdhsa_inst_pref_size 24
		.amdhsa_round_robin_scheduling 0
		.amdhsa_exception_fp_ieee_invalid_op 0
		.amdhsa_exception_fp_denorm_src 0
		.amdhsa_exception_fp_ieee_div_zero 0
		.amdhsa_exception_fp_ieee_overflow 0
		.amdhsa_exception_fp_ieee_underflow 0
		.amdhsa_exception_fp_ieee_inexact 0
		.amdhsa_exception_int_div_zero 0
	.end_amdhsa_kernel
	.section	.text._ZL29rocblas_internal_gemmt_kernelIiLi16ELi32ELi8ELc67ELc84ELc85ELb1ELb0E19rocblas_complex_numIdES1_PKPKS1_PKPS1_EviT_T9_T10_S9_lSB_S9_lSA_T11_S9_li,"axG",@progbits,_ZL29rocblas_internal_gemmt_kernelIiLi16ELi32ELi8ELc67ELc84ELc85ELb1ELb0E19rocblas_complex_numIdES1_PKPKS1_PKPS1_EviT_T9_T10_S9_lSB_S9_lSA_T11_S9_li,comdat
.Lfunc_end421:
	.size	_ZL29rocblas_internal_gemmt_kernelIiLi16ELi32ELi8ELc67ELc84ELc85ELb1ELb0E19rocblas_complex_numIdES1_PKPKS1_PKPS1_EviT_T9_T10_S9_lSB_S9_lSA_T11_S9_li, .Lfunc_end421-_ZL29rocblas_internal_gemmt_kernelIiLi16ELi32ELi8ELc67ELc84ELc85ELb1ELb0E19rocblas_complex_numIdES1_PKPKS1_PKPS1_EviT_T9_T10_S9_lSB_S9_lSA_T11_S9_li
                                        ; -- End function
	.set _ZL29rocblas_internal_gemmt_kernelIiLi16ELi32ELi8ELc67ELc84ELc85ELb1ELb0E19rocblas_complex_numIdES1_PKPKS1_PKPS1_EviT_T9_T10_S9_lSB_S9_lSA_T11_S9_li.num_vgpr, 132
	.set _ZL29rocblas_internal_gemmt_kernelIiLi16ELi32ELi8ELc67ELc84ELc85ELb1ELb0E19rocblas_complex_numIdES1_PKPKS1_PKPS1_EviT_T9_T10_S9_lSB_S9_lSA_T11_S9_li.num_agpr, 0
	.set _ZL29rocblas_internal_gemmt_kernelIiLi16ELi32ELi8ELc67ELc84ELc85ELb1ELb0E19rocblas_complex_numIdES1_PKPKS1_PKPS1_EviT_T9_T10_S9_lSB_S9_lSA_T11_S9_li.numbered_sgpr, 41
	.set _ZL29rocblas_internal_gemmt_kernelIiLi16ELi32ELi8ELc67ELc84ELc85ELb1ELb0E19rocblas_complex_numIdES1_PKPKS1_PKPS1_EviT_T9_T10_S9_lSB_S9_lSA_T11_S9_li.num_named_barrier, 0
	.set _ZL29rocblas_internal_gemmt_kernelIiLi16ELi32ELi8ELc67ELc84ELc85ELb1ELb0E19rocblas_complex_numIdES1_PKPKS1_PKPS1_EviT_T9_T10_S9_lSB_S9_lSA_T11_S9_li.private_seg_size, 0
	.set _ZL29rocblas_internal_gemmt_kernelIiLi16ELi32ELi8ELc67ELc84ELc85ELb1ELb0E19rocblas_complex_numIdES1_PKPKS1_PKPS1_EviT_T9_T10_S9_lSB_S9_lSA_T11_S9_li.uses_vcc, 1
	.set _ZL29rocblas_internal_gemmt_kernelIiLi16ELi32ELi8ELc67ELc84ELc85ELb1ELb0E19rocblas_complex_numIdES1_PKPKS1_PKPS1_EviT_T9_T10_S9_lSB_S9_lSA_T11_S9_li.uses_flat_scratch, 0
	.set _ZL29rocblas_internal_gemmt_kernelIiLi16ELi32ELi8ELc67ELc84ELc85ELb1ELb0E19rocblas_complex_numIdES1_PKPKS1_PKPS1_EviT_T9_T10_S9_lSB_S9_lSA_T11_S9_li.has_dyn_sized_stack, 0
	.set _ZL29rocblas_internal_gemmt_kernelIiLi16ELi32ELi8ELc67ELc84ELc85ELb1ELb0E19rocblas_complex_numIdES1_PKPKS1_PKPS1_EviT_T9_T10_S9_lSB_S9_lSA_T11_S9_li.has_recursion, 0
	.set _ZL29rocblas_internal_gemmt_kernelIiLi16ELi32ELi8ELc67ELc84ELc85ELb1ELb0E19rocblas_complex_numIdES1_PKPKS1_PKPS1_EviT_T9_T10_S9_lSB_S9_lSA_T11_S9_li.has_indirect_call, 0
	.section	.AMDGPU.csdata,"",@progbits
; Kernel info:
; codeLenInByte = 2964
; TotalNumSgprs: 43
; NumVgprs: 132
; ScratchSize: 0
; MemoryBound: 1
; FloatMode: 240
; IeeeMode: 1
; LDSByteSize: 8192 bytes/workgroup (compile time only)
; SGPRBlocks: 0
; VGPRBlocks: 8
; NumSGPRsForWavesPerEU: 43
; NumVGPRsForWavesPerEU: 132
; NamedBarCnt: 0
; Occupancy: 7
; WaveLimiterHint : 1
; COMPUTE_PGM_RSRC2:SCRATCH_EN: 0
; COMPUTE_PGM_RSRC2:USER_SGPR: 2
; COMPUTE_PGM_RSRC2:TRAP_HANDLER: 0
; COMPUTE_PGM_RSRC2:TGID_X_EN: 1
; COMPUTE_PGM_RSRC2:TGID_Y_EN: 1
; COMPUTE_PGM_RSRC2:TGID_Z_EN: 1
; COMPUTE_PGM_RSRC2:TIDIG_COMP_CNT: 1
	.section	.text._ZL29rocblas_internal_gemmt_kernelIiLi16ELi32ELi8ELc67ELc67ELc85ELb1ELb1E19rocblas_complex_numIdES1_PKPKS1_PKPS1_EviT_T9_T10_S9_lSB_S9_lSA_T11_S9_li,"axG",@progbits,_ZL29rocblas_internal_gemmt_kernelIiLi16ELi32ELi8ELc67ELc67ELc85ELb1ELb1E19rocblas_complex_numIdES1_PKPKS1_PKPS1_EviT_T9_T10_S9_lSB_S9_lSA_T11_S9_li,comdat
	.globl	_ZL29rocblas_internal_gemmt_kernelIiLi16ELi32ELi8ELc67ELc67ELc85ELb1ELb1E19rocblas_complex_numIdES1_PKPKS1_PKPS1_EviT_T9_T10_S9_lSB_S9_lSA_T11_S9_li ; -- Begin function _ZL29rocblas_internal_gemmt_kernelIiLi16ELi32ELi8ELc67ELc67ELc85ELb1ELb1E19rocblas_complex_numIdES1_PKPKS1_PKPS1_EviT_T9_T10_S9_lSB_S9_lSA_T11_S9_li
	.p2align	8
	.type	_ZL29rocblas_internal_gemmt_kernelIiLi16ELi32ELi8ELc67ELc67ELc85ELb1ELb1E19rocblas_complex_numIdES1_PKPKS1_PKPS1_EviT_T9_T10_S9_lSB_S9_lSA_T11_S9_li,@function
_ZL29rocblas_internal_gemmt_kernelIiLi16ELi32ELi8ELc67ELc67ELc85ELb1ELb1E19rocblas_complex_numIdES1_PKPKS1_PKPS1_EviT_T9_T10_S9_lSB_S9_lSA_T11_S9_li: ; @_ZL29rocblas_internal_gemmt_kernelIiLi16ELi32ELi8ELc67ELc67ELc85ELb1ELb1E19rocblas_complex_numIdES1_PKPKS1_PKPS1_EviT_T9_T10_S9_lSB_S9_lSA_T11_S9_li
; %bb.0:
	s_clause 0x2
	s_load_b256 s[4:11], s[0:1], 0x40
	s_load_b64 s[24:25], s[0:1], 0x0
	s_load_b128 s[12:15], s[0:1], 0x8
	s_wait_kmcnt 0x0
	v_cmp_eq_f64_e64 s2, s[6:7], 1.0
	v_cmp_eq_f64_e64 s33, s[8:9], 0
	s_and_b32 s2, s2, s33
	s_delay_alu instid0(SALU_CYCLE_1)
	s_and_not1_b32 vcc_lo, exec_lo, s2
	s_mov_b32 s2, -1
	s_cbranch_vccnz .LBB422_3
; %bb.1:
	s_cmp_lg_u32 s25, 0
	s_cbranch_scc0 .LBB422_34
; %bb.2:
	v_cmp_neq_f64_e64 s2, s[12:13], 0
	v_cmp_neq_f64_e64 s3, s[14:15], 0
	s_or_b32 s2, s2, s3
.LBB422_3:
	s_delay_alu instid0(SALU_CYCLE_1)
	s_and_b32 vcc_lo, exec_lo, s2
	s_cbranch_vccz .LBB422_35
; %bb.4:
	s_load_b32 s23, s[0:1], 0x70
	s_bfe_u32 s2, ttmp6, 0x40014
	s_lshr_b32 s3, ttmp7, 16
	s_add_co_i32 s2, s2, 1
	s_bfe_u32 s16, ttmp6, 0x40008
	s_mul_i32 s2, s3, s2
	s_getreg_b32 s34, hwreg(HW_REG_IB_STS2, 6, 4)
	s_add_co_i32 s16, s16, s2
	s_cmp_eq_u32 s34, 0
	s_mov_b32 s27, 0
	s_cselect_b32 s26, s3, s16
	s_wait_kmcnt 0x0
	s_cmp_ge_u32 s26, s23
	s_cbranch_scc1 .LBB422_35
; %bb.5:
	s_clause 0x2
	s_load_b96 s[20:22], s[0:1], 0x18
	s_load_b32 s28, s[0:1], 0x38
	s_load_b32 s2, s[0:1], 0x60
	v_and_b32_e32 v10, 0x3ff, v0
	v_bfe_u32 v13, v0, 10, 10
	s_clause 0x1
	s_load_b128 s[16:19], s[0:1], 0x28
	s_load_b64 s[30:31], s[0:1], 0x68
	s_wait_xcnt 0x0
	s_bfe_u32 s1, ttmp6, 0x4000c
	s_bfe_u32 s3, ttmp6, 0x40010
	s_and_b32 s35, ttmp7, 0xffff
	s_add_co_i32 s1, s1, 1
	s_add_co_i32 s3, s3, 1
	v_lshl_add_u32 v4, v13, 4, v10
	s_and_b32 s0, ttmp6, 15
	s_mul_i32 s38, ttmp9, s1
	s_mul_i32 s39, s35, s3
	s_bfe_u32 s40, ttmp6, 0x40004
	s_add_co_i32 s0, s0, s38
	s_add_co_i32 s40, s40, s39
	v_dual_mov_b32 v11, 0 :: v_dual_bitop2_b32 v5, 31, v4 bitop3:0x40
	s_wait_kmcnt 0x0
	s_ashr_i32 s1, s22, 31
	s_ashr_i32 s29, s28, 31
	;; [unrolled: 1-line block ×3, first 2 shown]
	s_cmp_eq_u32 s34, 0
	v_cmp_neq_f64_e64 s36, s[12:13], 0
	s_cselect_b32 s0, ttmp9, s0
	s_cselect_b32 s34, s35, s40
	s_lshl_b32 s35, s0, 5
	v_cmp_neq_f64_e64 s37, s[14:15], 0
	v_dual_lshrrev_b32 v12, 3, v4 :: v_dual_bitop2_b32 v2, s35, v5 bitop3:0x54
	v_dual_mov_b32 v9, v11 :: v_dual_bitop2_b32 v8, 7, v0 bitop3:0x40
	s_delay_alu instid0(VALU_DEP_2) | instskip(SKIP_2) | instid1(VALU_DEP_2)
	v_dual_lshrrev_b32 v46, 5, v4 :: v_dual_ashrrev_i32 v3, 31, v2
	s_mov_b32 s0, s22
	s_lshl_b32 s34, s34, 5
	v_mul_u64_e32 v[6:7], s[28:29], v[8:9]
	v_dual_add_nc_u32 v4, s34, v12 :: v_dual_add_nc_u32 v20, s34, v13
	v_mul_u64_e32 v[0:1], s[0:1], v[2:3]
	v_dual_lshlrev_b32 v3, 4, v8 :: v_dual_lshlrev_b32 v5, 4, v5
	v_cmp_gt_i32_e64 s0, s24, v2
	s_delay_alu instid0(VALU_DEP_4) | instskip(SKIP_1) | instid1(VALU_DEP_4)
	v_dual_add_nc_u32 v2, 16, v20 :: v_dual_ashrrev_i32 v21, 31, v20
	v_cmp_neq_f64_e64 s22, s[6:7], 0
	v_lshl_or_b32 v12, v12, 7, v3
	v_lshl_or_b32 v9, v46, 9, v5
	s_delay_alu instid0(VALU_DEP_4) | instskip(SKIP_1) | instid1(VALU_DEP_4)
	v_dual_ashrrev_i32 v3, 31, v2 :: v_dual_ashrrev_i32 v5, 31, v4
	v_mul_u64_e32 v[14:15], s[2:3], v[20:21]
	v_add_nc_u32_e32 v47, 0x1000, v12
	v_dual_add_nc_u32 v12, s35, v10 :: v_dual_lshlrev_b32 v48, 4, v10
	s_delay_alu instid0(VALU_DEP_4) | instskip(SKIP_1) | instid1(VALU_DEP_3)
	v_mul_u64_e32 v[16:17], s[2:3], v[2:3]
	v_cmp_gt_i32_e32 vcc_lo, s24, v20
	v_dual_lshlrev_b32 v10, 4, v46 :: v_dual_add_nc_u32 v18, 16, v12
	v_cmp_le_i32_e64 s2, v12, v20
	s_or_b32 s36, s36, s37
	s_cmp_gt_i32 s25, 0
	v_cmp_gt_i32_e64 s1, s24, v4
	s_cselect_b32 s34, -1, 0
	s_lshl_b64 s[16:17], s[16:17], 4
	s_lshl_b64 s[4:5], s[4:5], 4
	s_xor_b32 s3, s33, -1
	s_and_b32 s33, vcc_lo, s2
	v_cmp_le_i32_e64 s2, v18, v20
	v_lshl_add_u64 v[6:7], v[6:7], 4, s[4:5]
	v_cmp_le_i32_e64 s4, v12, v2
	v_lshl_add_u32 v49, v13, 7, 0x1000
	v_lshl_add_u64 v[0:1], v[0:1], 4, s[16:17]
	s_and_b32 s16, vcc_lo, s2
	v_lshl_add_u64 v[22:23], v[4:5], 4, v[6:7]
	v_cmp_le_i32_e32 vcc_lo, v18, v2
	v_dual_ashrrev_i32 v13, 31, v12 :: v_dual_ashrrev_i32 v19, 31, v18
	v_add_nc_u64_e32 v[20:21], v[0:1], v[10:11]
	s_or_b32 s22, s22, s3
	v_cmp_gt_i32_e64 s3, s24, v2
	v_or_b32_e32 v22, 8, v22
	s_and_b32 s24, s36, s34
	v_or_b32_e32 v20, 8, v20
	s_and_b32 s17, s3, s4
	s_and_b32 s34, s3, vcc_lo
	s_lshl_b64 s[2:3], s[28:29], 7
	s_lshl_b64 s[4:5], s[30:31], 4
	s_branch .LBB422_7
.LBB422_6:                              ;   in Loop: Header=BB422_7 Depth=1
	s_wait_xcnt 0x0
	s_or_b32 exec_lo, exec_lo, s28
	s_add_co_i32 s26, s26, 0x10000
	s_delay_alu instid0(SALU_CYCLE_1)
	s_cmp_lt_u32 s26, s23
	s_cbranch_scc0 .LBB422_35
.LBB422_7:                              ; =>This Loop Header: Depth=1
                                        ;     Child Loop BB422_10 Depth 2
	v_mov_b32_e32 v0, s26
	v_mov_b64_e32 v[42:43], 0
	v_mov_b64_e32 v[44:45], 0
	;; [unrolled: 1-line block ×4, first 2 shown]
	global_load_b64 v[28:29], v0, s[10:11] scale_offset
	v_mov_b64_e32 v[30:31], 0
	v_mov_b64_e32 v[32:33], 0
	v_mov_b64_e32 v[24:25], 0
	v_mov_b64_e32 v[26:27], 0
	s_and_not1_b32 vcc_lo, exec_lo, s24
	s_cbranch_vccnz .LBB422_14
; %bb.8:                                ;   in Loop: Header=BB422_7 Depth=1
	s_lshl_b64 s[28:29], s[26:27], 3
	v_mov_b64_e32 v[26:27], 0
	s_add_nc_u64 s[30:31], s[20:21], s[28:29]
	s_add_nc_u64 s[28:29], s[18:19], s[28:29]
	s_clause 0x1
	global_load_b64 v[0:1], v11, s[30:31]
	global_load_b64 v[2:3], v11, s[28:29]
	v_mov_b64_e32 v[24:25], 0
	v_mov_b64_e32 v[32:33], 0
	;; [unrolled: 1-line block ×7, first 2 shown]
	s_wait_xcnt 0x0
	s_mov_b32 s28, 0
	s_wait_loadcnt 0x1
	v_add_nc_u64_e32 v[34:35], v[0:1], v[20:21]
	s_wait_loadcnt 0x0
	v_add_nc_u64_e32 v[36:37], v[2:3], v[22:23]
	s_branch .LBB422_10
.LBB422_9:                              ;   in Loop: Header=BB422_10 Depth=2
	s_wait_xcnt 0x0
	s_or_b32 exec_lo, exec_lo, s29
	ds_store_b128 v47, v[4:7]
	s_wait_dscnt 0x0
	s_barrier_signal -1
	s_barrier_wait -1
	ds_load_b128 v[0:3], v49
	ds_load_b128 v[4:7], v48
	ds_load_b128 v[50:53], v48 offset:256
	ds_load_b128 v[54:57], v49 offset:2048
	ds_load_b128 v[58:61], v49 offset:16
	ds_load_b128 v[62:65], v48 offset:512
	ds_load_b128 v[66:69], v48 offset:768
	ds_load_b128 v[70:73], v49 offset:2064
	ds_load_b128 v[74:77], v49 offset:32
	ds_load_b128 v[78:81], v48 offset:1024
	ds_load_b128 v[82:85], v48 offset:1280
	ds_load_b128 v[86:89], v49 offset:2080
	v_add_nc_u64_e32 v[34:35], 0x80, v[34:35]
	v_add_nc_u64_e32 v[36:37], s[2:3], v[36:37]
	s_add_co_i32 s28, s28, 8
	s_delay_alu instid0(SALU_CYCLE_1)
	s_cmp_lt_i32 s28, s25
	s_wait_dscnt 0xa
	v_mul_f64_e32 v[90:91], v[2:3], v[6:7]
	v_mul_f64_e32 v[92:93], v[0:1], v[6:7]
	s_wait_dscnt 0x9
	v_mul_f64_e32 v[94:95], v[2:3], v[52:53]
	v_mul_f64_e32 v[96:97], v[0:1], v[52:53]
	s_wait_dscnt 0x8
	v_mul_f64_e32 v[98:99], v[56:57], v[6:7]
	v_mul_f64_e32 v[100:101], v[54:55], v[6:7]
	v_mul_f64_e32 v[6:7], v[56:57], v[52:53]
	v_mul_f64_e32 v[102:103], v[54:55], v[52:53]
	s_wait_dscnt 0x6
	v_mul_f64_e32 v[104:105], v[60:61], v[64:65]
	v_mul_f64_e32 v[106:107], v[58:59], v[64:65]
	s_wait_dscnt 0x5
	v_mul_f64_e32 v[108:109], v[60:61], v[68:69]
	v_mul_f64_e32 v[110:111], v[58:59], v[68:69]
	s_wait_dscnt 0x4
	v_mul_f64_e32 v[112:113], v[72:73], v[64:65]
	v_mul_f64_e32 v[64:65], v[70:71], v[64:65]
	v_mul_f64_e32 v[114:115], v[72:73], v[68:69]
	v_mul_f64_e32 v[68:69], v[70:71], v[68:69]
	;; [unrolled: 11-line block ×3, first 2 shown]
	v_fma_f64 v[90:91], v[0:1], v[4:5], -v[90:91]
	v_fmac_f64_e32 v[92:93], v[2:3], v[4:5]
	v_fma_f64 v[94:95], v[0:1], v[50:51], -v[94:95]
	v_fmac_f64_e32 v[96:97], v[2:3], v[50:51]
	;; [unrolled: 2-line block ×8, first 2 shown]
	ds_load_b128 v[0:3], v49 offset:48
	ds_load_b128 v[4:7], v49 offset:2096
	;; [unrolled: 1-line block ×4, first 2 shown]
	v_fma_f64 v[118:119], v[74:75], v[78:79], -v[118:119]
	v_fmac_f64_e32 v[120:121], v[76:77], v[78:79]
	v_fma_f64 v[74:75], v[74:75], v[82:83], -v[122:123]
	v_fmac_f64_e32 v[124:125], v[76:77], v[82:83]
	;; [unrolled: 2-line block ×4, first 2 shown]
	v_add_f64_e32 v[66:67], v[42:43], v[90:91]
	v_add_f64_e32 v[70:71], v[92:93], v[44:45]
	;; [unrolled: 1-line block ×8, first 2 shown]
	s_wait_dscnt 0x1
	v_mul_f64_e32 v[100:101], v[2:3], v[52:53]
	v_mul_f64_e32 v[102:103], v[0:1], v[52:53]
	s_wait_dscnt 0x0
	v_mul_f64_e32 v[108:109], v[2:3], v[56:57]
	v_mul_f64_e32 v[112:113], v[0:1], v[56:57]
	;; [unrolled: 1-line block ×6, first 2 shown]
	ds_load_b128 v[24:27], v49 offset:64
	ds_load_b128 v[30:33], v48 offset:2048
	;; [unrolled: 1-line block ×4, first 2 shown]
	v_add_f64_e32 v[82:83], v[66:67], v[104:105]
	v_add_f64_e32 v[86:87], v[106:107], v[70:71]
	;; [unrolled: 1-line block ×8, first 2 shown]
	s_wait_dscnt 0x2
	v_mul_f64_e32 v[98:99], v[26:27], v[32:33]
	v_mul_f64_e32 v[104:105], v[24:25], v[32:33]
	s_wait_dscnt 0x1
	v_mul_f64_e32 v[106:107], v[26:27], v[40:41]
	v_mul_f64_e32 v[110:111], v[24:25], v[40:41]
	;; [unrolled: 3-line block ×3, first 2 shown]
	v_mul_f64_e32 v[32:33], v[44:45], v[40:41]
	v_mul_f64_e32 v[128:129], v[42:43], v[40:41]
	v_fma_f64 v[40:41], v[0:1], v[50:51], -v[100:101]
	v_fmac_f64_e32 v[102:103], v[2:3], v[50:51]
	v_fma_f64 v[100:101], v[0:1], v[54:55], -v[108:109]
	v_fmac_f64_e32 v[112:113], v[2:3], v[54:55]
	;; [unrolled: 2-line block ×4, first 2 shown]
	ds_load_b128 v[56:59], v49 offset:80
	ds_load_b128 v[60:63], v49 offset:2128
	;; [unrolled: 1-line block ×4, first 2 shown]
	v_add_f64_e32 v[54:55], v[82:83], v[118:119]
	v_add_f64_e32 v[82:83], v[120:121], v[86:87]
	;; [unrolled: 1-line block ×8, first 2 shown]
	v_fma_f64 v[98:99], v[24:25], v[30:31], -v[98:99]
	v_fmac_f64_e32 v[104:105], v[26:27], v[30:31]
	v_fma_f64 v[106:107], v[24:25], v[38:39], -v[106:107]
	s_wait_dscnt 0x1
	v_mul_f64_e32 v[90:91], v[58:59], v[66:67]
	v_mul_f64_e32 v[92:93], v[56:57], v[66:67]
	s_wait_dscnt 0x0
	v_mul_f64_e32 v[94:95], v[58:59], v[70:71]
	v_mul_f64_e32 v[96:97], v[56:57], v[70:71]
	;; [unrolled: 1-line block ×6, first 2 shown]
	v_fmac_f64_e32 v[110:111], v[26:27], v[38:39]
	v_fma_f64 v[122:123], v[42:43], v[30:31], -v[122:123]
	v_fmac_f64_e32 v[126:127], v[44:45], v[30:31]
	v_fma_f64 v[124:125], v[42:43], v[38:39], -v[32:33]
	v_fmac_f64_e32 v[128:129], v[44:45], v[38:39]
	ds_load_b128 v[0:3], v49 offset:96
	ds_load_b128 v[4:7], v48 offset:3072
	;; [unrolled: 1-line block ×4, first 2 shown]
	v_add_f64_e32 v[54:55], v[54:55], v[40:41]
	v_add_f64_e32 v[82:83], v[102:103], v[82:83]
	;; [unrolled: 1-line block ×8, first 2 shown]
	ds_load_b128 v[24:27], v49 offset:112
	ds_load_b128 v[30:33], v49 offset:2160
	;; [unrolled: 1-line block ×4, first 2 shown]
	s_wait_dscnt 0x0
	v_mul_f64_e32 v[100:101], v[2:3], v[6:7]
	v_mul_f64_e32 v[102:103], v[0:1], v[6:7]
	;; [unrolled: 1-line block ×8, first 2 shown]
	v_fma_f64 v[90:91], v[56:57], v[64:65], -v[90:91]
	v_fmac_f64_e32 v[92:93], v[58:59], v[64:65]
	v_fma_f64 v[56:57], v[56:57], v[68:69], -v[94:95]
	v_fmac_f64_e32 v[96:97], v[58:59], v[68:69]
	;; [unrolled: 2-line block ×4, first 2 shown]
	s_barrier_signal -1
	s_barrier_wait -1
	v_mul_f64_e32 v[94:95], v[24:25], v[44:45]
	v_add_f64_e32 v[54:55], v[54:55], v[98:99]
	v_add_f64_e32 v[62:63], v[104:105], v[82:83]
	;; [unrolled: 1-line block ×8, first 2 shown]
	v_mul_f64_e32 v[84:85], v[26:27], v[40:41]
	v_mul_f64_e32 v[86:87], v[24:25], v[40:41]
	;; [unrolled: 1-line block ×7, first 2 shown]
	v_fma_f64 v[44:45], v[0:1], v[4:5], -v[100:101]
	v_fmac_f64_e32 v[102:103], v[2:3], v[4:5]
	v_fma_f64 v[0:1], v[0:1], v[50:51], -v[108:109]
	v_fmac_f64_e32 v[112:113], v[2:3], v[50:51]
	;; [unrolled: 2-line block ×4, first 2 shown]
	v_fmac_f64_e32 v[94:95], v[26:27], v[42:43]
	v_add_f64_e32 v[50:51], v[54:55], v[90:91]
	v_add_f64_e32 v[54:55], v[92:93], v[62:63]
	;; [unrolled: 1-line block ×8, first 2 shown]
	v_fma_f64 v[68:69], v[24:25], v[38:39], -v[84:85]
	v_fmac_f64_e32 v[86:87], v[26:27], v[38:39]
	v_fma_f64 v[24:25], v[24:25], v[42:43], -v[88:89]
	v_fma_f64 v[26:27], v[30:31], v[38:39], -v[98:99]
	v_fmac_f64_e32 v[104:105], v[32:33], v[38:39]
	v_fma_f64 v[70:71], v[30:31], v[42:43], -v[40:41]
	v_fmac_f64_e32 v[106:107], v[32:33], v[42:43]
	v_add_f64_e32 v[30:31], v[50:51], v[44:45]
	v_add_f64_e32 v[32:33], v[102:103], v[54:55]
	;; [unrolled: 1-line block ×16, first 2 shown]
	s_cbranch_scc0 .LBB422_14
.LBB422_10:                             ;   Parent Loop BB422_7 Depth=1
                                        ; =>  This Inner Loop Header: Depth=2
	v_add_nc_u32_e32 v2, s28, v46
	v_mov_b64_e32 v[0:1], 0
	s_delay_alu instid0(VALU_DEP_2) | instskip(SKIP_2) | instid1(SALU_CYCLE_1)
	v_cmp_gt_i32_e32 vcc_lo, s25, v2
	v_mov_b64_e32 v[2:3], 0
	s_and_b32 s30, s0, vcc_lo
	s_and_saveexec_b32 s29, s30
	s_cbranch_execz .LBB422_12
; %bb.11:                               ;   in Loop: Header=BB422_10 Depth=2
	flat_load_b128 v[0:3], v[34:35] offset:-8
	s_wait_loadcnt_dscnt 0x0
	v_xor_b32_e32 v3, 0x80000000, v3
.LBB422_12:                             ;   in Loop: Header=BB422_10 Depth=2
	s_wait_xcnt 0x0
	s_or_b32 exec_lo, exec_lo, s29
	v_add_nc_u32_e32 v6, s28, v8
	v_mov_b64_e32 v[4:5], 0
	ds_store_b128 v9, v[0:3]
	v_cmp_gt_i32_e32 vcc_lo, s25, v6
	v_mov_b64_e32 v[6:7], 0
	s_and_b32 s30, vcc_lo, s1
	s_delay_alu instid0(SALU_CYCLE_1)
	s_and_saveexec_b32 s29, s30
	s_cbranch_execz .LBB422_9
; %bb.13:                               ;   in Loop: Header=BB422_10 Depth=2
	flat_load_b128 v[4:7], v[36:37] offset:-8
	s_wait_loadcnt_dscnt 0x0
	v_xor_b32_e32 v7, 0x80000000, v7
	s_branch .LBB422_9
.LBB422_14:                             ;   in Loop: Header=BB422_7 Depth=1
	s_wait_loadcnt 0x0
	v_add_nc_u64_e32 v[4:5], s[4:5], v[28:29]
	s_delay_alu instid0(VALU_DEP_1)
	v_lshl_add_u64 v[6:7], v[14:15], 4, v[4:5]
	s_wait_xcnt 0x0
	s_and_saveexec_b32 s28, s33
	s_cbranch_execz .LBB422_19
; %bb.15:                               ;   in Loop: Header=BB422_7 Depth=1
	v_mul_f64_e32 v[0:1], s[14:15], v[44:45]
	v_mul_f64_e32 v[2:3], s[12:13], v[44:45]
	v_lshl_add_u64 v[28:29], v[12:13], 4, v[6:7]
	s_and_b32 vcc_lo, exec_lo, s22
	s_mov_b32 s29, -1
	s_delay_alu instid0(VALU_DEP_3) | instskip(NEXT) | instid1(VALU_DEP_3)
	v_fma_f64 v[0:1], s[12:13], v[42:43], -v[0:1]
	v_fmac_f64_e32 v[2:3], s[14:15], v[42:43]
	s_cbranch_vccz .LBB422_17
; %bb.16:                               ;   in Loop: Header=BB422_7 Depth=1
	flat_load_b128 v[34:37], v[28:29]
	s_mov_b32 s29, 0
	s_wait_loadcnt_dscnt 0x0
	v_mul_f64_e32 v[42:43], s[8:9], v[36:37]
	v_mul_f64_e32 v[36:37], s[6:7], v[36:37]
	s_delay_alu instid0(VALU_DEP_2) | instskip(NEXT) | instid1(VALU_DEP_2)
	v_fma_f64 v[42:43], s[6:7], v[34:35], -v[42:43]
	v_fmac_f64_e32 v[36:37], s[8:9], v[34:35]
	s_delay_alu instid0(VALU_DEP_2) | instskip(NEXT) | instid1(VALU_DEP_2)
	v_add_f64_e32 v[34:35], v[0:1], v[42:43]
	v_add_f64_e32 v[36:37], v[2:3], v[36:37]
	flat_store_b128 v[28:29], v[34:37]
.LBB422_17:                             ;   in Loop: Header=BB422_7 Depth=1
	s_and_not1_b32 vcc_lo, exec_lo, s29
	s_cbranch_vccnz .LBB422_19
; %bb.18:                               ;   in Loop: Header=BB422_7 Depth=1
	flat_store_b128 v[28:29], v[0:3]
.LBB422_19:                             ;   in Loop: Header=BB422_7 Depth=1
	s_wait_xcnt 0x0
	s_or_b32 exec_lo, exec_lo, s28
	s_and_saveexec_b32 s28, s16
	s_cbranch_execz .LBB422_24
; %bb.20:                               ;   in Loop: Header=BB422_7 Depth=1
	v_mul_f64_e32 v[0:1], s[14:15], v[40:41]
	v_mul_f64_e32 v[2:3], s[12:13], v[40:41]
	v_lshl_add_u64 v[6:7], v[18:19], 4, v[6:7]
	s_and_not1_b32 vcc_lo, exec_lo, s22
	s_mov_b32 s29, -1
	s_delay_alu instid0(VALU_DEP_3) | instskip(NEXT) | instid1(VALU_DEP_3)
	v_fma_f64 v[0:1], s[12:13], v[38:39], -v[0:1]
	v_fmac_f64_e32 v[2:3], s[14:15], v[38:39]
	s_cbranch_vccnz .LBB422_22
; %bb.21:                               ;   in Loop: Header=BB422_7 Depth=1
	flat_load_b128 v[34:37], v[6:7]
	s_mov_b32 s29, 0
	s_wait_loadcnt_dscnt 0x0
	v_mul_f64_e32 v[28:29], s[8:9], v[36:37]
	v_mul_f64_e32 v[36:37], s[6:7], v[36:37]
	s_delay_alu instid0(VALU_DEP_2) | instskip(NEXT) | instid1(VALU_DEP_2)
	v_fma_f64 v[28:29], s[6:7], v[34:35], -v[28:29]
	v_fmac_f64_e32 v[36:37], s[8:9], v[34:35]
	s_delay_alu instid0(VALU_DEP_2) | instskip(NEXT) | instid1(VALU_DEP_2)
	v_add_f64_e32 v[34:35], v[0:1], v[28:29]
	v_add_f64_e32 v[36:37], v[2:3], v[36:37]
	flat_store_b128 v[6:7], v[34:37]
.LBB422_22:                             ;   in Loop: Header=BB422_7 Depth=1
	s_and_not1_b32 vcc_lo, exec_lo, s29
	s_cbranch_vccnz .LBB422_24
; %bb.23:                               ;   in Loop: Header=BB422_7 Depth=1
	flat_store_b128 v[6:7], v[0:3]
.LBB422_24:                             ;   in Loop: Header=BB422_7 Depth=1
	s_wait_xcnt 0x0
	s_or_b32 exec_lo, exec_lo, s28
	v_lshl_add_u64 v[4:5], v[16:17], 4, v[4:5]
	s_and_saveexec_b32 s28, s17
	s_cbranch_execz .LBB422_29
; %bb.25:                               ;   in Loop: Header=BB422_7 Depth=1
	v_mul_f64_e32 v[0:1], s[14:15], v[32:33]
	v_mul_f64_e32 v[2:3], s[12:13], v[32:33]
	v_lshl_add_u64 v[6:7], v[12:13], 4, v[4:5]
	s_and_not1_b32 vcc_lo, exec_lo, s22
	s_mov_b32 s29, -1
	s_delay_alu instid0(VALU_DEP_3) | instskip(NEXT) | instid1(VALU_DEP_3)
	v_fma_f64 v[0:1], s[12:13], v[30:31], -v[0:1]
	v_fmac_f64_e32 v[2:3], s[14:15], v[30:31]
	s_cbranch_vccnz .LBB422_27
; %bb.26:                               ;   in Loop: Header=BB422_7 Depth=1
	flat_load_b128 v[28:31], v[6:7]
	s_mov_b32 s29, 0
	s_wait_loadcnt_dscnt 0x0
	v_mul_f64_e32 v[32:33], s[8:9], v[30:31]
	v_mul_f64_e32 v[30:31], s[6:7], v[30:31]
	s_delay_alu instid0(VALU_DEP_2) | instskip(NEXT) | instid1(VALU_DEP_2)
	v_fma_f64 v[32:33], s[6:7], v[28:29], -v[32:33]
	v_fmac_f64_e32 v[30:31], s[8:9], v[28:29]
	s_delay_alu instid0(VALU_DEP_2) | instskip(NEXT) | instid1(VALU_DEP_2)
	v_add_f64_e32 v[28:29], v[0:1], v[32:33]
	v_add_f64_e32 v[30:31], v[2:3], v[30:31]
	flat_store_b128 v[6:7], v[28:31]
.LBB422_27:                             ;   in Loop: Header=BB422_7 Depth=1
	s_and_not1_b32 vcc_lo, exec_lo, s29
	s_cbranch_vccnz .LBB422_29
; %bb.28:                               ;   in Loop: Header=BB422_7 Depth=1
	flat_store_b128 v[6:7], v[0:3]
.LBB422_29:                             ;   in Loop: Header=BB422_7 Depth=1
	s_wait_xcnt 0x0
	s_or_b32 exec_lo, exec_lo, s28
	s_and_saveexec_b32 s28, s34
	s_cbranch_execz .LBB422_6
; %bb.30:                               ;   in Loop: Header=BB422_7 Depth=1
	s_delay_alu instid0(VALU_DEP_4) | instskip(SKIP_4) | instid1(VALU_DEP_3)
	v_mul_f64_e32 v[0:1], s[14:15], v[26:27]
	v_mul_f64_e32 v[2:3], s[12:13], v[26:27]
	v_lshl_add_u64 v[4:5], v[18:19], 4, v[4:5]
	s_and_not1_b32 vcc_lo, exec_lo, s22
	s_mov_b32 s29, -1
	v_fma_f64 v[0:1], s[12:13], v[24:25], -v[0:1]
	s_delay_alu instid0(VALU_DEP_3)
	v_fmac_f64_e32 v[2:3], s[14:15], v[24:25]
	s_cbranch_vccnz .LBB422_32
; %bb.31:                               ;   in Loop: Header=BB422_7 Depth=1
	flat_load_b128 v[24:27], v[4:5]
	s_mov_b32 s29, 0
	s_wait_loadcnt_dscnt 0x0
	v_mul_f64_e32 v[6:7], s[8:9], v[26:27]
	v_mul_f64_e32 v[26:27], s[6:7], v[26:27]
	s_delay_alu instid0(VALU_DEP_2) | instskip(NEXT) | instid1(VALU_DEP_2)
	v_fma_f64 v[6:7], s[6:7], v[24:25], -v[6:7]
	v_fmac_f64_e32 v[26:27], s[8:9], v[24:25]
	s_delay_alu instid0(VALU_DEP_2) | instskip(NEXT) | instid1(VALU_DEP_2)
	v_add_f64_e32 v[24:25], v[0:1], v[6:7]
	v_add_f64_e32 v[26:27], v[2:3], v[26:27]
	flat_store_b128 v[4:5], v[24:27]
.LBB422_32:                             ;   in Loop: Header=BB422_7 Depth=1
	s_and_not1_b32 vcc_lo, exec_lo, s29
	s_cbranch_vccnz .LBB422_6
; %bb.33:                               ;   in Loop: Header=BB422_7 Depth=1
	flat_store_b128 v[4:5], v[0:3]
	s_branch .LBB422_6
.LBB422_34:
.LBB422_35:
	s_sendmsg sendmsg(MSG_DEALLOC_VGPRS)
	s_endpgm
	.section	.rodata,"a",@progbits
	.p2align	6, 0x0
	.amdhsa_kernel _ZL29rocblas_internal_gemmt_kernelIiLi16ELi32ELi8ELc67ELc67ELc85ELb1ELb1E19rocblas_complex_numIdES1_PKPKS1_PKPS1_EviT_T9_T10_S9_lSB_S9_lSA_T11_S9_li
		.amdhsa_group_segment_fixed_size 8192
		.amdhsa_private_segment_fixed_size 0
		.amdhsa_kernarg_size 116
		.amdhsa_user_sgpr_count 2
		.amdhsa_user_sgpr_dispatch_ptr 0
		.amdhsa_user_sgpr_queue_ptr 0
		.amdhsa_user_sgpr_kernarg_segment_ptr 1
		.amdhsa_user_sgpr_dispatch_id 0
		.amdhsa_user_sgpr_kernarg_preload_length 0
		.amdhsa_user_sgpr_kernarg_preload_offset 0
		.amdhsa_user_sgpr_private_segment_size 0
		.amdhsa_wavefront_size32 1
		.amdhsa_uses_dynamic_stack 0
		.amdhsa_enable_private_segment 0
		.amdhsa_system_sgpr_workgroup_id_x 1
		.amdhsa_system_sgpr_workgroup_id_y 1
		.amdhsa_system_sgpr_workgroup_id_z 1
		.amdhsa_system_sgpr_workgroup_info 0
		.amdhsa_system_vgpr_workitem_id 1
		.amdhsa_next_free_vgpr 132
		.amdhsa_next_free_sgpr 41
		.amdhsa_named_barrier_count 0
		.amdhsa_reserve_vcc 1
		.amdhsa_float_round_mode_32 0
		.amdhsa_float_round_mode_16_64 0
		.amdhsa_float_denorm_mode_32 3
		.amdhsa_float_denorm_mode_16_64 3
		.amdhsa_fp16_overflow 0
		.amdhsa_memory_ordered 1
		.amdhsa_forward_progress 1
		.amdhsa_inst_pref_size 24
		.amdhsa_round_robin_scheduling 0
		.amdhsa_exception_fp_ieee_invalid_op 0
		.amdhsa_exception_fp_denorm_src 0
		.amdhsa_exception_fp_ieee_div_zero 0
		.amdhsa_exception_fp_ieee_overflow 0
		.amdhsa_exception_fp_ieee_underflow 0
		.amdhsa_exception_fp_ieee_inexact 0
		.amdhsa_exception_int_div_zero 0
	.end_amdhsa_kernel
	.section	.text._ZL29rocblas_internal_gemmt_kernelIiLi16ELi32ELi8ELc67ELc67ELc85ELb1ELb1E19rocblas_complex_numIdES1_PKPKS1_PKPS1_EviT_T9_T10_S9_lSB_S9_lSA_T11_S9_li,"axG",@progbits,_ZL29rocblas_internal_gemmt_kernelIiLi16ELi32ELi8ELc67ELc67ELc85ELb1ELb1E19rocblas_complex_numIdES1_PKPKS1_PKPS1_EviT_T9_T10_S9_lSB_S9_lSA_T11_S9_li,comdat
.Lfunc_end422:
	.size	_ZL29rocblas_internal_gemmt_kernelIiLi16ELi32ELi8ELc67ELc67ELc85ELb1ELb1E19rocblas_complex_numIdES1_PKPKS1_PKPS1_EviT_T9_T10_S9_lSB_S9_lSA_T11_S9_li, .Lfunc_end422-_ZL29rocblas_internal_gemmt_kernelIiLi16ELi32ELi8ELc67ELc67ELc85ELb1ELb1E19rocblas_complex_numIdES1_PKPKS1_PKPS1_EviT_T9_T10_S9_lSB_S9_lSA_T11_S9_li
                                        ; -- End function
	.set _ZL29rocblas_internal_gemmt_kernelIiLi16ELi32ELi8ELc67ELc67ELc85ELb1ELb1E19rocblas_complex_numIdES1_PKPKS1_PKPS1_EviT_T9_T10_S9_lSB_S9_lSA_T11_S9_li.num_vgpr, 132
	.set _ZL29rocblas_internal_gemmt_kernelIiLi16ELi32ELi8ELc67ELc67ELc85ELb1ELb1E19rocblas_complex_numIdES1_PKPKS1_PKPS1_EviT_T9_T10_S9_lSB_S9_lSA_T11_S9_li.num_agpr, 0
	.set _ZL29rocblas_internal_gemmt_kernelIiLi16ELi32ELi8ELc67ELc67ELc85ELb1ELb1E19rocblas_complex_numIdES1_PKPKS1_PKPS1_EviT_T9_T10_S9_lSB_S9_lSA_T11_S9_li.numbered_sgpr, 41
	.set _ZL29rocblas_internal_gemmt_kernelIiLi16ELi32ELi8ELc67ELc67ELc85ELb1ELb1E19rocblas_complex_numIdES1_PKPKS1_PKPS1_EviT_T9_T10_S9_lSB_S9_lSA_T11_S9_li.num_named_barrier, 0
	.set _ZL29rocblas_internal_gemmt_kernelIiLi16ELi32ELi8ELc67ELc67ELc85ELb1ELb1E19rocblas_complex_numIdES1_PKPKS1_PKPS1_EviT_T9_T10_S9_lSB_S9_lSA_T11_S9_li.private_seg_size, 0
	.set _ZL29rocblas_internal_gemmt_kernelIiLi16ELi32ELi8ELc67ELc67ELc85ELb1ELb1E19rocblas_complex_numIdES1_PKPKS1_PKPS1_EviT_T9_T10_S9_lSB_S9_lSA_T11_S9_li.uses_vcc, 1
	.set _ZL29rocblas_internal_gemmt_kernelIiLi16ELi32ELi8ELc67ELc67ELc85ELb1ELb1E19rocblas_complex_numIdES1_PKPKS1_PKPS1_EviT_T9_T10_S9_lSB_S9_lSA_T11_S9_li.uses_flat_scratch, 0
	.set _ZL29rocblas_internal_gemmt_kernelIiLi16ELi32ELi8ELc67ELc67ELc85ELb1ELb1E19rocblas_complex_numIdES1_PKPKS1_PKPS1_EviT_T9_T10_S9_lSB_S9_lSA_T11_S9_li.has_dyn_sized_stack, 0
	.set _ZL29rocblas_internal_gemmt_kernelIiLi16ELi32ELi8ELc67ELc67ELc85ELb1ELb1E19rocblas_complex_numIdES1_PKPKS1_PKPS1_EviT_T9_T10_S9_lSB_S9_lSA_T11_S9_li.has_recursion, 0
	.set _ZL29rocblas_internal_gemmt_kernelIiLi16ELi32ELi8ELc67ELc67ELc85ELb1ELb1E19rocblas_complex_numIdES1_PKPKS1_PKPS1_EviT_T9_T10_S9_lSB_S9_lSA_T11_S9_li.has_indirect_call, 0
	.section	.AMDGPU.csdata,"",@progbits
; Kernel info:
; codeLenInByte = 2960
; TotalNumSgprs: 43
; NumVgprs: 132
; ScratchSize: 0
; MemoryBound: 1
; FloatMode: 240
; IeeeMode: 1
; LDSByteSize: 8192 bytes/workgroup (compile time only)
; SGPRBlocks: 0
; VGPRBlocks: 8
; NumSGPRsForWavesPerEU: 43
; NumVGPRsForWavesPerEU: 132
; NamedBarCnt: 0
; Occupancy: 7
; WaveLimiterHint : 1
; COMPUTE_PGM_RSRC2:SCRATCH_EN: 0
; COMPUTE_PGM_RSRC2:USER_SGPR: 2
; COMPUTE_PGM_RSRC2:TRAP_HANDLER: 0
; COMPUTE_PGM_RSRC2:TGID_X_EN: 1
; COMPUTE_PGM_RSRC2:TGID_Y_EN: 1
; COMPUTE_PGM_RSRC2:TGID_Z_EN: 1
; COMPUTE_PGM_RSRC2:TIDIG_COMP_CNT: 1
	.section	.text._ZL29rocblas_internal_gemmt_kernelIiLi16ELi32ELi8ELc78ELc78ELc76ELb0ELb0E19rocblas_complex_numIdES1_PKPKS1_PKPS1_EviT_T9_T10_S9_lSB_S9_lSA_T11_S9_li,"axG",@progbits,_ZL29rocblas_internal_gemmt_kernelIiLi16ELi32ELi8ELc78ELc78ELc76ELb0ELb0E19rocblas_complex_numIdES1_PKPKS1_PKPS1_EviT_T9_T10_S9_lSB_S9_lSA_T11_S9_li,comdat
	.globl	_ZL29rocblas_internal_gemmt_kernelIiLi16ELi32ELi8ELc78ELc78ELc76ELb0ELb0E19rocblas_complex_numIdES1_PKPKS1_PKPS1_EviT_T9_T10_S9_lSB_S9_lSA_T11_S9_li ; -- Begin function _ZL29rocblas_internal_gemmt_kernelIiLi16ELi32ELi8ELc78ELc78ELc76ELb0ELb0E19rocblas_complex_numIdES1_PKPKS1_PKPS1_EviT_T9_T10_S9_lSB_S9_lSA_T11_S9_li
	.p2align	8
	.type	_ZL29rocblas_internal_gemmt_kernelIiLi16ELi32ELi8ELc78ELc78ELc76ELb0ELb0E19rocblas_complex_numIdES1_PKPKS1_PKPS1_EviT_T9_T10_S9_lSB_S9_lSA_T11_S9_li,@function
_ZL29rocblas_internal_gemmt_kernelIiLi16ELi32ELi8ELc78ELc78ELc76ELb0ELb0E19rocblas_complex_numIdES1_PKPKS1_PKPS1_EviT_T9_T10_S9_lSB_S9_lSA_T11_S9_li: ; @_ZL29rocblas_internal_gemmt_kernelIiLi16ELi32ELi8ELc78ELc78ELc76ELb0ELb0E19rocblas_complex_numIdES1_PKPKS1_PKPS1_EviT_T9_T10_S9_lSB_S9_lSA_T11_S9_li
; %bb.0:
	s_clause 0x2
	s_load_b256 s[8:15], s[0:1], 0x40
	s_load_b64 s[4:5], s[0:1], 0x0
	s_load_b128 s[16:19], s[0:1], 0x8
	s_wait_kmcnt 0x0
	v_cmp_eq_f64_e64 s2, s[10:11], 1.0
	v_cmp_eq_f64_e64 s34, s[12:13], 0
	s_and_b32 s2, s2, s34
	s_delay_alu instid0(SALU_CYCLE_1)
	s_and_not1_b32 vcc_lo, exec_lo, s2
	s_mov_b32 s2, -1
	s_cbranch_vccnz .LBB423_3
; %bb.1:
	s_cmp_lg_u32 s5, 0
	s_cbranch_scc0 .LBB423_38
; %bb.2:
	v_cmp_neq_f64_e64 s2, s[16:17], 0
	v_cmp_neq_f64_e64 s3, s[18:19], 0
	s_or_b32 s2, s2, s3
.LBB423_3:
	s_delay_alu instid0(SALU_CYCLE_1)
	s_and_b32 vcc_lo, exec_lo, s2
	s_cbranch_vccz .LBB423_39
; %bb.4:
	s_load_b32 s33, s[0:1], 0x70
	s_bfe_u32 s2, ttmp6, 0x40014
	s_lshr_b32 s3, ttmp7, 16
	s_add_co_i32 s2, s2, 1
	s_bfe_u32 s6, ttmp6, 0x40008
	s_mul_i32 s2, s3, s2
	s_getreg_b32 s35, hwreg(HW_REG_IB_STS2, 6, 4)
	s_add_co_i32 s6, s6, s2
	s_cmp_eq_u32 s35, 0
	s_mov_b32 s7, 0
	s_cselect_b32 s6, s3, s6
	s_wait_kmcnt 0x0
	s_cmp_ge_u32 s6, s33
	s_cbranch_scc1 .LBB423_39
; %bb.5:
	s_clause 0x2
	s_load_b96 s[24:26], s[0:1], 0x18
	s_load_b32 s2, s[0:1], 0x38
	s_load_b32 s28, s[0:1], 0x60
	v_and_b32_e32 v1, 0x3ff, v0
	v_bfe_u32 v5, v0, 10, 10
	s_clause 0x1
	s_load_b128 s[20:23], s[0:1], 0x28
	s_load_b64 s[30:31], s[0:1], 0x68
	s_wait_xcnt 0x0
	s_bfe_u32 s1, ttmp6, 0x4000c
	s_bfe_u32 s38, ttmp6, 0x40010
	s_add_co_i32 s1, s1, 1
	s_and_b32 s39, ttmp7, 0xffff
	s_add_co_i32 s38, s38, 1
	v_and_b32_e32 v40, 7, v0
	v_lshl_add_u32 v0, v5, 4, v1
	s_and_b32 s0, ttmp6, 15
	s_mul_i32 s1, ttmp9, s1
	s_mul_i32 s38, s39, s38
	s_bfe_u32 s40, ttmp6, 0x40004
	s_add_co_i32 s0, s0, s1
	s_add_co_i32 s40, s40, s38
	v_dual_lshrrev_b32 v8, 3, v0 :: v_dual_bitop2_b32 v9, 31, v0 bitop3:0x40
	s_wait_kmcnt 0x0
	s_ashr_i32 s27, s26, 31
	s_ashr_i32 s3, s2, 31
	;; [unrolled: 1-line block ×3, first 2 shown]
	s_cmp_eq_u32 s35, 0
	v_lshrrev_b32_e32 v6, 5, v0
	s_cselect_b32 s1, s39, s40
	s_cselect_b32 s0, ttmp9, s0
	s_lshl_b32 s1, s1, 5
	s_delay_alu instid0(SALU_CYCLE_1) | instskip(SKIP_3) | instid1(SALU_CYCLE_1)
	v_dual_mov_b32 v0, 0 :: v_dual_add_nc_u32 v2, s1, v8
	v_cmp_neq_f64_e64 s36, s[16:17], 0
	v_cmp_neq_f64_e64 s37, s[18:19], 0
	s_lshl_b32 s0, s0, 5
	v_dual_mov_b32 v7, v0 :: v_dual_bitop2_b32 v4, s0, v9 bitop3:0x54
	v_dual_ashrrev_i32 v3, 31, v2 :: v_dual_lshlrev_b32 v9, 4, v9
	v_dual_add_nc_u32 v18, s1, v5 :: v_dual_lshlrev_b32 v20, 4, v40
	s_delay_alu instid0(VALU_DEP_3) | instskip(NEXT) | instid1(VALU_DEP_3)
	v_mul_u64_e32 v[16:17], s[26:27], v[6:7]
	v_mul_u64_e32 v[22:23], s[2:3], v[2:3]
	v_cmp_neq_f64_e64 s35, s[10:11], 0
	s_delay_alu instid0(VALU_DEP_4) | instskip(SKIP_3) | instid1(VALU_DEP_4)
	v_dual_add_nc_u32 v24, 16, v18 :: v_dual_ashrrev_i32 v19, 31, v18
	v_lshl_or_b32 v3, v8, 7, v20
	v_add_nc_u32_e32 v8, s0, v1
	v_cmp_gt_i32_e32 vcc_lo, s4, v4
	v_ashrrev_i32_e32 v25, 31, v24
	v_mul_u64_e32 v[10:11], s[28:29], v[18:19]
	v_lshl_or_b32 v7, v6, 9, v9
	v_dual_add_nc_u32 v12, 16, v8 :: v_dual_lshlrev_b32 v42, 4, v1
	s_delay_alu instid0(VALU_DEP_4)
	v_mul_u64_e32 v[14:15], s[28:29], v[24:25]
	v_cmp_gt_i32_e64 s0, s4, v2
	v_cmp_le_i32_e64 s1, v18, v8
	v_cmp_gt_i32_e64 s2, s4, v8
	v_cmp_le_i32_e64 s3, v18, v12
	v_cmp_gt_i32_e64 s4, s4, v12
	v_dual_ashrrev_i32 v9, 31, v8 :: v_dual_mov_b32 v21, v0
	v_add_nc_u32_e32 v41, 0x1000, v3
	v_lshl_add_u32 v43, v5, 7, 0x1000
	v_ashrrev_i32_e32 v5, 31, v4
	s_or_b32 s36, s36, s37
	s_cmp_gt_i32 s5, 0
	v_ashrrev_i32_e32 v13, 31, v12
	s_cselect_b32 s37, -1, 0
	s_lshl_b64 s[8:9], s[8:9], 4
	s_lshl_b64 s[20:21], s[20:21], 4
	s_xor_b32 s28, s34, -1
	s_and_b32 s29, s1, s2
	v_lshl_add_u64 v[2:3], v[16:17], 4, s[20:21]
	v_lshl_add_u64 v[18:19], v[22:23], 4, s[8:9]
	s_and_b32 s34, s3, s4
	v_cmp_le_i32_e64 s1, v24, v8
	v_cmp_le_i32_e64 s3, v24, v12
	v_lshl_add_u64 v[16:17], v[4:5], 4, v[2:3]
	v_add_nc_u64_e32 v[18:19], v[18:19], v[20:21]
	s_or_b32 s28, s35, s28
	s_and_b32 s8, s1, s2
	s_and_b32 s4, s3, s4
	s_lshl_b64 s[2:3], s[26:27], 7
	s_and_b32 s9, s36, s37
	s_xor_b32 s20, vcc_lo, -1
	s_xor_b32 s21, s0, -1
	s_lshl_b64 s[0:1], s[30:31], 4
	s_branch .LBB423_7
.LBB423_6:                              ;   in Loop: Header=BB423_7 Depth=1
	s_wait_xcnt 0x0
	s_or_b32 exec_lo, exec_lo, s26
	s_add_co_i32 s6, s6, 0x10000
	s_delay_alu instid0(SALU_CYCLE_1)
	s_cmp_lt_u32 s6, s33
	s_cbranch_scc0 .LBB423_39
.LBB423_7:                              ; =>This Loop Header: Depth=1
                                        ;     Child Loop BB423_10 Depth 2
	v_mov_b32_e32 v1, s6
	v_mov_b64_e32 v[36:37], 0
	v_mov_b64_e32 v[38:39], 0
	;; [unrolled: 1-line block ×4, first 2 shown]
	global_load_b64 v[4:5], v1, s[14:15] scale_offset
	v_mov_b64_e32 v[24:25], 0
	v_mov_b64_e32 v[26:27], 0
	;; [unrolled: 1-line block ×4, first 2 shown]
	s_and_not1_b32 vcc_lo, exec_lo, s9
	s_cbranch_vccnz .LBB423_18
; %bb.8:                                ;   in Loop: Header=BB423_7 Depth=1
	s_lshl_b64 s[26:27], s[6:7], 3
	v_mov_b64_e32 v[22:23], 0
	s_add_nc_u64 s[30:31], s[24:25], s[26:27]
	s_add_nc_u64 s[26:27], s[22:23], s[26:27]
	s_clause 0x1
	global_load_b64 v[2:3], v0, s[30:31]
	global_load_b64 v[30:31], v0, s[26:27]
	v_mov_b64_e32 v[20:21], 0
	v_mov_b64_e32 v[26:27], 0
	;; [unrolled: 1-line block ×7, first 2 shown]
	s_wait_xcnt 0x0
	s_mov_b32 s26, 0
	s_wait_loadcnt 0x1
	v_add_nc_u64_e32 v[28:29], v[2:3], v[16:17]
	s_wait_loadcnt 0x0
	v_add_nc_u64_e32 v[30:31], v[30:31], v[18:19]
	s_branch .LBB423_10
.LBB423_9:                              ;   in Loop: Header=BB423_10 Depth=2
	s_wait_xcnt 0x0
	s_or_b32 exec_lo, exec_lo, s27
	s_wait_dscnt 0x0
	s_barrier_signal -1
	s_barrier_wait -1
	ds_load_b128 v[44:47], v43
	ds_load_b128 v[48:51], v42
	ds_load_b128 v[52:55], v42 offset:256
	ds_load_b128 v[56:59], v43 offset:2048
	;; [unrolled: 1-line block ×10, first 2 shown]
	v_add_nc_u64_e32 v[28:29], s[2:3], v[28:29]
	v_add_nc_u64_e32 v[30:31], 0x80, v[30:31]
	s_add_co_i32 s26, s26, 8
	s_delay_alu instid0(SALU_CYCLE_1)
	s_cmp_lt_i32 s26, s5
	s_wait_dscnt 0xa
	v_mul_f64_e32 v[2:3], v[46:47], v[50:51]
	v_mul_f64_e32 v[92:93], v[44:45], v[50:51]
	s_wait_dscnt 0x9
	v_mul_f64_e32 v[94:95], v[46:47], v[54:55]
	v_mul_f64_e32 v[96:97], v[44:45], v[54:55]
	s_wait_dscnt 0x8
	v_mul_f64_e32 v[98:99], v[58:59], v[50:51]
	v_mul_f64_e32 v[100:101], v[56:57], v[50:51]
	v_mul_f64_e32 v[50:51], v[58:59], v[54:55]
	v_mul_f64_e32 v[102:103], v[56:57], v[54:55]
	s_wait_dscnt 0x6
	v_mul_f64_e32 v[104:105], v[62:63], v[66:67]
	v_mul_f64_e32 v[106:107], v[60:61], v[66:67]
	s_wait_dscnt 0x5
	v_mul_f64_e32 v[108:109], v[62:63], v[70:71]
	v_mul_f64_e32 v[110:111], v[60:61], v[70:71]
	s_wait_dscnt 0x4
	v_mul_f64_e32 v[112:113], v[74:75], v[66:67]
	v_mul_f64_e32 v[66:67], v[72:73], v[66:67]
	v_mul_f64_e32 v[114:115], v[74:75], v[70:71]
	v_mul_f64_e32 v[70:71], v[72:73], v[70:71]
	;; [unrolled: 11-line block ×3, first 2 shown]
	v_fma_f64 v[2:3], v[44:45], v[48:49], -v[2:3]
	v_fmac_f64_e32 v[92:93], v[46:47], v[48:49]
	v_fma_f64 v[94:95], v[44:45], v[52:53], -v[94:95]
	v_fmac_f64_e32 v[96:97], v[46:47], v[52:53]
	;; [unrolled: 2-line block ×8, first 2 shown]
	ds_load_b128 v[44:47], v43 offset:48
	ds_load_b128 v[48:51], v43 offset:2096
	;; [unrolled: 1-line block ×4, first 2 shown]
	v_fma_f64 v[118:119], v[76:77], v[80:81], -v[118:119]
	v_fmac_f64_e32 v[120:121], v[78:79], v[80:81]
	v_fma_f64 v[76:77], v[76:77], v[84:85], -v[122:123]
	v_fmac_f64_e32 v[124:125], v[78:79], v[84:85]
	v_fma_f64 v[78:79], v[88:89], v[80:81], -v[126:127]
	v_fmac_f64_e32 v[82:83], v[90:91], v[80:81]
	v_fma_f64 v[80:81], v[88:89], v[84:85], -v[128:129]
	v_fmac_f64_e32 v[86:87], v[90:91], v[84:85]
	v_add_f64_e32 v[2:3], v[36:37], v[2:3]
	v_add_f64_e32 v[68:69], v[92:93], v[38:39]
	;; [unrolled: 1-line block ×8, first 2 shown]
	s_wait_dscnt 0x1
	v_mul_f64_e32 v[100:101], v[46:47], v[54:55]
	v_mul_f64_e32 v[102:103], v[44:45], v[54:55]
	s_wait_dscnt 0x0
	v_mul_f64_e32 v[108:109], v[46:47], v[58:59]
	v_mul_f64_e32 v[112:113], v[44:45], v[58:59]
	;; [unrolled: 1-line block ×6, first 2 shown]
	ds_load_b128 v[20:23], v43 offset:64
	ds_load_b128 v[24:27], v42 offset:2048
	;; [unrolled: 1-line block ×4, first 2 shown]
	v_add_f64_e32 v[2:3], v[2:3], v[104:105]
	v_add_f64_e32 v[84:85], v[106:107], v[68:69]
	;; [unrolled: 1-line block ×8, first 2 shown]
	s_wait_dscnt 0x2
	v_mul_f64_e32 v[98:99], v[22:23], v[26:27]
	v_mul_f64_e32 v[104:105], v[20:21], v[26:27]
	s_wait_dscnt 0x1
	v_mul_f64_e32 v[106:107], v[22:23], v[34:35]
	v_mul_f64_e32 v[110:111], v[20:21], v[34:35]
	;; [unrolled: 3-line block ×3, first 2 shown]
	v_mul_f64_e32 v[26:27], v[38:39], v[34:35]
	v_mul_f64_e32 v[128:129], v[36:37], v[34:35]
	v_fma_f64 v[34:35], v[44:45], v[52:53], -v[100:101]
	v_fmac_f64_e32 v[102:103], v[46:47], v[52:53]
	v_fma_f64 v[100:101], v[44:45], v[56:57], -v[108:109]
	v_fmac_f64_e32 v[112:113], v[46:47], v[56:57]
	v_fma_f64 v[108:109], v[48:49], v[52:53], -v[114:115]
	v_fmac_f64_e32 v[116:117], v[50:51], v[52:53]
	v_fma_f64 v[114:115], v[48:49], v[56:57], -v[54:55]
	v_fmac_f64_e32 v[130:131], v[50:51], v[56:57]
	ds_load_b128 v[58:61], v43 offset:80
	ds_load_b128 v[62:65], v43 offset:2128
	;; [unrolled: 1-line block ×4, first 2 shown]
	v_add_f64_e32 v[2:3], v[2:3], v[118:119]
	v_add_f64_e32 v[56:57], v[120:121], v[84:85]
	;; [unrolled: 1-line block ×8, first 2 shown]
	v_fma_f64 v[98:99], v[20:21], v[24:25], -v[98:99]
	v_fmac_f64_e32 v[104:105], v[22:23], v[24:25]
	v_fma_f64 v[106:107], v[20:21], v[32:33], -v[106:107]
	s_wait_dscnt 0x1
	v_mul_f64_e32 v[90:91], v[60:61], v[68:69]
	v_mul_f64_e32 v[92:93], v[58:59], v[68:69]
	s_wait_dscnt 0x0
	v_mul_f64_e32 v[94:95], v[60:61], v[72:73]
	v_mul_f64_e32 v[96:97], v[58:59], v[72:73]
	v_mul_f64_e32 v[118:119], v[64:65], v[68:69]
	v_mul_f64_e32 v[68:69], v[62:63], v[68:69]
	v_mul_f64_e32 v[120:121], v[64:65], v[72:73]
	v_mul_f64_e32 v[72:73], v[62:63], v[72:73]
	v_fmac_f64_e32 v[110:111], v[22:23], v[32:33]
	v_fma_f64 v[122:123], v[36:37], v[24:25], -v[122:123]
	v_fmac_f64_e32 v[126:127], v[38:39], v[24:25]
	v_fma_f64 v[124:125], v[36:37], v[32:33], -v[26:27]
	v_fmac_f64_e32 v[128:129], v[38:39], v[32:33]
	ds_load_b128 v[44:47], v43 offset:96
	ds_load_b128 v[48:51], v42 offset:3072
	;; [unrolled: 1-line block ×4, first 2 shown]
	v_add_f64_e32 v[2:3], v[2:3], v[34:35]
	v_add_f64_e32 v[56:57], v[102:103], v[56:57]
	;; [unrolled: 1-line block ×8, first 2 shown]
	ds_load_b128 v[20:23], v43 offset:112
	ds_load_b128 v[24:27], v43 offset:2160
	;; [unrolled: 1-line block ×4, first 2 shown]
	s_wait_dscnt 0x0
	v_mul_f64_e32 v[100:101], v[46:47], v[50:51]
	v_mul_f64_e32 v[102:103], v[44:45], v[50:51]
	;; [unrolled: 1-line block ×8, first 2 shown]
	v_fma_f64 v[90:91], v[58:59], v[66:67], -v[90:91]
	v_fmac_f64_e32 v[92:93], v[60:61], v[66:67]
	v_fma_f64 v[58:59], v[58:59], v[70:71], -v[94:95]
	v_fmac_f64_e32 v[96:97], v[60:61], v[70:71]
	;; [unrolled: 2-line block ×4, first 2 shown]
	s_barrier_signal -1
	s_barrier_wait -1
	v_mul_f64_e32 v[94:95], v[20:21], v[38:39]
	v_add_f64_e32 v[2:3], v[2:3], v[98:99]
	v_add_f64_e32 v[56:57], v[104:105], v[56:57]
	;; [unrolled: 1-line block ×8, first 2 shown]
	v_mul_f64_e32 v[84:85], v[22:23], v[34:35]
	v_mul_f64_e32 v[86:87], v[20:21], v[34:35]
	;; [unrolled: 1-line block ×7, first 2 shown]
	v_fma_f64 v[38:39], v[44:45], v[48:49], -v[100:101]
	v_fmac_f64_e32 v[102:103], v[46:47], v[48:49]
	v_fma_f64 v[44:45], v[44:45], v[52:53], -v[108:109]
	v_fmac_f64_e32 v[112:113], v[46:47], v[52:53]
	;; [unrolled: 2-line block ×4, first 2 shown]
	v_fmac_f64_e32 v[94:95], v[22:23], v[36:37]
	v_add_f64_e32 v[2:3], v[2:3], v[90:91]
	v_add_f64_e32 v[52:53], v[92:93], v[56:57]
	;; [unrolled: 1-line block ×8, first 2 shown]
	v_fma_f64 v[68:69], v[20:21], v[32:33], -v[84:85]
	v_fmac_f64_e32 v[86:87], v[22:23], v[32:33]
	v_fma_f64 v[20:21], v[20:21], v[36:37], -v[88:89]
	v_fma_f64 v[22:23], v[24:25], v[32:33], -v[98:99]
	v_fmac_f64_e32 v[104:105], v[26:27], v[32:33]
	v_fma_f64 v[70:71], v[24:25], v[36:37], -v[34:35]
	v_fmac_f64_e32 v[106:107], v[26:27], v[36:37]
	v_add_f64_e32 v[2:3], v[2:3], v[38:39]
	v_add_f64_e32 v[24:25], v[102:103], v[52:53]
	;; [unrolled: 1-line block ×16, first 2 shown]
	s_cbranch_scc0 .LBB423_18
.LBB423_10:                             ;   Parent Loop BB423_7 Depth=1
                                        ; =>  This Inner Loop Header: Depth=2
	v_add_nc_u32_e32 v1, s26, v6
	s_delay_alu instid0(VALU_DEP_1) | instskip(SKIP_1) | instid1(SALU_CYCLE_1)
	v_cmp_le_i32_e32 vcc_lo, s5, v1
	s_or_b32 s27, s20, vcc_lo
	s_and_saveexec_b32 s30, s27
	s_delay_alu instid0(SALU_CYCLE_1)
	s_xor_b32 s27, exec_lo, s30
; %bb.11:                               ;   in Loop: Header=BB423_10 Depth=2
	v_dual_mov_b32 v1, v0 :: v_dual_mov_b32 v2, v0
	v_mov_b32_e32 v3, v0
	ds_store_b128 v7, v[0:3]
; %bb.12:                               ;   in Loop: Header=BB423_10 Depth=2
	s_and_not1_saveexec_b32 s27, s27
	s_cbranch_execz .LBB423_14
; %bb.13:                               ;   in Loop: Header=BB423_10 Depth=2
	flat_load_b128 v[44:47], v[28:29]
	s_wait_loadcnt_dscnt 0x0
	ds_store_2addr_b64 v7, v[44:45], v[46:47] offset1:1
.LBB423_14:                             ;   in Loop: Header=BB423_10 Depth=2
	s_wait_xcnt 0x0
	s_or_b32 exec_lo, exec_lo, s27
	v_add_nc_u32_e32 v1, s26, v40
	s_delay_alu instid0(VALU_DEP_1) | instskip(SKIP_1) | instid1(SALU_CYCLE_1)
	v_cmp_le_i32_e32 vcc_lo, s5, v1
	s_or_b32 s27, vcc_lo, s21
	s_and_saveexec_b32 s30, s27
	s_delay_alu instid0(SALU_CYCLE_1)
	s_xor_b32 s27, exec_lo, s30
; %bb.15:                               ;   in Loop: Header=BB423_10 Depth=2
	v_dual_mov_b32 v1, v0 :: v_dual_mov_b32 v2, v0
	v_mov_b32_e32 v3, v0
	ds_store_b128 v41, v[0:3]
; %bb.16:                               ;   in Loop: Header=BB423_10 Depth=2
	s_and_not1_saveexec_b32 s27, s27
	s_cbranch_execz .LBB423_9
; %bb.17:                               ;   in Loop: Header=BB423_10 Depth=2
	flat_load_b128 v[44:47], v[30:31]
	s_wait_loadcnt_dscnt 0x0
	ds_store_2addr_b64 v41, v[44:45], v[46:47] offset1:1
	s_branch .LBB423_9
.LBB423_18:                             ;   in Loop: Header=BB423_7 Depth=1
	s_wait_loadcnt 0x0
	v_add_nc_u64_e32 v[28:29], s[0:1], v[4:5]
	s_delay_alu instid0(VALU_DEP_1)
	v_lshl_add_u64 v[30:31], v[10:11], 4, v[28:29]
	s_wait_xcnt 0x0
	s_and_saveexec_b32 s26, s29
	s_cbranch_execz .LBB423_23
; %bb.19:                               ;   in Loop: Header=BB423_7 Depth=1
	v_mul_f64_e32 v[2:3], s[18:19], v[38:39]
	v_mul_f64_e32 v[4:5], s[16:17], v[38:39]
	s_and_b32 vcc_lo, exec_lo, s28
	s_mov_b32 s27, -1
	s_delay_alu instid0(VALU_DEP_2) | instskip(NEXT) | instid1(VALU_DEP_2)
	v_fma_f64 v[2:3], s[16:17], v[36:37], -v[2:3]
	v_fmac_f64_e32 v[4:5], s[18:19], v[36:37]
	v_lshl_add_u64 v[36:37], v[8:9], 4, v[30:31]
	s_cbranch_vccz .LBB423_21
; %bb.20:                               ;   in Loop: Header=BB423_7 Depth=1
	flat_load_b128 v[44:47], v[36:37]
	s_mov_b32 s27, 0
	s_wait_loadcnt_dscnt 0x0
	v_mul_f64_e32 v[38:39], s[12:13], v[46:47]
	v_mul_f64_e32 v[46:47], s[10:11], v[46:47]
	s_delay_alu instid0(VALU_DEP_2) | instskip(NEXT) | instid1(VALU_DEP_2)
	v_fma_f64 v[38:39], s[10:11], v[44:45], -v[38:39]
	v_fmac_f64_e32 v[46:47], s[12:13], v[44:45]
	s_delay_alu instid0(VALU_DEP_2) | instskip(NEXT) | instid1(VALU_DEP_2)
	v_add_f64_e32 v[44:45], v[2:3], v[38:39]
	v_add_f64_e32 v[46:47], v[4:5], v[46:47]
	flat_store_b128 v[36:37], v[44:47]
.LBB423_21:                             ;   in Loop: Header=BB423_7 Depth=1
	s_and_not1_b32 vcc_lo, exec_lo, s27
	s_cbranch_vccnz .LBB423_23
; %bb.22:                               ;   in Loop: Header=BB423_7 Depth=1
	flat_store_b128 v[36:37], v[2:5]
.LBB423_23:                             ;   in Loop: Header=BB423_7 Depth=1
	s_wait_xcnt 0x0
	s_or_b32 exec_lo, exec_lo, s26
	s_and_saveexec_b32 s26, s34
	s_cbranch_execz .LBB423_28
; %bb.24:                               ;   in Loop: Header=BB423_7 Depth=1
	v_mul_f64_e32 v[2:3], s[18:19], v[34:35]
	v_mul_f64_e32 v[4:5], s[16:17], v[34:35]
	v_lshl_add_u64 v[30:31], v[12:13], 4, v[30:31]
	s_and_not1_b32 vcc_lo, exec_lo, s28
	s_mov_b32 s27, -1
	s_delay_alu instid0(VALU_DEP_3) | instskip(NEXT) | instid1(VALU_DEP_3)
	v_fma_f64 v[2:3], s[16:17], v[32:33], -v[2:3]
	v_fmac_f64_e32 v[4:5], s[18:19], v[32:33]
	s_cbranch_vccnz .LBB423_26
; %bb.25:                               ;   in Loop: Header=BB423_7 Depth=1
	flat_load_b128 v[32:35], v[30:31]
	s_mov_b32 s27, 0
	s_wait_loadcnt_dscnt 0x0
	v_mul_f64_e32 v[36:37], s[12:13], v[34:35]
	v_mul_f64_e32 v[34:35], s[10:11], v[34:35]
	s_delay_alu instid0(VALU_DEP_2) | instskip(NEXT) | instid1(VALU_DEP_2)
	v_fma_f64 v[36:37], s[10:11], v[32:33], -v[36:37]
	v_fmac_f64_e32 v[34:35], s[12:13], v[32:33]
	s_delay_alu instid0(VALU_DEP_2) | instskip(NEXT) | instid1(VALU_DEP_2)
	v_add_f64_e32 v[32:33], v[2:3], v[36:37]
	v_add_f64_e32 v[34:35], v[4:5], v[34:35]
	flat_store_b128 v[30:31], v[32:35]
.LBB423_26:                             ;   in Loop: Header=BB423_7 Depth=1
	s_and_not1_b32 vcc_lo, exec_lo, s27
	s_cbranch_vccnz .LBB423_28
; %bb.27:                               ;   in Loop: Header=BB423_7 Depth=1
	flat_store_b128 v[30:31], v[2:5]
.LBB423_28:                             ;   in Loop: Header=BB423_7 Depth=1
	s_wait_xcnt 0x0
	s_or_b32 exec_lo, exec_lo, s26
	v_lshl_add_u64 v[28:29], v[14:15], 4, v[28:29]
	s_and_saveexec_b32 s26, s8
	s_cbranch_execz .LBB423_33
; %bb.29:                               ;   in Loop: Header=BB423_7 Depth=1
	v_mul_f64_e32 v[2:3], s[18:19], v[26:27]
	v_mul_f64_e32 v[4:5], s[16:17], v[26:27]
	s_and_not1_b32 vcc_lo, exec_lo, s28
	s_mov_b32 s27, -1
	s_delay_alu instid0(VALU_DEP_2) | instskip(NEXT) | instid1(VALU_DEP_2)
	v_fma_f64 v[2:3], s[16:17], v[24:25], -v[2:3]
	v_fmac_f64_e32 v[4:5], s[18:19], v[24:25]
	v_lshl_add_u64 v[24:25], v[8:9], 4, v[28:29]
	s_cbranch_vccnz .LBB423_31
; %bb.30:                               ;   in Loop: Header=BB423_7 Depth=1
	flat_load_b128 v[30:33], v[24:25]
	s_mov_b32 s27, 0
	s_wait_loadcnt_dscnt 0x0
	v_mul_f64_e32 v[26:27], s[12:13], v[32:33]
	v_mul_f64_e32 v[32:33], s[10:11], v[32:33]
	s_delay_alu instid0(VALU_DEP_2) | instskip(NEXT) | instid1(VALU_DEP_2)
	v_fma_f64 v[26:27], s[10:11], v[30:31], -v[26:27]
	v_fmac_f64_e32 v[32:33], s[12:13], v[30:31]
	s_delay_alu instid0(VALU_DEP_2) | instskip(NEXT) | instid1(VALU_DEP_2)
	v_add_f64_e32 v[30:31], v[2:3], v[26:27]
	v_add_f64_e32 v[32:33], v[4:5], v[32:33]
	flat_store_b128 v[24:25], v[30:33]
.LBB423_31:                             ;   in Loop: Header=BB423_7 Depth=1
	s_and_not1_b32 vcc_lo, exec_lo, s27
	s_cbranch_vccnz .LBB423_33
; %bb.32:                               ;   in Loop: Header=BB423_7 Depth=1
	flat_store_b128 v[24:25], v[2:5]
.LBB423_33:                             ;   in Loop: Header=BB423_7 Depth=1
	s_wait_xcnt 0x0
	s_or_b32 exec_lo, exec_lo, s26
	s_and_saveexec_b32 s26, s4
	s_cbranch_execz .LBB423_6
; %bb.34:                               ;   in Loop: Header=BB423_7 Depth=1
	s_delay_alu instid0(VALU_DEP_4) | instskip(SKIP_3) | instid1(VALU_DEP_2)
	v_mul_f64_e32 v[2:3], s[18:19], v[22:23]
	v_mul_f64_e32 v[4:5], s[16:17], v[22:23]
	s_and_not1_b32 vcc_lo, exec_lo, s28
	s_mov_b32 s27, -1
	v_fma_f64 v[2:3], s[16:17], v[20:21], -v[2:3]
	s_delay_alu instid0(VALU_DEP_2)
	v_fmac_f64_e32 v[4:5], s[18:19], v[20:21]
	v_lshl_add_u64 v[20:21], v[12:13], 4, v[28:29]
	s_cbranch_vccnz .LBB423_36
; %bb.35:                               ;   in Loop: Header=BB423_7 Depth=1
	flat_load_b128 v[22:25], v[20:21]
	s_mov_b32 s27, 0
	s_wait_loadcnt_dscnt 0x0
	v_mul_f64_e32 v[26:27], s[12:13], v[24:25]
	v_mul_f64_e32 v[24:25], s[10:11], v[24:25]
	s_delay_alu instid0(VALU_DEP_2) | instskip(NEXT) | instid1(VALU_DEP_2)
	v_fma_f64 v[26:27], s[10:11], v[22:23], -v[26:27]
	v_fmac_f64_e32 v[24:25], s[12:13], v[22:23]
	s_delay_alu instid0(VALU_DEP_2) | instskip(NEXT) | instid1(VALU_DEP_2)
	v_add_f64_e32 v[22:23], v[2:3], v[26:27]
	v_add_f64_e32 v[24:25], v[4:5], v[24:25]
	flat_store_b128 v[20:21], v[22:25]
.LBB423_36:                             ;   in Loop: Header=BB423_7 Depth=1
	s_and_not1_b32 vcc_lo, exec_lo, s27
	s_cbranch_vccnz .LBB423_6
; %bb.37:                               ;   in Loop: Header=BB423_7 Depth=1
	flat_store_b128 v[20:21], v[2:5]
	s_branch .LBB423_6
.LBB423_38:
.LBB423_39:
	s_sendmsg sendmsg(MSG_DEALLOC_VGPRS)
	s_endpgm
	.section	.rodata,"a",@progbits
	.p2align	6, 0x0
	.amdhsa_kernel _ZL29rocblas_internal_gemmt_kernelIiLi16ELi32ELi8ELc78ELc78ELc76ELb0ELb0E19rocblas_complex_numIdES1_PKPKS1_PKPS1_EviT_T9_T10_S9_lSB_S9_lSA_T11_S9_li
		.amdhsa_group_segment_fixed_size 8192
		.amdhsa_private_segment_fixed_size 0
		.amdhsa_kernarg_size 116
		.amdhsa_user_sgpr_count 2
		.amdhsa_user_sgpr_dispatch_ptr 0
		.amdhsa_user_sgpr_queue_ptr 0
		.amdhsa_user_sgpr_kernarg_segment_ptr 1
		.amdhsa_user_sgpr_dispatch_id 0
		.amdhsa_user_sgpr_kernarg_preload_length 0
		.amdhsa_user_sgpr_kernarg_preload_offset 0
		.amdhsa_user_sgpr_private_segment_size 0
		.amdhsa_wavefront_size32 1
		.amdhsa_uses_dynamic_stack 0
		.amdhsa_enable_private_segment 0
		.amdhsa_system_sgpr_workgroup_id_x 1
		.amdhsa_system_sgpr_workgroup_id_y 1
		.amdhsa_system_sgpr_workgroup_id_z 1
		.amdhsa_system_sgpr_workgroup_info 0
		.amdhsa_system_vgpr_workitem_id 1
		.amdhsa_next_free_vgpr 132
		.amdhsa_next_free_sgpr 41
		.amdhsa_named_barrier_count 0
		.amdhsa_reserve_vcc 1
		.amdhsa_float_round_mode_32 0
		.amdhsa_float_round_mode_16_64 0
		.amdhsa_float_denorm_mode_32 3
		.amdhsa_float_denorm_mode_16_64 3
		.amdhsa_fp16_overflow 0
		.amdhsa_memory_ordered 1
		.amdhsa_forward_progress 1
		.amdhsa_inst_pref_size 24
		.amdhsa_round_robin_scheduling 0
		.amdhsa_exception_fp_ieee_invalid_op 0
		.amdhsa_exception_fp_denorm_src 0
		.amdhsa_exception_fp_ieee_div_zero 0
		.amdhsa_exception_fp_ieee_overflow 0
		.amdhsa_exception_fp_ieee_underflow 0
		.amdhsa_exception_fp_ieee_inexact 0
		.amdhsa_exception_int_div_zero 0
	.end_amdhsa_kernel
	.section	.text._ZL29rocblas_internal_gemmt_kernelIiLi16ELi32ELi8ELc78ELc78ELc76ELb0ELb0E19rocblas_complex_numIdES1_PKPKS1_PKPS1_EviT_T9_T10_S9_lSB_S9_lSA_T11_S9_li,"axG",@progbits,_ZL29rocblas_internal_gemmt_kernelIiLi16ELi32ELi8ELc78ELc78ELc76ELb0ELb0E19rocblas_complex_numIdES1_PKPKS1_PKPS1_EviT_T9_T10_S9_lSB_S9_lSA_T11_S9_li,comdat
.Lfunc_end423:
	.size	_ZL29rocblas_internal_gemmt_kernelIiLi16ELi32ELi8ELc78ELc78ELc76ELb0ELb0E19rocblas_complex_numIdES1_PKPKS1_PKPS1_EviT_T9_T10_S9_lSB_S9_lSA_T11_S9_li, .Lfunc_end423-_ZL29rocblas_internal_gemmt_kernelIiLi16ELi32ELi8ELc78ELc78ELc76ELb0ELb0E19rocblas_complex_numIdES1_PKPKS1_PKPS1_EviT_T9_T10_S9_lSB_S9_lSA_T11_S9_li
                                        ; -- End function
	.set _ZL29rocblas_internal_gemmt_kernelIiLi16ELi32ELi8ELc78ELc78ELc76ELb0ELb0E19rocblas_complex_numIdES1_PKPKS1_PKPS1_EviT_T9_T10_S9_lSB_S9_lSA_T11_S9_li.num_vgpr, 132
	.set _ZL29rocblas_internal_gemmt_kernelIiLi16ELi32ELi8ELc78ELc78ELc76ELb0ELb0E19rocblas_complex_numIdES1_PKPKS1_PKPS1_EviT_T9_T10_S9_lSB_S9_lSA_T11_S9_li.num_agpr, 0
	.set _ZL29rocblas_internal_gemmt_kernelIiLi16ELi32ELi8ELc78ELc78ELc76ELb0ELb0E19rocblas_complex_numIdES1_PKPKS1_PKPS1_EviT_T9_T10_S9_lSB_S9_lSA_T11_S9_li.numbered_sgpr, 41
	.set _ZL29rocblas_internal_gemmt_kernelIiLi16ELi32ELi8ELc78ELc78ELc76ELb0ELb0E19rocblas_complex_numIdES1_PKPKS1_PKPS1_EviT_T9_T10_S9_lSB_S9_lSA_T11_S9_li.num_named_barrier, 0
	.set _ZL29rocblas_internal_gemmt_kernelIiLi16ELi32ELi8ELc78ELc78ELc76ELb0ELb0E19rocblas_complex_numIdES1_PKPKS1_PKPS1_EviT_T9_T10_S9_lSB_S9_lSA_T11_S9_li.private_seg_size, 0
	.set _ZL29rocblas_internal_gemmt_kernelIiLi16ELi32ELi8ELc78ELc78ELc76ELb0ELb0E19rocblas_complex_numIdES1_PKPKS1_PKPS1_EviT_T9_T10_S9_lSB_S9_lSA_T11_S9_li.uses_vcc, 1
	.set _ZL29rocblas_internal_gemmt_kernelIiLi16ELi32ELi8ELc78ELc78ELc76ELb0ELb0E19rocblas_complex_numIdES1_PKPKS1_PKPS1_EviT_T9_T10_S9_lSB_S9_lSA_T11_S9_li.uses_flat_scratch, 0
	.set _ZL29rocblas_internal_gemmt_kernelIiLi16ELi32ELi8ELc78ELc78ELc76ELb0ELb0E19rocblas_complex_numIdES1_PKPKS1_PKPS1_EviT_T9_T10_S9_lSB_S9_lSA_T11_S9_li.has_dyn_sized_stack, 0
	.set _ZL29rocblas_internal_gemmt_kernelIiLi16ELi32ELi8ELc78ELc78ELc76ELb0ELb0E19rocblas_complex_numIdES1_PKPKS1_PKPS1_EviT_T9_T10_S9_lSB_S9_lSA_T11_S9_li.has_recursion, 0
	.set _ZL29rocblas_internal_gemmt_kernelIiLi16ELi32ELi8ELc78ELc78ELc76ELb0ELb0E19rocblas_complex_numIdES1_PKPKS1_PKPS1_EviT_T9_T10_S9_lSB_S9_lSA_T11_S9_li.has_indirect_call, 0
	.section	.AMDGPU.csdata,"",@progbits
; Kernel info:
; codeLenInByte = 2980
; TotalNumSgprs: 43
; NumVgprs: 132
; ScratchSize: 0
; MemoryBound: 0
; FloatMode: 240
; IeeeMode: 1
; LDSByteSize: 8192 bytes/workgroup (compile time only)
; SGPRBlocks: 0
; VGPRBlocks: 8
; NumSGPRsForWavesPerEU: 43
; NumVGPRsForWavesPerEU: 132
; NamedBarCnt: 0
; Occupancy: 7
; WaveLimiterHint : 1
; COMPUTE_PGM_RSRC2:SCRATCH_EN: 0
; COMPUTE_PGM_RSRC2:USER_SGPR: 2
; COMPUTE_PGM_RSRC2:TRAP_HANDLER: 0
; COMPUTE_PGM_RSRC2:TGID_X_EN: 1
; COMPUTE_PGM_RSRC2:TGID_Y_EN: 1
; COMPUTE_PGM_RSRC2:TGID_Z_EN: 1
; COMPUTE_PGM_RSRC2:TIDIG_COMP_CNT: 1
	.section	.text._ZL29rocblas_internal_gemmt_kernelIiLi16ELi32ELi8ELc78ELc84ELc76ELb0ELb0E19rocblas_complex_numIdES1_PKPKS1_PKPS1_EviT_T9_T10_S9_lSB_S9_lSA_T11_S9_li,"axG",@progbits,_ZL29rocblas_internal_gemmt_kernelIiLi16ELi32ELi8ELc78ELc84ELc76ELb0ELb0E19rocblas_complex_numIdES1_PKPKS1_PKPS1_EviT_T9_T10_S9_lSB_S9_lSA_T11_S9_li,comdat
	.globl	_ZL29rocblas_internal_gemmt_kernelIiLi16ELi32ELi8ELc78ELc84ELc76ELb0ELb0E19rocblas_complex_numIdES1_PKPKS1_PKPS1_EviT_T9_T10_S9_lSB_S9_lSA_T11_S9_li ; -- Begin function _ZL29rocblas_internal_gemmt_kernelIiLi16ELi32ELi8ELc78ELc84ELc76ELb0ELb0E19rocblas_complex_numIdES1_PKPKS1_PKPS1_EviT_T9_T10_S9_lSB_S9_lSA_T11_S9_li
	.p2align	8
	.type	_ZL29rocblas_internal_gemmt_kernelIiLi16ELi32ELi8ELc78ELc84ELc76ELb0ELb0E19rocblas_complex_numIdES1_PKPKS1_PKPS1_EviT_T9_T10_S9_lSB_S9_lSA_T11_S9_li,@function
_ZL29rocblas_internal_gemmt_kernelIiLi16ELi32ELi8ELc78ELc84ELc76ELb0ELb0E19rocblas_complex_numIdES1_PKPKS1_PKPS1_EviT_T9_T10_S9_lSB_S9_lSA_T11_S9_li: ; @_ZL29rocblas_internal_gemmt_kernelIiLi16ELi32ELi8ELc78ELc84ELc76ELb0ELb0E19rocblas_complex_numIdES1_PKPKS1_PKPS1_EviT_T9_T10_S9_lSB_S9_lSA_T11_S9_li
; %bb.0:
	s_clause 0x2
	s_load_b256 s[8:15], s[0:1], 0x40
	s_load_b64 s[4:5], s[0:1], 0x0
	s_load_b128 s[16:19], s[0:1], 0x8
	s_wait_kmcnt 0x0
	v_cmp_eq_f64_e64 s2, s[10:11], 1.0
	v_cmp_eq_f64_e64 s34, s[12:13], 0
	s_and_b32 s2, s2, s34
	s_delay_alu instid0(SALU_CYCLE_1)
	s_and_not1_b32 vcc_lo, exec_lo, s2
	s_mov_b32 s2, -1
	s_cbranch_vccnz .LBB424_3
; %bb.1:
	s_cmp_lg_u32 s5, 0
	s_cbranch_scc0 .LBB424_38
; %bb.2:
	v_cmp_neq_f64_e64 s2, s[16:17], 0
	v_cmp_neq_f64_e64 s3, s[18:19], 0
	s_or_b32 s2, s2, s3
.LBB424_3:
	s_delay_alu instid0(SALU_CYCLE_1)
	s_and_b32 vcc_lo, exec_lo, s2
	s_cbranch_vccz .LBB424_39
; %bb.4:
	s_load_b32 s33, s[0:1], 0x70
	s_bfe_u32 s2, ttmp6, 0x40014
	s_lshr_b32 s3, ttmp7, 16
	s_add_co_i32 s2, s2, 1
	s_bfe_u32 s6, ttmp6, 0x40008
	s_mul_i32 s2, s3, s2
	s_getreg_b32 s35, hwreg(HW_REG_IB_STS2, 6, 4)
	s_add_co_i32 s6, s6, s2
	s_cmp_eq_u32 s35, 0
	s_mov_b32 s7, 0
	s_cselect_b32 s6, s3, s6
	s_wait_kmcnt 0x0
	s_cmp_ge_u32 s6, s33
	s_cbranch_scc1 .LBB424_39
; %bb.5:
	s_clause 0x4
	s_load_b96 s[24:26], s[0:1], 0x18
	s_load_b32 s28, s[0:1], 0x38
	s_load_b32 s2, s[0:1], 0x60
	s_load_b128 s[20:23], s[0:1], 0x28
	s_load_b64 s[30:31], s[0:1], 0x68
	s_wait_xcnt 0x0
	s_bfe_u32 s1, ttmp6, 0x4000c
	s_bfe_u32 s38, ttmp6, 0x40010
	v_and_b32_e32 v1, 0x3ff, v0
	v_bfe_u32 v3, v0, 10, 10
	s_add_co_i32 s1, s1, 1
	s_and_b32 s39, ttmp7, 0xffff
	s_add_co_i32 s38, s38, 1
	s_and_b32 s0, ttmp6, 15
	s_mul_i32 s1, ttmp9, s1
	s_mul_i32 s38, s39, s38
	s_bfe_u32 s40, ttmp6, 0x40004
	v_and_b32_e32 v6, 7, v0
	v_lshl_add_u32 v0, v3, 4, v1
	s_add_co_i32 s0, s0, s1
	s_add_co_i32 s40, s40, s38
	v_cmp_neq_f64_e64 s36, s[16:17], 0
	s_wait_kmcnt 0x0
	s_ashr_i32 s27, s26, 31
	s_ashr_i32 s29, s28, 31
	;; [unrolled: 1-line block ×3, first 2 shown]
	s_cmp_eq_u32 s35, 0
	v_lshrrev_b32_e32 v8, 5, v0
	s_cselect_b32 s0, ttmp9, s0
	v_dual_lshrrev_b32 v5, 3, v0 :: v_dual_bitop2_b32 v10, 31, v0 bitop3:0x40
	s_cselect_b32 s1, s39, s40
	s_lshl_b32 s35, s0, 5
	v_mov_b32_e32 v0, 0
	s_lshl_b32 s0, s1, 5
	v_cmp_neq_f64_e64 s37, s[18:19], 0
	v_dual_add_nc_u32 v20, s0, v3 :: v_dual_bitop2_b32 v2, s35, v10 bitop3:0x54
	s_delay_alu instid0(VALU_DEP_3) | instskip(SKIP_2) | instid1(VALU_DEP_4)
	v_dual_mov_b32 v9, v0 :: v_dual_add_nc_u32 v4, s0, v5
	v_mov_b32_e32 v7, v0
	v_cmp_neq_f64_e64 s38, s[10:11], 0
	v_cmp_gt_i32_e32 vcc_lo, s4, v2
	s_delay_alu instid0(VALU_DEP_4) | instskip(SKIP_4) | instid1(VALU_DEP_4)
	v_mul_u64_e32 v[18:19], s[26:27], v[8:9]
	v_lshlrev_b32_e32 v9, 4, v10
	v_lshlrev_b32_e32 v10, 4, v6
	v_mul_u64_e32 v[22:23], s[28:29], v[6:7]
	v_dual_add_nc_u32 v24, 16, v20 :: v_dual_ashrrev_i32 v21, 31, v20
	v_lshl_or_b32 v7, v8, 9, v9
	s_delay_alu instid0(VALU_DEP_4) | instskip(NEXT) | instid1(VALU_DEP_3)
	v_lshl_or_b32 v5, v5, 7, v10
	v_dual_add_nc_u32 v10, s35, v1 :: v_dual_ashrrev_i32 v25, 31, v24
	s_delay_alu instid0(VALU_DEP_4) | instskip(SKIP_1) | instid1(VALU_DEP_4)
	v_mul_u64_e32 v[12:13], s[2:3], v[20:21]
	v_cmp_gt_i32_e64 s0, s4, v4
	v_add_nc_u32_e32 v9, 0x1000, v5
	s_delay_alu instid0(VALU_DEP_4)
	v_dual_ashrrev_i32 v5, 31, v4 :: v_dual_add_nc_u32 v14, 16, v10
	v_mul_u64_e32 v[16:17], s[2:3], v[24:25]
	v_cmp_le_i32_e64 s1, v20, v10
	v_cmp_gt_i32_e64 s2, s4, v10
	v_lshl_add_u32 v43, v3, 7, 0x1000
	v_cmp_le_i32_e64 s3, v20, v14
	v_cmp_gt_i32_e64 s4, s4, v14
	v_dual_ashrrev_i32 v3, 31, v2 :: v_dual_lshlrev_b32 v42, 4, v1
	v_ashrrev_i32_e32 v11, 31, v10
	s_or_b32 s37, s36, s37
	s_cmp_gt_i32 s5, 0
	v_ashrrev_i32_e32 v15, 31, v14
	s_cselect_b32 s39, -1, 0
	s_lshl_b64 s[20:21], s[20:21], 4
	s_lshl_b64 s[8:9], s[8:9], 4
	s_and_b32 s35, s1, s2
	s_and_b32 s36, s3, s4
	v_lshl_add_u64 v[18:19], v[18:19], 4, s[20:21]
	v_cmp_le_i32_e64 s1, v24, v10
	v_cmp_le_i32_e64 s3, v24, v14
	v_lshl_add_u64 v[20:21], v[22:23], 4, s[8:9]
	s_xor_b32 s34, s34, -1
	v_lshl_add_u64 v[18:19], v[2:3], 4, v[18:19]
	s_or_b32 s34, s38, s34
	s_and_b32 s20, s1, s2
	v_lshl_add_u64 v[20:21], v[4:5], 4, v[20:21]
	s_and_b32 s4, s3, s4
	s_lshl_b64 s[2:3], s[26:27], 7
	s_lshl_b64 s[8:9], s[28:29], 7
	s_and_b32 s21, s37, s39
	s_xor_b32 s26, vcc_lo, -1
	s_xor_b32 s27, s0, -1
	s_lshl_b64 s[0:1], s[30:31], 4
	s_branch .LBB424_7
.LBB424_6:                              ;   in Loop: Header=BB424_7 Depth=1
	s_wait_xcnt 0x0
	s_or_b32 exec_lo, exec_lo, s28
	s_add_co_i32 s6, s6, 0x10000
	s_delay_alu instid0(SALU_CYCLE_1)
	s_cmp_lt_u32 s6, s33
	s_cbranch_scc0 .LBB424_39
.LBB424_7:                              ; =>This Loop Header: Depth=1
                                        ;     Child Loop BB424_10 Depth 2
	v_mov_b32_e32 v1, s6
	v_mov_b64_e32 v[38:39], 0
	v_mov_b64_e32 v[40:41], 0
	;; [unrolled: 1-line block ×4, first 2 shown]
	global_load_b64 v[4:5], v1, s[14:15] scale_offset
	v_mov_b64_e32 v[26:27], 0
	v_mov_b64_e32 v[28:29], 0
	;; [unrolled: 1-line block ×4, first 2 shown]
	s_and_not1_b32 vcc_lo, exec_lo, s21
	s_cbranch_vccnz .LBB424_18
; %bb.8:                                ;   in Loop: Header=BB424_7 Depth=1
	s_lshl_b64 s[28:29], s[6:7], 3
	v_mov_b64_e32 v[24:25], 0
	s_add_nc_u64 s[30:31], s[24:25], s[28:29]
	s_add_nc_u64 s[28:29], s[22:23], s[28:29]
	s_clause 0x1
	global_load_b64 v[2:3], v0, s[30:31]
	global_load_b64 v[32:33], v0, s[28:29]
	v_mov_b64_e32 v[22:23], 0
	v_mov_b64_e32 v[28:29], 0
	;; [unrolled: 1-line block ×7, first 2 shown]
	s_wait_xcnt 0x0
	s_mov_b32 s28, 0
	s_wait_loadcnt 0x1
	v_add_nc_u64_e32 v[30:31], v[2:3], v[18:19]
	s_wait_loadcnt 0x0
	v_add_nc_u64_e32 v[32:33], v[32:33], v[20:21]
	s_branch .LBB424_10
.LBB424_9:                              ;   in Loop: Header=BB424_10 Depth=2
	s_wait_xcnt 0x0
	s_or_b32 exec_lo, exec_lo, s29
	s_wait_dscnt 0x0
	s_barrier_signal -1
	s_barrier_wait -1
	ds_load_b128 v[44:47], v43
	ds_load_b128 v[48:51], v42
	ds_load_b128 v[52:55], v42 offset:256
	ds_load_b128 v[56:59], v43 offset:2048
	;; [unrolled: 1-line block ×10, first 2 shown]
	v_add_nc_u64_e32 v[30:31], s[2:3], v[30:31]
	v_add_nc_u64_e32 v[32:33], s[8:9], v[32:33]
	s_add_co_i32 s28, s28, 8
	s_delay_alu instid0(SALU_CYCLE_1)
	s_cmp_lt_i32 s28, s5
	s_wait_dscnt 0xa
	v_mul_f64_e32 v[2:3], v[46:47], v[50:51]
	v_mul_f64_e32 v[92:93], v[44:45], v[50:51]
	s_wait_dscnt 0x9
	v_mul_f64_e32 v[94:95], v[46:47], v[54:55]
	v_mul_f64_e32 v[96:97], v[44:45], v[54:55]
	s_wait_dscnt 0x8
	v_mul_f64_e32 v[98:99], v[58:59], v[50:51]
	v_mul_f64_e32 v[100:101], v[56:57], v[50:51]
	v_mul_f64_e32 v[50:51], v[58:59], v[54:55]
	v_mul_f64_e32 v[102:103], v[56:57], v[54:55]
	s_wait_dscnt 0x6
	v_mul_f64_e32 v[104:105], v[62:63], v[66:67]
	v_mul_f64_e32 v[106:107], v[60:61], v[66:67]
	s_wait_dscnt 0x5
	v_mul_f64_e32 v[108:109], v[62:63], v[70:71]
	v_mul_f64_e32 v[110:111], v[60:61], v[70:71]
	s_wait_dscnt 0x4
	v_mul_f64_e32 v[112:113], v[74:75], v[66:67]
	v_mul_f64_e32 v[66:67], v[72:73], v[66:67]
	v_mul_f64_e32 v[114:115], v[74:75], v[70:71]
	v_mul_f64_e32 v[70:71], v[72:73], v[70:71]
	;; [unrolled: 11-line block ×3, first 2 shown]
	v_fma_f64 v[2:3], v[44:45], v[48:49], -v[2:3]
	v_fmac_f64_e32 v[92:93], v[46:47], v[48:49]
	v_fma_f64 v[94:95], v[44:45], v[52:53], -v[94:95]
	v_fmac_f64_e32 v[96:97], v[46:47], v[52:53]
	;; [unrolled: 2-line block ×8, first 2 shown]
	ds_load_b128 v[44:47], v43 offset:48
	ds_load_b128 v[48:51], v43 offset:2096
	;; [unrolled: 1-line block ×4, first 2 shown]
	v_fma_f64 v[118:119], v[76:77], v[80:81], -v[118:119]
	v_fmac_f64_e32 v[120:121], v[78:79], v[80:81]
	v_fma_f64 v[76:77], v[76:77], v[84:85], -v[122:123]
	v_fmac_f64_e32 v[124:125], v[78:79], v[84:85]
	;; [unrolled: 2-line block ×4, first 2 shown]
	v_add_f64_e32 v[2:3], v[38:39], v[2:3]
	v_add_f64_e32 v[68:69], v[92:93], v[40:41]
	;; [unrolled: 1-line block ×8, first 2 shown]
	s_wait_dscnt 0x1
	v_mul_f64_e32 v[100:101], v[46:47], v[54:55]
	v_mul_f64_e32 v[102:103], v[44:45], v[54:55]
	s_wait_dscnt 0x0
	v_mul_f64_e32 v[108:109], v[46:47], v[58:59]
	v_mul_f64_e32 v[112:113], v[44:45], v[58:59]
	;; [unrolled: 1-line block ×6, first 2 shown]
	ds_load_b128 v[22:25], v43 offset:64
	ds_load_b128 v[26:29], v42 offset:2048
	;; [unrolled: 1-line block ×4, first 2 shown]
	v_add_f64_e32 v[2:3], v[2:3], v[104:105]
	v_add_f64_e32 v[84:85], v[106:107], v[68:69]
	;; [unrolled: 1-line block ×8, first 2 shown]
	s_wait_dscnt 0x2
	v_mul_f64_e32 v[98:99], v[24:25], v[28:29]
	v_mul_f64_e32 v[104:105], v[22:23], v[28:29]
	s_wait_dscnt 0x1
	v_mul_f64_e32 v[106:107], v[24:25], v[36:37]
	v_mul_f64_e32 v[110:111], v[22:23], v[36:37]
	s_wait_dscnt 0x0
	v_mul_f64_e32 v[122:123], v[40:41], v[28:29]
	v_mul_f64_e32 v[126:127], v[38:39], v[28:29]
	v_mul_f64_e32 v[28:29], v[40:41], v[36:37]
	v_mul_f64_e32 v[128:129], v[38:39], v[36:37]
	v_fma_f64 v[36:37], v[44:45], v[52:53], -v[100:101]
	v_fmac_f64_e32 v[102:103], v[46:47], v[52:53]
	v_fma_f64 v[100:101], v[44:45], v[56:57], -v[108:109]
	v_fmac_f64_e32 v[112:113], v[46:47], v[56:57]
	;; [unrolled: 2-line block ×4, first 2 shown]
	ds_load_b128 v[58:61], v43 offset:80
	ds_load_b128 v[62:65], v43 offset:2128
	;; [unrolled: 1-line block ×4, first 2 shown]
	v_add_f64_e32 v[2:3], v[2:3], v[118:119]
	v_add_f64_e32 v[56:57], v[120:121], v[84:85]
	;; [unrolled: 1-line block ×8, first 2 shown]
	v_fma_f64 v[98:99], v[22:23], v[26:27], -v[98:99]
	v_fmac_f64_e32 v[104:105], v[24:25], v[26:27]
	v_fma_f64 v[106:107], v[22:23], v[34:35], -v[106:107]
	s_wait_dscnt 0x1
	v_mul_f64_e32 v[90:91], v[60:61], v[68:69]
	v_mul_f64_e32 v[92:93], v[58:59], v[68:69]
	s_wait_dscnt 0x0
	v_mul_f64_e32 v[94:95], v[60:61], v[72:73]
	v_mul_f64_e32 v[96:97], v[58:59], v[72:73]
	;; [unrolled: 1-line block ×6, first 2 shown]
	v_fmac_f64_e32 v[110:111], v[24:25], v[34:35]
	v_fma_f64 v[122:123], v[38:39], v[26:27], -v[122:123]
	v_fmac_f64_e32 v[126:127], v[40:41], v[26:27]
	v_fma_f64 v[124:125], v[38:39], v[34:35], -v[28:29]
	v_fmac_f64_e32 v[128:129], v[40:41], v[34:35]
	ds_load_b128 v[44:47], v43 offset:96
	ds_load_b128 v[48:51], v42 offset:3072
	;; [unrolled: 1-line block ×4, first 2 shown]
	v_add_f64_e32 v[2:3], v[2:3], v[36:37]
	v_add_f64_e32 v[56:57], v[102:103], v[56:57]
	;; [unrolled: 1-line block ×8, first 2 shown]
	ds_load_b128 v[22:25], v43 offset:112
	ds_load_b128 v[26:29], v43 offset:2160
	;; [unrolled: 1-line block ×4, first 2 shown]
	s_wait_dscnt 0x0
	v_mul_f64_e32 v[100:101], v[46:47], v[50:51]
	v_mul_f64_e32 v[102:103], v[44:45], v[50:51]
	;; [unrolled: 1-line block ×8, first 2 shown]
	v_fma_f64 v[90:91], v[58:59], v[66:67], -v[90:91]
	v_fmac_f64_e32 v[92:93], v[60:61], v[66:67]
	v_fma_f64 v[58:59], v[58:59], v[70:71], -v[94:95]
	v_fmac_f64_e32 v[96:97], v[60:61], v[70:71]
	;; [unrolled: 2-line block ×4, first 2 shown]
	s_barrier_signal -1
	s_barrier_wait -1
	v_mul_f64_e32 v[94:95], v[22:23], v[40:41]
	v_add_f64_e32 v[2:3], v[2:3], v[98:99]
	v_add_f64_e32 v[56:57], v[104:105], v[56:57]
	v_add_f64_e32 v[64:65], v[84:85], v[106:107]
	v_add_f64_e32 v[66:67], v[110:111], v[88:89]
	v_add_f64_e32 v[70:71], v[78:79], v[122:123]
	v_add_f64_e32 v[78:79], v[126:127], v[82:83]
	v_add_f64_e32 v[80:81], v[80:81], v[124:125]
	v_add_f64_e32 v[82:83], v[128:129], v[86:87]
	v_mul_f64_e32 v[84:85], v[24:25], v[36:37]
	v_mul_f64_e32 v[86:87], v[22:23], v[36:37]
	;; [unrolled: 1-line block ×7, first 2 shown]
	v_fma_f64 v[40:41], v[44:45], v[48:49], -v[100:101]
	v_fmac_f64_e32 v[102:103], v[46:47], v[48:49]
	v_fma_f64 v[44:45], v[44:45], v[52:53], -v[108:109]
	v_fmac_f64_e32 v[112:113], v[46:47], v[52:53]
	;; [unrolled: 2-line block ×4, first 2 shown]
	v_fmac_f64_e32 v[94:95], v[24:25], v[38:39]
	v_add_f64_e32 v[2:3], v[2:3], v[90:91]
	v_add_f64_e32 v[52:53], v[92:93], v[56:57]
	v_add_f64_e32 v[56:57], v[64:65], v[58:59]
	v_add_f64_e32 v[58:59], v[96:97], v[66:67]
	v_add_f64_e32 v[60:61], v[70:71], v[60:61]
	v_add_f64_e32 v[64:65], v[68:69], v[78:79]
	v_add_f64_e32 v[62:63], v[80:81], v[62:63]
	v_add_f64_e32 v[66:67], v[72:73], v[82:83]
	v_fma_f64 v[68:69], v[22:23], v[34:35], -v[84:85]
	v_fmac_f64_e32 v[86:87], v[24:25], v[34:35]
	v_fma_f64 v[22:23], v[22:23], v[38:39], -v[88:89]
	v_fma_f64 v[24:25], v[26:27], v[34:35], -v[98:99]
	v_fmac_f64_e32 v[104:105], v[28:29], v[34:35]
	v_fma_f64 v[70:71], v[26:27], v[38:39], -v[36:37]
	v_fmac_f64_e32 v[106:107], v[28:29], v[38:39]
	v_add_f64_e32 v[2:3], v[2:3], v[40:41]
	v_add_f64_e32 v[26:27], v[102:103], v[52:53]
	;; [unrolled: 1-line block ×16, first 2 shown]
	s_cbranch_scc0 .LBB424_18
.LBB424_10:                             ;   Parent Loop BB424_7 Depth=1
                                        ; =>  This Inner Loop Header: Depth=2
	v_add_nc_u32_e32 v1, s28, v8
	s_delay_alu instid0(VALU_DEP_1) | instskip(SKIP_1) | instid1(SALU_CYCLE_1)
	v_cmp_le_i32_e32 vcc_lo, s5, v1
	s_or_b32 s29, s26, vcc_lo
	s_and_saveexec_b32 s30, s29
	s_delay_alu instid0(SALU_CYCLE_1)
	s_xor_b32 s29, exec_lo, s30
; %bb.11:                               ;   in Loop: Header=BB424_10 Depth=2
	v_dual_mov_b32 v1, v0 :: v_dual_mov_b32 v2, v0
	v_mov_b32_e32 v3, v0
	ds_store_b128 v7, v[0:3]
; %bb.12:                               ;   in Loop: Header=BB424_10 Depth=2
	s_and_not1_saveexec_b32 s29, s29
	s_cbranch_execz .LBB424_14
; %bb.13:                               ;   in Loop: Header=BB424_10 Depth=2
	flat_load_b128 v[44:47], v[30:31]
	s_wait_loadcnt_dscnt 0x0
	ds_store_2addr_b64 v7, v[44:45], v[46:47] offset1:1
.LBB424_14:                             ;   in Loop: Header=BB424_10 Depth=2
	s_wait_xcnt 0x0
	s_or_b32 exec_lo, exec_lo, s29
	v_add_nc_u32_e32 v1, s28, v6
	s_delay_alu instid0(VALU_DEP_1) | instskip(SKIP_1) | instid1(SALU_CYCLE_1)
	v_cmp_le_i32_e32 vcc_lo, s5, v1
	s_or_b32 s29, vcc_lo, s27
	s_and_saveexec_b32 s30, s29
	s_delay_alu instid0(SALU_CYCLE_1)
	s_xor_b32 s29, exec_lo, s30
; %bb.15:                               ;   in Loop: Header=BB424_10 Depth=2
	v_dual_mov_b32 v1, v0 :: v_dual_mov_b32 v2, v0
	v_mov_b32_e32 v3, v0
	ds_store_b128 v9, v[0:3]
; %bb.16:                               ;   in Loop: Header=BB424_10 Depth=2
	s_and_not1_saveexec_b32 s29, s29
	s_cbranch_execz .LBB424_9
; %bb.17:                               ;   in Loop: Header=BB424_10 Depth=2
	flat_load_b128 v[44:47], v[32:33]
	s_wait_loadcnt_dscnt 0x0
	ds_store_2addr_b64 v9, v[44:45], v[46:47] offset1:1
	s_branch .LBB424_9
.LBB424_18:                             ;   in Loop: Header=BB424_7 Depth=1
	s_wait_loadcnt 0x0
	v_add_nc_u64_e32 v[30:31], s[0:1], v[4:5]
	s_delay_alu instid0(VALU_DEP_1)
	v_lshl_add_u64 v[32:33], v[12:13], 4, v[30:31]
	s_wait_xcnt 0x0
	s_and_saveexec_b32 s28, s35
	s_cbranch_execz .LBB424_23
; %bb.19:                               ;   in Loop: Header=BB424_7 Depth=1
	v_mul_f64_e32 v[2:3], s[18:19], v[40:41]
	v_mul_f64_e32 v[4:5], s[16:17], v[40:41]
	s_and_b32 vcc_lo, exec_lo, s34
	s_mov_b32 s29, -1
	s_delay_alu instid0(VALU_DEP_2) | instskip(NEXT) | instid1(VALU_DEP_2)
	v_fma_f64 v[2:3], s[16:17], v[38:39], -v[2:3]
	v_fmac_f64_e32 v[4:5], s[18:19], v[38:39]
	v_lshl_add_u64 v[38:39], v[10:11], 4, v[32:33]
	s_cbranch_vccz .LBB424_21
; %bb.20:                               ;   in Loop: Header=BB424_7 Depth=1
	flat_load_b128 v[44:47], v[38:39]
	s_mov_b32 s29, 0
	s_wait_loadcnt_dscnt 0x0
	v_mul_f64_e32 v[40:41], s[12:13], v[46:47]
	v_mul_f64_e32 v[46:47], s[10:11], v[46:47]
	s_delay_alu instid0(VALU_DEP_2) | instskip(NEXT) | instid1(VALU_DEP_2)
	v_fma_f64 v[40:41], s[10:11], v[44:45], -v[40:41]
	v_fmac_f64_e32 v[46:47], s[12:13], v[44:45]
	s_delay_alu instid0(VALU_DEP_2) | instskip(NEXT) | instid1(VALU_DEP_2)
	v_add_f64_e32 v[44:45], v[2:3], v[40:41]
	v_add_f64_e32 v[46:47], v[4:5], v[46:47]
	flat_store_b128 v[38:39], v[44:47]
.LBB424_21:                             ;   in Loop: Header=BB424_7 Depth=1
	s_and_not1_b32 vcc_lo, exec_lo, s29
	s_cbranch_vccnz .LBB424_23
; %bb.22:                               ;   in Loop: Header=BB424_7 Depth=1
	flat_store_b128 v[38:39], v[2:5]
.LBB424_23:                             ;   in Loop: Header=BB424_7 Depth=1
	s_wait_xcnt 0x0
	s_or_b32 exec_lo, exec_lo, s28
	s_and_saveexec_b32 s28, s36
	s_cbranch_execz .LBB424_28
; %bb.24:                               ;   in Loop: Header=BB424_7 Depth=1
	v_mul_f64_e32 v[2:3], s[18:19], v[36:37]
	v_mul_f64_e32 v[4:5], s[16:17], v[36:37]
	v_lshl_add_u64 v[32:33], v[14:15], 4, v[32:33]
	s_and_not1_b32 vcc_lo, exec_lo, s34
	s_mov_b32 s29, -1
	s_delay_alu instid0(VALU_DEP_3) | instskip(NEXT) | instid1(VALU_DEP_3)
	v_fma_f64 v[2:3], s[16:17], v[34:35], -v[2:3]
	v_fmac_f64_e32 v[4:5], s[18:19], v[34:35]
	s_cbranch_vccnz .LBB424_26
; %bb.25:                               ;   in Loop: Header=BB424_7 Depth=1
	flat_load_b128 v[34:37], v[32:33]
	s_mov_b32 s29, 0
	s_wait_loadcnt_dscnt 0x0
	v_mul_f64_e32 v[38:39], s[12:13], v[36:37]
	v_mul_f64_e32 v[36:37], s[10:11], v[36:37]
	s_delay_alu instid0(VALU_DEP_2) | instskip(NEXT) | instid1(VALU_DEP_2)
	v_fma_f64 v[38:39], s[10:11], v[34:35], -v[38:39]
	v_fmac_f64_e32 v[36:37], s[12:13], v[34:35]
	s_delay_alu instid0(VALU_DEP_2) | instskip(NEXT) | instid1(VALU_DEP_2)
	v_add_f64_e32 v[34:35], v[2:3], v[38:39]
	v_add_f64_e32 v[36:37], v[4:5], v[36:37]
	flat_store_b128 v[32:33], v[34:37]
.LBB424_26:                             ;   in Loop: Header=BB424_7 Depth=1
	s_and_not1_b32 vcc_lo, exec_lo, s29
	s_cbranch_vccnz .LBB424_28
; %bb.27:                               ;   in Loop: Header=BB424_7 Depth=1
	flat_store_b128 v[32:33], v[2:5]
.LBB424_28:                             ;   in Loop: Header=BB424_7 Depth=1
	s_wait_xcnt 0x0
	s_or_b32 exec_lo, exec_lo, s28
	v_lshl_add_u64 v[30:31], v[16:17], 4, v[30:31]
	s_and_saveexec_b32 s28, s20
	s_cbranch_execz .LBB424_33
; %bb.29:                               ;   in Loop: Header=BB424_7 Depth=1
	v_mul_f64_e32 v[2:3], s[18:19], v[28:29]
	v_mul_f64_e32 v[4:5], s[16:17], v[28:29]
	s_and_not1_b32 vcc_lo, exec_lo, s34
	s_mov_b32 s29, -1
	s_delay_alu instid0(VALU_DEP_2) | instskip(NEXT) | instid1(VALU_DEP_2)
	v_fma_f64 v[2:3], s[16:17], v[26:27], -v[2:3]
	v_fmac_f64_e32 v[4:5], s[18:19], v[26:27]
	v_lshl_add_u64 v[26:27], v[10:11], 4, v[30:31]
	s_cbranch_vccnz .LBB424_31
; %bb.30:                               ;   in Loop: Header=BB424_7 Depth=1
	flat_load_b128 v[32:35], v[26:27]
	s_mov_b32 s29, 0
	s_wait_loadcnt_dscnt 0x0
	v_mul_f64_e32 v[28:29], s[12:13], v[34:35]
	v_mul_f64_e32 v[34:35], s[10:11], v[34:35]
	s_delay_alu instid0(VALU_DEP_2) | instskip(NEXT) | instid1(VALU_DEP_2)
	v_fma_f64 v[28:29], s[10:11], v[32:33], -v[28:29]
	v_fmac_f64_e32 v[34:35], s[12:13], v[32:33]
	s_delay_alu instid0(VALU_DEP_2) | instskip(NEXT) | instid1(VALU_DEP_2)
	v_add_f64_e32 v[32:33], v[2:3], v[28:29]
	v_add_f64_e32 v[34:35], v[4:5], v[34:35]
	flat_store_b128 v[26:27], v[32:35]
.LBB424_31:                             ;   in Loop: Header=BB424_7 Depth=1
	s_and_not1_b32 vcc_lo, exec_lo, s29
	s_cbranch_vccnz .LBB424_33
; %bb.32:                               ;   in Loop: Header=BB424_7 Depth=1
	flat_store_b128 v[26:27], v[2:5]
.LBB424_33:                             ;   in Loop: Header=BB424_7 Depth=1
	s_wait_xcnt 0x0
	s_or_b32 exec_lo, exec_lo, s28
	s_and_saveexec_b32 s28, s4
	s_cbranch_execz .LBB424_6
; %bb.34:                               ;   in Loop: Header=BB424_7 Depth=1
	s_delay_alu instid0(VALU_DEP_4) | instskip(SKIP_3) | instid1(VALU_DEP_2)
	v_mul_f64_e32 v[2:3], s[18:19], v[24:25]
	v_mul_f64_e32 v[4:5], s[16:17], v[24:25]
	s_and_not1_b32 vcc_lo, exec_lo, s34
	s_mov_b32 s29, -1
	v_fma_f64 v[2:3], s[16:17], v[22:23], -v[2:3]
	s_delay_alu instid0(VALU_DEP_2)
	v_fmac_f64_e32 v[4:5], s[18:19], v[22:23]
	v_lshl_add_u64 v[22:23], v[14:15], 4, v[30:31]
	s_cbranch_vccnz .LBB424_36
; %bb.35:                               ;   in Loop: Header=BB424_7 Depth=1
	flat_load_b128 v[24:27], v[22:23]
	s_mov_b32 s29, 0
	s_wait_loadcnt_dscnt 0x0
	v_mul_f64_e32 v[28:29], s[12:13], v[26:27]
	v_mul_f64_e32 v[26:27], s[10:11], v[26:27]
	s_delay_alu instid0(VALU_DEP_2) | instskip(NEXT) | instid1(VALU_DEP_2)
	v_fma_f64 v[28:29], s[10:11], v[24:25], -v[28:29]
	v_fmac_f64_e32 v[26:27], s[12:13], v[24:25]
	s_delay_alu instid0(VALU_DEP_2) | instskip(NEXT) | instid1(VALU_DEP_2)
	v_add_f64_e32 v[24:25], v[2:3], v[28:29]
	v_add_f64_e32 v[26:27], v[4:5], v[26:27]
	flat_store_b128 v[22:23], v[24:27]
.LBB424_36:                             ;   in Loop: Header=BB424_7 Depth=1
	s_and_not1_b32 vcc_lo, exec_lo, s29
	s_cbranch_vccnz .LBB424_6
; %bb.37:                               ;   in Loop: Header=BB424_7 Depth=1
	flat_store_b128 v[22:23], v[2:5]
	s_branch .LBB424_6
.LBB424_38:
.LBB424_39:
	s_sendmsg sendmsg(MSG_DEALLOC_VGPRS)
	s_endpgm
	.section	.rodata,"a",@progbits
	.p2align	6, 0x0
	.amdhsa_kernel _ZL29rocblas_internal_gemmt_kernelIiLi16ELi32ELi8ELc78ELc84ELc76ELb0ELb0E19rocblas_complex_numIdES1_PKPKS1_PKPS1_EviT_T9_T10_S9_lSB_S9_lSA_T11_S9_li
		.amdhsa_group_segment_fixed_size 8192
		.amdhsa_private_segment_fixed_size 0
		.amdhsa_kernarg_size 116
		.amdhsa_user_sgpr_count 2
		.amdhsa_user_sgpr_dispatch_ptr 0
		.amdhsa_user_sgpr_queue_ptr 0
		.amdhsa_user_sgpr_kernarg_segment_ptr 1
		.amdhsa_user_sgpr_dispatch_id 0
		.amdhsa_user_sgpr_kernarg_preload_length 0
		.amdhsa_user_sgpr_kernarg_preload_offset 0
		.amdhsa_user_sgpr_private_segment_size 0
		.amdhsa_wavefront_size32 1
		.amdhsa_uses_dynamic_stack 0
		.amdhsa_enable_private_segment 0
		.amdhsa_system_sgpr_workgroup_id_x 1
		.amdhsa_system_sgpr_workgroup_id_y 1
		.amdhsa_system_sgpr_workgroup_id_z 1
		.amdhsa_system_sgpr_workgroup_info 0
		.amdhsa_system_vgpr_workitem_id 1
		.amdhsa_next_free_vgpr 132
		.amdhsa_next_free_sgpr 41
		.amdhsa_named_barrier_count 0
		.amdhsa_reserve_vcc 1
		.amdhsa_float_round_mode_32 0
		.amdhsa_float_round_mode_16_64 0
		.amdhsa_float_denorm_mode_32 3
		.amdhsa_float_denorm_mode_16_64 3
		.amdhsa_fp16_overflow 0
		.amdhsa_memory_ordered 1
		.amdhsa_forward_progress 1
		.amdhsa_inst_pref_size 24
		.amdhsa_round_robin_scheduling 0
		.amdhsa_exception_fp_ieee_invalid_op 0
		.amdhsa_exception_fp_denorm_src 0
		.amdhsa_exception_fp_ieee_div_zero 0
		.amdhsa_exception_fp_ieee_overflow 0
		.amdhsa_exception_fp_ieee_underflow 0
		.amdhsa_exception_fp_ieee_inexact 0
		.amdhsa_exception_int_div_zero 0
	.end_amdhsa_kernel
	.section	.text._ZL29rocblas_internal_gemmt_kernelIiLi16ELi32ELi8ELc78ELc84ELc76ELb0ELb0E19rocblas_complex_numIdES1_PKPKS1_PKPS1_EviT_T9_T10_S9_lSB_S9_lSA_T11_S9_li,"axG",@progbits,_ZL29rocblas_internal_gemmt_kernelIiLi16ELi32ELi8ELc78ELc84ELc76ELb0ELb0E19rocblas_complex_numIdES1_PKPKS1_PKPS1_EviT_T9_T10_S9_lSB_S9_lSA_T11_S9_li,comdat
.Lfunc_end424:
	.size	_ZL29rocblas_internal_gemmt_kernelIiLi16ELi32ELi8ELc78ELc84ELc76ELb0ELb0E19rocblas_complex_numIdES1_PKPKS1_PKPS1_EviT_T9_T10_S9_lSB_S9_lSA_T11_S9_li, .Lfunc_end424-_ZL29rocblas_internal_gemmt_kernelIiLi16ELi32ELi8ELc78ELc84ELc76ELb0ELb0E19rocblas_complex_numIdES1_PKPKS1_PKPS1_EviT_T9_T10_S9_lSB_S9_lSA_T11_S9_li
                                        ; -- End function
	.set _ZL29rocblas_internal_gemmt_kernelIiLi16ELi32ELi8ELc78ELc84ELc76ELb0ELb0E19rocblas_complex_numIdES1_PKPKS1_PKPS1_EviT_T9_T10_S9_lSB_S9_lSA_T11_S9_li.num_vgpr, 132
	.set _ZL29rocblas_internal_gemmt_kernelIiLi16ELi32ELi8ELc78ELc84ELc76ELb0ELb0E19rocblas_complex_numIdES1_PKPKS1_PKPS1_EviT_T9_T10_S9_lSB_S9_lSA_T11_S9_li.num_agpr, 0
	.set _ZL29rocblas_internal_gemmt_kernelIiLi16ELi32ELi8ELc78ELc84ELc76ELb0ELb0E19rocblas_complex_numIdES1_PKPKS1_PKPS1_EviT_T9_T10_S9_lSB_S9_lSA_T11_S9_li.numbered_sgpr, 41
	.set _ZL29rocblas_internal_gemmt_kernelIiLi16ELi32ELi8ELc78ELc84ELc76ELb0ELb0E19rocblas_complex_numIdES1_PKPKS1_PKPS1_EviT_T9_T10_S9_lSB_S9_lSA_T11_S9_li.num_named_barrier, 0
	.set _ZL29rocblas_internal_gemmt_kernelIiLi16ELi32ELi8ELc78ELc84ELc76ELb0ELb0E19rocblas_complex_numIdES1_PKPKS1_PKPS1_EviT_T9_T10_S9_lSB_S9_lSA_T11_S9_li.private_seg_size, 0
	.set _ZL29rocblas_internal_gemmt_kernelIiLi16ELi32ELi8ELc78ELc84ELc76ELb0ELb0E19rocblas_complex_numIdES1_PKPKS1_PKPS1_EviT_T9_T10_S9_lSB_S9_lSA_T11_S9_li.uses_vcc, 1
	.set _ZL29rocblas_internal_gemmt_kernelIiLi16ELi32ELi8ELc78ELc84ELc76ELb0ELb0E19rocblas_complex_numIdES1_PKPKS1_PKPS1_EviT_T9_T10_S9_lSB_S9_lSA_T11_S9_li.uses_flat_scratch, 0
	.set _ZL29rocblas_internal_gemmt_kernelIiLi16ELi32ELi8ELc78ELc84ELc76ELb0ELb0E19rocblas_complex_numIdES1_PKPKS1_PKPS1_EviT_T9_T10_S9_lSB_S9_lSA_T11_S9_li.has_dyn_sized_stack, 0
	.set _ZL29rocblas_internal_gemmt_kernelIiLi16ELi32ELi8ELc78ELc84ELc76ELb0ELb0E19rocblas_complex_numIdES1_PKPKS1_PKPS1_EviT_T9_T10_S9_lSB_S9_lSA_T11_S9_li.has_recursion, 0
	.set _ZL29rocblas_internal_gemmt_kernelIiLi16ELi32ELi8ELc78ELc84ELc76ELb0ELb0E19rocblas_complex_numIdES1_PKPKS1_PKPS1_EviT_T9_T10_S9_lSB_S9_lSA_T11_S9_li.has_indirect_call, 0
	.section	.AMDGPU.csdata,"",@progbits
; Kernel info:
; codeLenInByte = 2976
; TotalNumSgprs: 43
; NumVgprs: 132
; ScratchSize: 0
; MemoryBound: 0
; FloatMode: 240
; IeeeMode: 1
; LDSByteSize: 8192 bytes/workgroup (compile time only)
; SGPRBlocks: 0
; VGPRBlocks: 8
; NumSGPRsForWavesPerEU: 43
; NumVGPRsForWavesPerEU: 132
; NamedBarCnt: 0
; Occupancy: 7
; WaveLimiterHint : 1
; COMPUTE_PGM_RSRC2:SCRATCH_EN: 0
; COMPUTE_PGM_RSRC2:USER_SGPR: 2
; COMPUTE_PGM_RSRC2:TRAP_HANDLER: 0
; COMPUTE_PGM_RSRC2:TGID_X_EN: 1
; COMPUTE_PGM_RSRC2:TGID_Y_EN: 1
; COMPUTE_PGM_RSRC2:TGID_Z_EN: 1
; COMPUTE_PGM_RSRC2:TIDIG_COMP_CNT: 1
	.section	.text._ZL29rocblas_internal_gemmt_kernelIiLi16ELi32ELi8ELc78ELc67ELc76ELb0ELb1E19rocblas_complex_numIdES1_PKPKS1_PKPS1_EviT_T9_T10_S9_lSB_S9_lSA_T11_S9_li,"axG",@progbits,_ZL29rocblas_internal_gemmt_kernelIiLi16ELi32ELi8ELc78ELc67ELc76ELb0ELb1E19rocblas_complex_numIdES1_PKPKS1_PKPS1_EviT_T9_T10_S9_lSB_S9_lSA_T11_S9_li,comdat
	.globl	_ZL29rocblas_internal_gemmt_kernelIiLi16ELi32ELi8ELc78ELc67ELc76ELb0ELb1E19rocblas_complex_numIdES1_PKPKS1_PKPS1_EviT_T9_T10_S9_lSB_S9_lSA_T11_S9_li ; -- Begin function _ZL29rocblas_internal_gemmt_kernelIiLi16ELi32ELi8ELc78ELc67ELc76ELb0ELb1E19rocblas_complex_numIdES1_PKPKS1_PKPS1_EviT_T9_T10_S9_lSB_S9_lSA_T11_S9_li
	.p2align	8
	.type	_ZL29rocblas_internal_gemmt_kernelIiLi16ELi32ELi8ELc78ELc67ELc76ELb0ELb1E19rocblas_complex_numIdES1_PKPKS1_PKPS1_EviT_T9_T10_S9_lSB_S9_lSA_T11_S9_li,@function
_ZL29rocblas_internal_gemmt_kernelIiLi16ELi32ELi8ELc78ELc67ELc76ELb0ELb1E19rocblas_complex_numIdES1_PKPKS1_PKPS1_EviT_T9_T10_S9_lSB_S9_lSA_T11_S9_li: ; @_ZL29rocblas_internal_gemmt_kernelIiLi16ELi32ELi8ELc78ELc67ELc76ELb0ELb1E19rocblas_complex_numIdES1_PKPKS1_PKPS1_EviT_T9_T10_S9_lSB_S9_lSA_T11_S9_li
; %bb.0:
	s_clause 0x2
	s_load_b256 s[8:15], s[0:1], 0x40
	s_load_b64 s[4:5], s[0:1], 0x0
	s_load_b128 s[16:19], s[0:1], 0x8
	s_wait_kmcnt 0x0
	v_cmp_eq_f64_e64 s2, s[10:11], 1.0
	v_cmp_eq_f64_e64 s34, s[12:13], 0
	s_and_b32 s2, s2, s34
	s_delay_alu instid0(SALU_CYCLE_1)
	s_and_not1_b32 vcc_lo, exec_lo, s2
	s_mov_b32 s2, -1
	s_cbranch_vccnz .LBB425_3
; %bb.1:
	s_cmp_lg_u32 s5, 0
	s_cbranch_scc0 .LBB425_36
; %bb.2:
	v_cmp_neq_f64_e64 s2, s[16:17], 0
	v_cmp_neq_f64_e64 s3, s[18:19], 0
	s_or_b32 s2, s2, s3
.LBB425_3:
	s_delay_alu instid0(SALU_CYCLE_1)
	s_and_b32 vcc_lo, exec_lo, s2
	s_cbranch_vccz .LBB425_37
; %bb.4:
	s_load_b32 s33, s[0:1], 0x70
	s_bfe_u32 s2, ttmp6, 0x40014
	s_lshr_b32 s3, ttmp7, 16
	s_add_co_i32 s2, s2, 1
	s_bfe_u32 s6, ttmp6, 0x40008
	s_mul_i32 s2, s3, s2
	s_getreg_b32 s35, hwreg(HW_REG_IB_STS2, 6, 4)
	s_add_co_i32 s6, s6, s2
	s_cmp_eq_u32 s35, 0
	s_mov_b32 s7, 0
	s_cselect_b32 s6, s3, s6
	s_wait_kmcnt 0x0
	s_cmp_ge_u32 s6, s33
	s_cbranch_scc1 .LBB425_37
; %bb.5:
	s_clause 0x4
	s_load_b96 s[24:26], s[0:1], 0x18
	s_load_b32 s28, s[0:1], 0x38
	s_load_b32 s2, s[0:1], 0x60
	s_load_b128 s[20:23], s[0:1], 0x28
	s_load_b64 s[30:31], s[0:1], 0x68
	s_wait_xcnt 0x0
	s_bfe_u32 s1, ttmp6, 0x4000c
	s_bfe_u32 s38, ttmp6, 0x40010
	v_and_b32_e32 v1, 0x3ff, v0
	v_bfe_u32 v3, v0, 10, 10
	s_add_co_i32 s1, s1, 1
	s_and_b32 s39, ttmp7, 0xffff
	s_add_co_i32 s38, s38, 1
	s_and_b32 s0, ttmp6, 15
	s_mul_i32 s1, ttmp9, s1
	s_mul_i32 s38, s39, s38
	s_bfe_u32 s40, ttmp6, 0x40004
	v_and_b32_e32 v6, 7, v0
	v_lshl_add_u32 v0, v3, 4, v1
	s_add_co_i32 s0, s0, s1
	s_add_co_i32 s40, s40, s38
	v_cmp_neq_f64_e64 s36, s[16:17], 0
	s_wait_kmcnt 0x0
	s_ashr_i32 s27, s26, 31
	s_ashr_i32 s29, s28, 31
	;; [unrolled: 1-line block ×3, first 2 shown]
	s_cmp_eq_u32 s35, 0
	v_lshrrev_b32_e32 v8, 5, v0
	s_cselect_b32 s0, ttmp9, s0
	v_dual_lshrrev_b32 v5, 3, v0 :: v_dual_bitop2_b32 v10, 31, v0 bitop3:0x40
	s_cselect_b32 s1, s39, s40
	s_lshl_b32 s35, s0, 5
	v_mov_b32_e32 v0, 0
	s_lshl_b32 s0, s1, 5
	v_cmp_neq_f64_e64 s37, s[18:19], 0
	v_dual_add_nc_u32 v4, s0, v5 :: v_dual_bitop2_b32 v2, s35, v10 bitop3:0x54
	s_delay_alu instid0(VALU_DEP_3) | instskip(SKIP_2) | instid1(VALU_DEP_3)
	v_dual_mov_b32 v7, v0 :: v_dual_mov_b32 v9, v0
	v_dual_lshlrev_b32 v10, 4, v10 :: v_dual_add_nc_u32 v20, s0, v3
	v_cmp_neq_f64_e64 s38, s[10:11], 0
	v_mul_u64_e32 v[18:19], s[28:29], v[6:7]
	s_delay_alu instid0(VALU_DEP_4) | instskip(NEXT) | instid1(VALU_DEP_4)
	v_mul_u64_e32 v[22:23], s[26:27], v[8:9]
	v_dual_lshlrev_b32 v9, 4, v6 :: v_dual_add_nc_u32 v24, 16, v20
	v_ashrrev_i32_e32 v21, 31, v20
	v_lshl_or_b32 v7, v8, 9, v10
	v_add_nc_u32_e32 v10, s35, v1
	s_delay_alu instid0(VALU_DEP_4)
	v_lshl_or_b32 v5, v5, 7, v9
	v_ashrrev_i32_e32 v25, 31, v24
	v_mul_u64_e32 v[12:13], s[2:3], v[20:21]
	v_cmp_gt_i32_e32 vcc_lo, s4, v2
	v_add_nc_u32_e32 v14, 16, v10
	v_add_nc_u32_e32 v9, 0x1000, v5
	v_mul_u64_e32 v[16:17], s[2:3], v[24:25]
	v_ashrrev_i32_e32 v5, 31, v4
	v_cmp_gt_i32_e64 s0, s4, v4
	v_cmp_le_i32_e64 s1, v20, v10
	v_cmp_gt_i32_e64 s2, s4, v10
	v_cmp_le_i32_e64 s3, v20, v14
	v_cmp_gt_i32_e64 s4, s4, v14
	v_lshl_add_u32 v45, v3, 7, 0x1000
	v_dual_ashrrev_i32 v3, 31, v2 :: v_dual_lshlrev_b32 v44, 4, v1
	v_ashrrev_i32_e32 v11, 31, v10
	s_or_b32 s37, s36, s37
	s_cmp_gt_i32 s5, 0
	v_ashrrev_i32_e32 v15, 31, v14
	s_cselect_b32 s39, -1, 0
	s_lshl_b64 s[8:9], s[8:9], 4
	s_lshl_b64 s[20:21], s[20:21], 4
	s_and_b32 s35, s1, s2
	s_and_b32 s36, s3, s4
	v_lshl_add_u64 v[18:19], v[18:19], 4, s[8:9]
	v_lshl_add_u64 v[20:21], v[22:23], 4, s[20:21]
	v_cmp_le_i32_e64 s1, v24, v10
	v_cmp_le_i32_e64 s3, v24, v14
	s_xor_b32 s34, s34, -1
	v_lshl_add_u64 v[18:19], v[4:5], 4, v[18:19]
	v_lshl_add_u64 v[20:21], v[2:3], 4, v[20:21]
	s_or_b32 s34, s38, s34
	s_and_b32 s1, s1, s2
	s_and_b32 s4, s3, s4
	v_or_b32_e32 v18, 8, v18
	s_lshl_b64 s[2:3], s[26:27], 7
	s_and_b32 s26, s37, s39
	s_lshl_b64 s[8:9], s[28:29], 7
	s_xor_b32 s27, vcc_lo, -1
	s_lshl_b64 s[20:21], s[30:31], 4
	s_branch .LBB425_7
.LBB425_6:                              ;   in Loop: Header=BB425_7 Depth=1
	s_wait_xcnt 0x0
	s_or_b32 exec_lo, exec_lo, s28
	s_add_co_i32 s6, s6, 0x10000
	s_delay_alu instid0(SALU_CYCLE_1)
	s_cmp_lt_u32 s6, s33
	s_cbranch_scc0 .LBB425_37
.LBB425_7:                              ; =>This Loop Header: Depth=1
                                        ;     Child Loop BB425_10 Depth 2
	v_mov_b32_e32 v1, s6
	v_mov_b64_e32 v[40:41], 0
	v_mov_b64_e32 v[42:43], 0
	;; [unrolled: 1-line block ×4, first 2 shown]
	global_load_b64 v[26:27], v1, s[14:15] scale_offset
	v_mov_b64_e32 v[28:29], 0
	v_mov_b64_e32 v[30:31], 0
	;; [unrolled: 1-line block ×4, first 2 shown]
	s_and_not1_b32 vcc_lo, exec_lo, s26
	s_cbranch_vccnz .LBB425_16
; %bb.8:                                ;   in Loop: Header=BB425_7 Depth=1
	s_lshl_b64 s[28:29], s[6:7], 3
	v_mov_b64_e32 v[24:25], 0
	s_add_nc_u64 s[30:31], s[24:25], s[28:29]
	s_add_nc_u64 s[28:29], s[22:23], s[28:29]
	s_clause 0x1
	global_load_b64 v[2:3], v0, s[30:31]
	global_load_b64 v[4:5], v0, s[28:29]
	v_mov_b64_e32 v[22:23], 0
	v_mov_b64_e32 v[30:31], 0
	;; [unrolled: 1-line block ×7, first 2 shown]
	s_wait_xcnt 0x0
	s_mov_b32 s28, 0
	s_wait_loadcnt 0x1
	v_add_nc_u64_e32 v[32:33], v[2:3], v[20:21]
	s_wait_loadcnt 0x0
	v_add_nc_u64_e32 v[34:35], v[4:5], v[18:19]
	s_branch .LBB425_10
.LBB425_9:                              ;   in Loop: Header=BB425_10 Depth=2
	s_wait_xcnt 0x0
	s_or_b32 exec_lo, exec_lo, s29
	ds_store_b128 v9, v[2:5]
	s_wait_dscnt 0x0
	s_barrier_signal -1
	s_barrier_wait -1
	ds_load_b128 v[2:5], v45
	ds_load_b128 v[46:49], v44
	ds_load_b128 v[50:53], v44 offset:256
	ds_load_b128 v[54:57], v45 offset:2048
	;; [unrolled: 1-line block ×10, first 2 shown]
	v_add_nc_u64_e32 v[32:33], s[2:3], v[32:33]
	v_add_nc_u64_e32 v[34:35], s[8:9], v[34:35]
	s_add_co_i32 s28, s28, 8
	s_delay_alu instid0(SALU_CYCLE_1)
	s_cmp_lt_i32 s28, s5
	s_wait_dscnt 0xa
	v_mul_f64_e32 v[90:91], v[4:5], v[48:49]
	v_mul_f64_e32 v[92:93], v[2:3], v[48:49]
	s_wait_dscnt 0x9
	v_mul_f64_e32 v[94:95], v[4:5], v[52:53]
	v_mul_f64_e32 v[96:97], v[2:3], v[52:53]
	s_wait_dscnt 0x8
	v_mul_f64_e32 v[98:99], v[56:57], v[48:49]
	v_mul_f64_e32 v[100:101], v[54:55], v[48:49]
	v_mul_f64_e32 v[48:49], v[56:57], v[52:53]
	v_mul_f64_e32 v[102:103], v[54:55], v[52:53]
	s_wait_dscnt 0x6
	v_mul_f64_e32 v[104:105], v[60:61], v[64:65]
	v_mul_f64_e32 v[106:107], v[58:59], v[64:65]
	s_wait_dscnt 0x5
	v_mul_f64_e32 v[108:109], v[60:61], v[68:69]
	v_mul_f64_e32 v[110:111], v[58:59], v[68:69]
	s_wait_dscnt 0x4
	v_mul_f64_e32 v[112:113], v[72:73], v[64:65]
	v_mul_f64_e32 v[64:65], v[70:71], v[64:65]
	v_mul_f64_e32 v[114:115], v[72:73], v[68:69]
	v_mul_f64_e32 v[68:69], v[70:71], v[68:69]
	;; [unrolled: 11-line block ×3, first 2 shown]
	v_fma_f64 v[90:91], v[2:3], v[46:47], -v[90:91]
	v_fmac_f64_e32 v[92:93], v[4:5], v[46:47]
	v_fma_f64 v[94:95], v[2:3], v[50:51], -v[94:95]
	v_fmac_f64_e32 v[96:97], v[4:5], v[50:51]
	;; [unrolled: 2-line block ×8, first 2 shown]
	ds_load_b128 v[2:5], v45 offset:48
	ds_load_b128 v[46:49], v45 offset:2096
	;; [unrolled: 1-line block ×4, first 2 shown]
	v_fma_f64 v[118:119], v[74:75], v[78:79], -v[118:119]
	v_fmac_f64_e32 v[120:121], v[76:77], v[78:79]
	v_fma_f64 v[74:75], v[74:75], v[82:83], -v[122:123]
	v_fmac_f64_e32 v[124:125], v[76:77], v[82:83]
	;; [unrolled: 2-line block ×4, first 2 shown]
	v_add_f64_e32 v[66:67], v[40:41], v[90:91]
	v_add_f64_e32 v[70:71], v[92:93], v[42:43]
	;; [unrolled: 1-line block ×8, first 2 shown]
	s_wait_dscnt 0x1
	v_mul_f64_e32 v[100:101], v[4:5], v[52:53]
	v_mul_f64_e32 v[102:103], v[2:3], v[52:53]
	s_wait_dscnt 0x0
	v_mul_f64_e32 v[108:109], v[4:5], v[56:57]
	v_mul_f64_e32 v[112:113], v[2:3], v[56:57]
	v_mul_f64_e32 v[114:115], v[48:49], v[52:53]
	v_mul_f64_e32 v[116:117], v[46:47], v[52:53]
	v_mul_f64_e32 v[52:53], v[48:49], v[56:57]
	v_mul_f64_e32 v[130:131], v[46:47], v[56:57]
	ds_load_b128 v[22:25], v45 offset:64
	ds_load_b128 v[28:31], v44 offset:2048
	;; [unrolled: 1-line block ×4, first 2 shown]
	v_add_f64_e32 v[82:83], v[66:67], v[104:105]
	v_add_f64_e32 v[86:87], v[106:107], v[70:71]
	;; [unrolled: 1-line block ×8, first 2 shown]
	s_wait_dscnt 0x2
	v_mul_f64_e32 v[98:99], v[24:25], v[30:31]
	v_mul_f64_e32 v[104:105], v[22:23], v[30:31]
	s_wait_dscnt 0x1
	v_mul_f64_e32 v[106:107], v[24:25], v[38:39]
	v_mul_f64_e32 v[110:111], v[22:23], v[38:39]
	;; [unrolled: 3-line block ×3, first 2 shown]
	v_mul_f64_e32 v[30:31], v[42:43], v[38:39]
	v_mul_f64_e32 v[128:129], v[40:41], v[38:39]
	v_fma_f64 v[38:39], v[2:3], v[50:51], -v[100:101]
	v_fmac_f64_e32 v[102:103], v[4:5], v[50:51]
	v_fma_f64 v[100:101], v[2:3], v[54:55], -v[108:109]
	v_fmac_f64_e32 v[112:113], v[4:5], v[54:55]
	;; [unrolled: 2-line block ×4, first 2 shown]
	ds_load_b128 v[56:59], v45 offset:80
	ds_load_b128 v[60:63], v45 offset:2128
	;; [unrolled: 1-line block ×4, first 2 shown]
	v_add_f64_e32 v[54:55], v[82:83], v[118:119]
	v_add_f64_e32 v[82:83], v[120:121], v[86:87]
	;; [unrolled: 1-line block ×8, first 2 shown]
	v_fma_f64 v[98:99], v[22:23], v[28:29], -v[98:99]
	v_fmac_f64_e32 v[104:105], v[24:25], v[28:29]
	v_fma_f64 v[106:107], v[22:23], v[36:37], -v[106:107]
	s_wait_dscnt 0x1
	v_mul_f64_e32 v[90:91], v[58:59], v[66:67]
	v_mul_f64_e32 v[92:93], v[56:57], v[66:67]
	s_wait_dscnt 0x0
	v_mul_f64_e32 v[94:95], v[58:59], v[70:71]
	v_mul_f64_e32 v[96:97], v[56:57], v[70:71]
	;; [unrolled: 1-line block ×6, first 2 shown]
	v_fmac_f64_e32 v[110:111], v[24:25], v[36:37]
	v_fma_f64 v[122:123], v[40:41], v[28:29], -v[122:123]
	v_fmac_f64_e32 v[126:127], v[42:43], v[28:29]
	v_fma_f64 v[124:125], v[40:41], v[36:37], -v[30:31]
	v_fmac_f64_e32 v[128:129], v[42:43], v[36:37]
	ds_load_b128 v[2:5], v45 offset:96
	ds_load_b128 v[46:49], v44 offset:3072
	;; [unrolled: 1-line block ×4, first 2 shown]
	v_add_f64_e32 v[54:55], v[54:55], v[38:39]
	v_add_f64_e32 v[82:83], v[102:103], v[82:83]
	;; [unrolled: 1-line block ×8, first 2 shown]
	ds_load_b128 v[22:25], v45 offset:112
	ds_load_b128 v[28:31], v45 offset:2160
	ds_load_b128 v[36:39], v44 offset:3584
	ds_load_b128 v[40:43], v44 offset:3840
	s_wait_dscnt 0x0
	v_mul_f64_e32 v[100:101], v[4:5], v[48:49]
	v_mul_f64_e32 v[102:103], v[2:3], v[48:49]
	;; [unrolled: 1-line block ×8, first 2 shown]
	v_fma_f64 v[90:91], v[56:57], v[64:65], -v[90:91]
	v_fmac_f64_e32 v[92:93], v[58:59], v[64:65]
	v_fma_f64 v[56:57], v[56:57], v[68:69], -v[94:95]
	v_fmac_f64_e32 v[96:97], v[58:59], v[68:69]
	;; [unrolled: 2-line block ×4, first 2 shown]
	s_barrier_signal -1
	s_barrier_wait -1
	v_mul_f64_e32 v[94:95], v[22:23], v[42:43]
	v_add_f64_e32 v[54:55], v[54:55], v[98:99]
	v_add_f64_e32 v[62:63], v[104:105], v[82:83]
	;; [unrolled: 1-line block ×8, first 2 shown]
	v_mul_f64_e32 v[84:85], v[24:25], v[38:39]
	v_mul_f64_e32 v[86:87], v[22:23], v[38:39]
	;; [unrolled: 1-line block ×7, first 2 shown]
	v_fma_f64 v[42:43], v[2:3], v[46:47], -v[100:101]
	v_fmac_f64_e32 v[102:103], v[4:5], v[46:47]
	v_fma_f64 v[2:3], v[2:3], v[50:51], -v[108:109]
	v_fmac_f64_e32 v[112:113], v[4:5], v[50:51]
	;; [unrolled: 2-line block ×4, first 2 shown]
	v_fmac_f64_e32 v[94:95], v[24:25], v[40:41]
	v_add_f64_e32 v[50:51], v[54:55], v[90:91]
	v_add_f64_e32 v[54:55], v[92:93], v[62:63]
	v_add_f64_e32 v[56:57], v[64:65], v[56:57]
	v_add_f64_e32 v[62:63], v[96:97], v[68:69]
	v_add_f64_e32 v[58:59], v[76:77], v[58:59]
	v_add_f64_e32 v[64:65], v[66:67], v[80:81]
	v_add_f64_e32 v[60:61], v[78:79], v[60:61]
	v_add_f64_e32 v[66:67], v[70:71], v[82:83]
	v_fma_f64 v[68:69], v[22:23], v[36:37], -v[84:85]
	v_fmac_f64_e32 v[86:87], v[24:25], v[36:37]
	v_fma_f64 v[22:23], v[22:23], v[40:41], -v[88:89]
	v_fma_f64 v[24:25], v[28:29], v[36:37], -v[98:99]
	v_fmac_f64_e32 v[104:105], v[30:31], v[36:37]
	v_fma_f64 v[70:71], v[28:29], v[40:41], -v[38:39]
	v_fmac_f64_e32 v[106:107], v[30:31], v[40:41]
	v_add_f64_e32 v[28:29], v[50:51], v[42:43]
	v_add_f64_e32 v[30:31], v[102:103], v[54:55]
	;; [unrolled: 1-line block ×16, first 2 shown]
	s_cbranch_scc0 .LBB425_16
.LBB425_10:                             ;   Parent Loop BB425_7 Depth=1
                                        ; =>  This Inner Loop Header: Depth=2
	v_add_nc_u32_e32 v1, s28, v8
	s_delay_alu instid0(VALU_DEP_1) | instskip(SKIP_1) | instid1(SALU_CYCLE_1)
	v_cmp_le_i32_e32 vcc_lo, s5, v1
	s_or_b32 s29, s27, vcc_lo
	s_and_saveexec_b32 s30, s29
	s_delay_alu instid0(SALU_CYCLE_1)
	s_xor_b32 s29, exec_lo, s30
; %bb.11:                               ;   in Loop: Header=BB425_10 Depth=2
	v_dual_mov_b32 v1, v0 :: v_dual_mov_b32 v2, v0
	v_mov_b32_e32 v3, v0
	ds_store_b128 v7, v[0:3]
; %bb.12:                               ;   in Loop: Header=BB425_10 Depth=2
	s_and_not1_saveexec_b32 s29, s29
	s_cbranch_execz .LBB425_14
; %bb.13:                               ;   in Loop: Header=BB425_10 Depth=2
	flat_load_b128 v[2:5], v[32:33]
	s_wait_loadcnt_dscnt 0x0
	ds_store_2addr_b64 v7, v[2:3], v[4:5] offset1:1
.LBB425_14:                             ;   in Loop: Header=BB425_10 Depth=2
	s_wait_xcnt 0x0
	s_or_b32 exec_lo, exec_lo, s29
	v_add_nc_u32_e32 v1, s28, v6
	v_mov_b64_e32 v[2:3], 0
	v_mov_b64_e32 v[4:5], 0
	s_delay_alu instid0(VALU_DEP_3) | instskip(SKIP_1) | instid1(SALU_CYCLE_1)
	v_cmp_gt_i32_e32 vcc_lo, s5, v1
	s_and_b32 s30, vcc_lo, s0
	s_and_saveexec_b32 s29, s30
	s_cbranch_execz .LBB425_9
; %bb.15:                               ;   in Loop: Header=BB425_10 Depth=2
	flat_load_b128 v[2:5], v[34:35] offset:-8
	s_wait_loadcnt_dscnt 0x0
	v_xor_b32_e32 v5, 0x80000000, v5
	s_branch .LBB425_9
.LBB425_16:                             ;   in Loop: Header=BB425_7 Depth=1
	s_wait_loadcnt 0x0
	v_add_nc_u64_e32 v[26:27], s[20:21], v[26:27]
	s_delay_alu instid0(VALU_DEP_1)
	v_lshl_add_u64 v[32:33], v[12:13], 4, v[26:27]
	s_wait_xcnt 0x0
	s_and_saveexec_b32 s28, s35
	s_cbranch_execz .LBB425_21
; %bb.17:                               ;   in Loop: Header=BB425_7 Depth=1
	v_mul_f64_e32 v[2:3], s[18:19], v[42:43]
	v_mul_f64_e32 v[4:5], s[16:17], v[42:43]
	v_lshl_add_u64 v[34:35], v[10:11], 4, v[32:33]
	s_and_b32 vcc_lo, exec_lo, s34
	s_mov_b32 s29, -1
	s_delay_alu instid0(VALU_DEP_3) | instskip(NEXT) | instid1(VALU_DEP_3)
	v_fma_f64 v[2:3], s[16:17], v[40:41], -v[2:3]
	v_fmac_f64_e32 v[4:5], s[18:19], v[40:41]
	s_cbranch_vccz .LBB425_19
; %bb.18:                               ;   in Loop: Header=BB425_7 Depth=1
	flat_load_b128 v[40:43], v[34:35]
	s_mov_b32 s29, 0
	s_wait_loadcnt_dscnt 0x0
	v_mul_f64_e32 v[46:47], s[12:13], v[42:43]
	v_mul_f64_e32 v[42:43], s[10:11], v[42:43]
	s_delay_alu instid0(VALU_DEP_2) | instskip(NEXT) | instid1(VALU_DEP_2)
	v_fma_f64 v[46:47], s[10:11], v[40:41], -v[46:47]
	v_fmac_f64_e32 v[42:43], s[12:13], v[40:41]
	s_delay_alu instid0(VALU_DEP_2) | instskip(NEXT) | instid1(VALU_DEP_2)
	v_add_f64_e32 v[40:41], v[2:3], v[46:47]
	v_add_f64_e32 v[42:43], v[4:5], v[42:43]
	flat_store_b128 v[34:35], v[40:43]
.LBB425_19:                             ;   in Loop: Header=BB425_7 Depth=1
	s_and_not1_b32 vcc_lo, exec_lo, s29
	s_cbranch_vccnz .LBB425_21
; %bb.20:                               ;   in Loop: Header=BB425_7 Depth=1
	flat_store_b128 v[34:35], v[2:5]
.LBB425_21:                             ;   in Loop: Header=BB425_7 Depth=1
	s_wait_xcnt 0x0
	s_or_b32 exec_lo, exec_lo, s28
	s_and_saveexec_b32 s28, s36
	s_cbranch_execz .LBB425_26
; %bb.22:                               ;   in Loop: Header=BB425_7 Depth=1
	v_mul_f64_e32 v[2:3], s[18:19], v[38:39]
	v_mul_f64_e32 v[4:5], s[16:17], v[38:39]
	v_lshl_add_u64 v[32:33], v[14:15], 4, v[32:33]
	s_and_not1_b32 vcc_lo, exec_lo, s34
	s_mov_b32 s29, -1
	s_delay_alu instid0(VALU_DEP_3) | instskip(NEXT) | instid1(VALU_DEP_3)
	v_fma_f64 v[2:3], s[16:17], v[36:37], -v[2:3]
	v_fmac_f64_e32 v[4:5], s[18:19], v[36:37]
	s_cbranch_vccnz .LBB425_24
; %bb.23:                               ;   in Loop: Header=BB425_7 Depth=1
	flat_load_b128 v[34:37], v[32:33]
	s_mov_b32 s29, 0
	s_wait_loadcnt_dscnt 0x0
	v_mul_f64_e32 v[38:39], s[12:13], v[36:37]
	v_mul_f64_e32 v[36:37], s[10:11], v[36:37]
	s_delay_alu instid0(VALU_DEP_2) | instskip(NEXT) | instid1(VALU_DEP_2)
	v_fma_f64 v[38:39], s[10:11], v[34:35], -v[38:39]
	v_fmac_f64_e32 v[36:37], s[12:13], v[34:35]
	s_delay_alu instid0(VALU_DEP_2) | instskip(NEXT) | instid1(VALU_DEP_2)
	v_add_f64_e32 v[34:35], v[2:3], v[38:39]
	v_add_f64_e32 v[36:37], v[4:5], v[36:37]
	flat_store_b128 v[32:33], v[34:37]
.LBB425_24:                             ;   in Loop: Header=BB425_7 Depth=1
	s_and_not1_b32 vcc_lo, exec_lo, s29
	s_cbranch_vccnz .LBB425_26
; %bb.25:                               ;   in Loop: Header=BB425_7 Depth=1
	flat_store_b128 v[32:33], v[2:5]
.LBB425_26:                             ;   in Loop: Header=BB425_7 Depth=1
	s_wait_xcnt 0x0
	s_or_b32 exec_lo, exec_lo, s28
	v_lshl_add_u64 v[26:27], v[16:17], 4, v[26:27]
	s_and_saveexec_b32 s28, s1
	s_cbranch_execz .LBB425_31
; %bb.27:                               ;   in Loop: Header=BB425_7 Depth=1
	v_mul_f64_e32 v[2:3], s[18:19], v[30:31]
	v_mul_f64_e32 v[4:5], s[16:17], v[30:31]
	s_and_not1_b32 vcc_lo, exec_lo, s34
	s_mov_b32 s29, -1
	s_delay_alu instid0(VALU_DEP_2) | instskip(NEXT) | instid1(VALU_DEP_2)
	v_fma_f64 v[2:3], s[16:17], v[28:29], -v[2:3]
	v_fmac_f64_e32 v[4:5], s[18:19], v[28:29]
	v_lshl_add_u64 v[28:29], v[10:11], 4, v[26:27]
	s_cbranch_vccnz .LBB425_29
; %bb.28:                               ;   in Loop: Header=BB425_7 Depth=1
	flat_load_b128 v[30:33], v[28:29]
	s_mov_b32 s29, 0
	s_wait_loadcnt_dscnt 0x0
	v_mul_f64_e32 v[34:35], s[12:13], v[32:33]
	v_mul_f64_e32 v[32:33], s[10:11], v[32:33]
	s_delay_alu instid0(VALU_DEP_2) | instskip(NEXT) | instid1(VALU_DEP_2)
	v_fma_f64 v[34:35], s[10:11], v[30:31], -v[34:35]
	v_fmac_f64_e32 v[32:33], s[12:13], v[30:31]
	s_delay_alu instid0(VALU_DEP_2) | instskip(NEXT) | instid1(VALU_DEP_2)
	v_add_f64_e32 v[30:31], v[2:3], v[34:35]
	v_add_f64_e32 v[32:33], v[4:5], v[32:33]
	flat_store_b128 v[28:29], v[30:33]
.LBB425_29:                             ;   in Loop: Header=BB425_7 Depth=1
	s_and_not1_b32 vcc_lo, exec_lo, s29
	s_cbranch_vccnz .LBB425_31
; %bb.30:                               ;   in Loop: Header=BB425_7 Depth=1
	flat_store_b128 v[28:29], v[2:5]
.LBB425_31:                             ;   in Loop: Header=BB425_7 Depth=1
	s_wait_xcnt 0x0
	s_or_b32 exec_lo, exec_lo, s28
	s_and_saveexec_b32 s28, s4
	s_cbranch_execz .LBB425_6
; %bb.32:                               ;   in Loop: Header=BB425_7 Depth=1
	s_delay_alu instid0(VALU_DEP_4) | instskip(SKIP_3) | instid1(VALU_DEP_2)
	v_mul_f64_e32 v[2:3], s[18:19], v[24:25]
	v_mul_f64_e32 v[4:5], s[16:17], v[24:25]
	s_and_not1_b32 vcc_lo, exec_lo, s34
	s_mov_b32 s29, -1
	v_fma_f64 v[2:3], s[16:17], v[22:23], -v[2:3]
	s_delay_alu instid0(VALU_DEP_2)
	v_fmac_f64_e32 v[4:5], s[18:19], v[22:23]
	v_lshl_add_u64 v[22:23], v[14:15], 4, v[26:27]
	s_cbranch_vccnz .LBB425_34
; %bb.33:                               ;   in Loop: Header=BB425_7 Depth=1
	flat_load_b128 v[24:27], v[22:23]
	s_mov_b32 s29, 0
	s_wait_loadcnt_dscnt 0x0
	v_mul_f64_e32 v[28:29], s[12:13], v[26:27]
	v_mul_f64_e32 v[26:27], s[10:11], v[26:27]
	s_delay_alu instid0(VALU_DEP_2) | instskip(NEXT) | instid1(VALU_DEP_2)
	v_fma_f64 v[28:29], s[10:11], v[24:25], -v[28:29]
	v_fmac_f64_e32 v[26:27], s[12:13], v[24:25]
	s_delay_alu instid0(VALU_DEP_2) | instskip(NEXT) | instid1(VALU_DEP_2)
	v_add_f64_e32 v[24:25], v[2:3], v[28:29]
	v_add_f64_e32 v[26:27], v[4:5], v[26:27]
	flat_store_b128 v[22:23], v[24:27]
.LBB425_34:                             ;   in Loop: Header=BB425_7 Depth=1
	s_and_not1_b32 vcc_lo, exec_lo, s29
	s_cbranch_vccnz .LBB425_6
; %bb.35:                               ;   in Loop: Header=BB425_7 Depth=1
	flat_store_b128 v[22:23], v[2:5]
	s_branch .LBB425_6
.LBB425_36:
.LBB425_37:
	s_sendmsg sendmsg(MSG_DEALLOC_VGPRS)
	s_endpgm
	.section	.rodata,"a",@progbits
	.p2align	6, 0x0
	.amdhsa_kernel _ZL29rocblas_internal_gemmt_kernelIiLi16ELi32ELi8ELc78ELc67ELc76ELb0ELb1E19rocblas_complex_numIdES1_PKPKS1_PKPS1_EviT_T9_T10_S9_lSB_S9_lSA_T11_S9_li
		.amdhsa_group_segment_fixed_size 8192
		.amdhsa_private_segment_fixed_size 0
		.amdhsa_kernarg_size 116
		.amdhsa_user_sgpr_count 2
		.amdhsa_user_sgpr_dispatch_ptr 0
		.amdhsa_user_sgpr_queue_ptr 0
		.amdhsa_user_sgpr_kernarg_segment_ptr 1
		.amdhsa_user_sgpr_dispatch_id 0
		.amdhsa_user_sgpr_kernarg_preload_length 0
		.amdhsa_user_sgpr_kernarg_preload_offset 0
		.amdhsa_user_sgpr_private_segment_size 0
		.amdhsa_wavefront_size32 1
		.amdhsa_uses_dynamic_stack 0
		.amdhsa_enable_private_segment 0
		.amdhsa_system_sgpr_workgroup_id_x 1
		.amdhsa_system_sgpr_workgroup_id_y 1
		.amdhsa_system_sgpr_workgroup_id_z 1
		.amdhsa_system_sgpr_workgroup_info 0
		.amdhsa_system_vgpr_workitem_id 1
		.amdhsa_next_free_vgpr 132
		.amdhsa_next_free_sgpr 41
		.amdhsa_named_barrier_count 0
		.amdhsa_reserve_vcc 1
		.amdhsa_float_round_mode_32 0
		.amdhsa_float_round_mode_16_64 0
		.amdhsa_float_denorm_mode_32 3
		.amdhsa_float_denorm_mode_16_64 3
		.amdhsa_fp16_overflow 0
		.amdhsa_memory_ordered 1
		.amdhsa_forward_progress 1
		.amdhsa_inst_pref_size 24
		.amdhsa_round_robin_scheduling 0
		.amdhsa_exception_fp_ieee_invalid_op 0
		.amdhsa_exception_fp_denorm_src 0
		.amdhsa_exception_fp_ieee_div_zero 0
		.amdhsa_exception_fp_ieee_overflow 0
		.amdhsa_exception_fp_ieee_underflow 0
		.amdhsa_exception_fp_ieee_inexact 0
		.amdhsa_exception_int_div_zero 0
	.end_amdhsa_kernel
	.section	.text._ZL29rocblas_internal_gemmt_kernelIiLi16ELi32ELi8ELc78ELc67ELc76ELb0ELb1E19rocblas_complex_numIdES1_PKPKS1_PKPS1_EviT_T9_T10_S9_lSB_S9_lSA_T11_S9_li,"axG",@progbits,_ZL29rocblas_internal_gemmt_kernelIiLi16ELi32ELi8ELc78ELc67ELc76ELb0ELb1E19rocblas_complex_numIdES1_PKPKS1_PKPS1_EviT_T9_T10_S9_lSB_S9_lSA_T11_S9_li,comdat
.Lfunc_end425:
	.size	_ZL29rocblas_internal_gemmt_kernelIiLi16ELi32ELi8ELc78ELc67ELc76ELb0ELb1E19rocblas_complex_numIdES1_PKPKS1_PKPS1_EviT_T9_T10_S9_lSB_S9_lSA_T11_S9_li, .Lfunc_end425-_ZL29rocblas_internal_gemmt_kernelIiLi16ELi32ELi8ELc78ELc67ELc76ELb0ELb1E19rocblas_complex_numIdES1_PKPKS1_PKPS1_EviT_T9_T10_S9_lSB_S9_lSA_T11_S9_li
                                        ; -- End function
	.set _ZL29rocblas_internal_gemmt_kernelIiLi16ELi32ELi8ELc78ELc67ELc76ELb0ELb1E19rocblas_complex_numIdES1_PKPKS1_PKPS1_EviT_T9_T10_S9_lSB_S9_lSA_T11_S9_li.num_vgpr, 132
	.set _ZL29rocblas_internal_gemmt_kernelIiLi16ELi32ELi8ELc78ELc67ELc76ELb0ELb1E19rocblas_complex_numIdES1_PKPKS1_PKPS1_EviT_T9_T10_S9_lSB_S9_lSA_T11_S9_li.num_agpr, 0
	.set _ZL29rocblas_internal_gemmt_kernelIiLi16ELi32ELi8ELc78ELc67ELc76ELb0ELb1E19rocblas_complex_numIdES1_PKPKS1_PKPS1_EviT_T9_T10_S9_lSB_S9_lSA_T11_S9_li.numbered_sgpr, 41
	.set _ZL29rocblas_internal_gemmt_kernelIiLi16ELi32ELi8ELc78ELc67ELc76ELb0ELb1E19rocblas_complex_numIdES1_PKPKS1_PKPS1_EviT_T9_T10_S9_lSB_S9_lSA_T11_S9_li.num_named_barrier, 0
	.set _ZL29rocblas_internal_gemmt_kernelIiLi16ELi32ELi8ELc78ELc67ELc76ELb0ELb1E19rocblas_complex_numIdES1_PKPKS1_PKPS1_EviT_T9_T10_S9_lSB_S9_lSA_T11_S9_li.private_seg_size, 0
	.set _ZL29rocblas_internal_gemmt_kernelIiLi16ELi32ELi8ELc78ELc67ELc76ELb0ELb1E19rocblas_complex_numIdES1_PKPKS1_PKPS1_EviT_T9_T10_S9_lSB_S9_lSA_T11_S9_li.uses_vcc, 1
	.set _ZL29rocblas_internal_gemmt_kernelIiLi16ELi32ELi8ELc78ELc67ELc76ELb0ELb1E19rocblas_complex_numIdES1_PKPKS1_PKPS1_EviT_T9_T10_S9_lSB_S9_lSA_T11_S9_li.uses_flat_scratch, 0
	.set _ZL29rocblas_internal_gemmt_kernelIiLi16ELi32ELi8ELc78ELc67ELc76ELb0ELb1E19rocblas_complex_numIdES1_PKPKS1_PKPS1_EviT_T9_T10_S9_lSB_S9_lSA_T11_S9_li.has_dyn_sized_stack, 0
	.set _ZL29rocblas_internal_gemmt_kernelIiLi16ELi32ELi8ELc78ELc67ELc76ELb0ELb1E19rocblas_complex_numIdES1_PKPKS1_PKPS1_EviT_T9_T10_S9_lSB_S9_lSA_T11_S9_li.has_recursion, 0
	.set _ZL29rocblas_internal_gemmt_kernelIiLi16ELi32ELi8ELc78ELc67ELc76ELb0ELb1E19rocblas_complex_numIdES1_PKPKS1_PKPS1_EviT_T9_T10_S9_lSB_S9_lSA_T11_S9_li.has_indirect_call, 0
	.section	.AMDGPU.csdata,"",@progbits
; Kernel info:
; codeLenInByte = 2952
; TotalNumSgprs: 43
; NumVgprs: 132
; ScratchSize: 0
; MemoryBound: 1
; FloatMode: 240
; IeeeMode: 1
; LDSByteSize: 8192 bytes/workgroup (compile time only)
; SGPRBlocks: 0
; VGPRBlocks: 8
; NumSGPRsForWavesPerEU: 43
; NumVGPRsForWavesPerEU: 132
; NamedBarCnt: 0
; Occupancy: 7
; WaveLimiterHint : 1
; COMPUTE_PGM_RSRC2:SCRATCH_EN: 0
; COMPUTE_PGM_RSRC2:USER_SGPR: 2
; COMPUTE_PGM_RSRC2:TRAP_HANDLER: 0
; COMPUTE_PGM_RSRC2:TGID_X_EN: 1
; COMPUTE_PGM_RSRC2:TGID_Y_EN: 1
; COMPUTE_PGM_RSRC2:TGID_Z_EN: 1
; COMPUTE_PGM_RSRC2:TIDIG_COMP_CNT: 1
	.section	.text._ZL29rocblas_internal_gemmt_kernelIiLi16ELi32ELi8ELc84ELc78ELc76ELb0ELb0E19rocblas_complex_numIdES1_PKPKS1_PKPS1_EviT_T9_T10_S9_lSB_S9_lSA_T11_S9_li,"axG",@progbits,_ZL29rocblas_internal_gemmt_kernelIiLi16ELi32ELi8ELc84ELc78ELc76ELb0ELb0E19rocblas_complex_numIdES1_PKPKS1_PKPS1_EviT_T9_T10_S9_lSB_S9_lSA_T11_S9_li,comdat
	.globl	_ZL29rocblas_internal_gemmt_kernelIiLi16ELi32ELi8ELc84ELc78ELc76ELb0ELb0E19rocblas_complex_numIdES1_PKPKS1_PKPS1_EviT_T9_T10_S9_lSB_S9_lSA_T11_S9_li ; -- Begin function _ZL29rocblas_internal_gemmt_kernelIiLi16ELi32ELi8ELc84ELc78ELc76ELb0ELb0E19rocblas_complex_numIdES1_PKPKS1_PKPS1_EviT_T9_T10_S9_lSB_S9_lSA_T11_S9_li
	.p2align	8
	.type	_ZL29rocblas_internal_gemmt_kernelIiLi16ELi32ELi8ELc84ELc78ELc76ELb0ELb0E19rocblas_complex_numIdES1_PKPKS1_PKPS1_EviT_T9_T10_S9_lSB_S9_lSA_T11_S9_li,@function
_ZL29rocblas_internal_gemmt_kernelIiLi16ELi32ELi8ELc84ELc78ELc76ELb0ELb0E19rocblas_complex_numIdES1_PKPKS1_PKPS1_EviT_T9_T10_S9_lSB_S9_lSA_T11_S9_li: ; @_ZL29rocblas_internal_gemmt_kernelIiLi16ELi32ELi8ELc84ELc78ELc76ELb0ELb0E19rocblas_complex_numIdES1_PKPKS1_PKPS1_EviT_T9_T10_S9_lSB_S9_lSA_T11_S9_li
; %bb.0:
	s_clause 0x2
	s_load_b256 s[8:15], s[0:1], 0x40
	s_load_b64 s[4:5], s[0:1], 0x0
	s_load_b128 s[16:19], s[0:1], 0x8
	s_wait_kmcnt 0x0
	v_cmp_eq_f64_e64 s2, s[10:11], 1.0
	v_cmp_eq_f64_e64 s33, s[12:13], 0
	s_and_b32 s2, s2, s33
	s_delay_alu instid0(SALU_CYCLE_1)
	s_and_not1_b32 vcc_lo, exec_lo, s2
	s_mov_b32 s2, -1
	s_cbranch_vccnz .LBB426_3
; %bb.1:
	s_cmp_lg_u32 s5, 0
	s_cbranch_scc0 .LBB426_38
; %bb.2:
	v_cmp_neq_f64_e64 s2, s[16:17], 0
	v_cmp_neq_f64_e64 s3, s[18:19], 0
	s_or_b32 s2, s2, s3
.LBB426_3:
	s_delay_alu instid0(SALU_CYCLE_1)
	s_and_b32 vcc_lo, exec_lo, s2
	s_cbranch_vccz .LBB426_39
; %bb.4:
	s_load_b32 s27, s[0:1], 0x70
	s_bfe_u32 s2, ttmp6, 0x40014
	s_lshr_b32 s3, ttmp7, 16
	s_add_co_i32 s2, s2, 1
	s_bfe_u32 s6, ttmp6, 0x40008
	s_mul_i32 s2, s3, s2
	s_getreg_b32 s34, hwreg(HW_REG_IB_STS2, 6, 4)
	s_add_co_i32 s6, s6, s2
	s_cmp_eq_u32 s34, 0
	s_mov_b32 s7, 0
	s_cselect_b32 s6, s3, s6
	s_wait_kmcnt 0x0
	s_cmp_ge_u32 s6, s27
	s_cbranch_scc1 .LBB426_39
; %bb.5:
	s_clause 0x4
	s_load_b96 s[24:26], s[0:1], 0x18
	s_load_b32 s2, s[0:1], 0x38
	s_load_b32 s30, s[0:1], 0x60
	s_load_b128 s[20:23], s[0:1], 0x28
	s_load_b64 s[28:29], s[0:1], 0x68
	s_wait_xcnt 0x0
	s_bfe_u32 s1, ttmp6, 0x4000c
	s_bfe_u32 s3, ttmp6, 0x40010
	v_and_b32_e32 v7, 0x3ff, v0
	v_bfe_u32 v11, v0, 10, 10
	s_and_b32 s37, ttmp7, 0xffff
	s_add_co_i32 s38, s1, 1
	s_add_co_i32 s39, s3, 1
	s_and_b32 s0, ttmp6, 15
	s_mul_i32 s38, ttmp9, s38
	s_mul_i32 s39, s37, s39
	s_bfe_u32 s40, ttmp6, 0x40004
	v_lshl_add_u32 v1, v11, 4, v7
	s_add_co_i32 s0, s0, s38
	s_add_co_i32 s40, s40, s39
	v_and_b32_e32 v39, 7, v0
	v_cmp_neq_f64_e64 s35, s[16:17], 0
	s_wait_kmcnt 0x0
	s_ashr_i32 s1, s26, 31
	s_ashr_i32 s3, s2, 31
	;; [unrolled: 1-line block ×3, first 2 shown]
	s_cmp_eq_u32 s34, 0
	v_dual_lshrrev_b32 v38, 5, v1 :: v_dual_lshrrev_b32 v6, 3, v1
	s_cselect_b32 s34, s37, s40
	s_cselect_b32 s0, ttmp9, s0
	s_lshl_b32 s34, s34, 5
	s_delay_alu instid0(VALU_DEP_1) | instid1(SALU_CYCLE_1)
	v_dual_add_nc_u32 v2, s34, v6 :: v_dual_bitop2_b32 v8, 31, v1 bitop3:0x40
	s_lshl_b32 s37, s0, 5
	v_cmp_neq_f64_e64 s36, s[18:19], 0
	s_mov_b32 s0, s26
	v_dual_ashrrev_i32 v3, 31, v2 :: v_dual_bitop2_b32 v0, s37, v8 bitop3:0x54
	v_cmp_neq_f64_e64 s38, s[10:11], 0
	v_lshl_add_u32 v43, v11, 7, 0x1000
	s_delay_alu instid0(VALU_DEP_3) | instskip(NEXT) | instid1(VALU_DEP_4)
	v_dual_add_nc_u32 v14, s34, v11 :: v_dual_ashrrev_i32 v1, 31, v0
	v_mul_u64_e32 v[18:19], s[2:3], v[2:3]
	v_lshlrev_b32_e32 v16, 4, v39
	v_cmp_gt_i32_e32 vcc_lo, s4, v0
	s_delay_alu instid0(VALU_DEP_4)
	v_add_nc_u32_e32 v20, 16, v14
	v_mul_u64_e32 v[4:5], s[0:1], v[0:1]
	v_dual_lshlrev_b32 v1, 4, v8 :: v_dual_ashrrev_i32 v15, 31, v14
	v_lshl_or_b32 v0, v6, 7, v16
	v_add_nc_u32_e32 v6, s37, v7
	v_cmp_gt_i32_e64 s0, s4, v2
	s_delay_alu instid0(VALU_DEP_4) | instskip(SKIP_4) | instid1(VALU_DEP_4)
	v_lshl_or_b32 v40, v38, 9, v1
	v_dual_ashrrev_i32 v21, 31, v20 :: v_dual_lshlrev_b32 v42, 4, v7
	v_mul_u64_e32 v[8:9], s[30:31], v[14:15]
	v_dual_mov_b32 v0, 0 :: v_dual_add_nc_u32 v41, 0x1000, v0
	v_dual_add_nc_u32 v10, 16, v6 :: v_dual_ashrrev_i32 v7, 31, v6
	v_mul_u64_e32 v[12:13], s[30:31], v[20:21]
	v_cmp_le_i32_e64 s1, v14, v6
	v_cmp_gt_i32_e64 s2, s4, v6
	s_delay_alu instid0(VALU_DEP_4)
	v_cmp_le_i32_e64 s3, v14, v10
	v_cmp_gt_i32_e64 s4, s4, v10
	v_dual_mov_b32 v17, v0 :: v_dual_ashrrev_i32 v11, 31, v10
	s_or_b32 s35, s35, s36
	s_cmp_gt_i32 s5, 0
	s_cselect_b32 s36, -1, 0
	s_lshl_b64 s[20:21], s[20:21], 4
	s_lshl_b64 s[8:9], s[8:9], 4
	s_and_b32 s30, s1, s2
	v_lshl_add_u64 v[18:19], v[18:19], 4, s[8:9]
	s_and_b32 s31, s3, s4
	v_cmp_le_i32_e64 s1, v20, v6
	v_cmp_le_i32_e64 s3, v20, v10
	v_lshl_add_u64 v[2:3], v[4:5], 4, s[20:21]
	v_dual_mov_b32 v5, v0 :: v_dual_lshlrev_b32 v4, 4, v38
	v_add_nc_u64_e32 v[16:17], v[18:19], v[16:17]
	s_xor_b32 s26, s33, -1
	s_and_b32 s2, s1, s2
	s_or_b32 s26, s38, s26
	v_add_nc_u64_e32 v[14:15], v[2:3], v[4:5]
	s_and_b32 s3, s3, s4
	s_and_b32 s4, s35, s36
	s_xor_b32 s8, vcc_lo, -1
	s_xor_b32 s9, s0, -1
	s_lshl_b64 s[0:1], s[28:29], 4
	s_branch .LBB426_7
.LBB426_6:                              ;   in Loop: Header=BB426_7 Depth=1
	s_wait_xcnt 0x0
	s_or_b32 exec_lo, exec_lo, s20
	s_add_co_i32 s6, s6, 0x10000
	s_delay_alu instid0(SALU_CYCLE_1)
	s_cmp_lt_u32 s6, s27
	s_cbranch_scc0 .LBB426_39
.LBB426_7:                              ; =>This Loop Header: Depth=1
                                        ;     Child Loop BB426_10 Depth 2
	v_mov_b32_e32 v1, s6
	v_mov_b64_e32 v[34:35], 0
	v_mov_b64_e32 v[36:37], 0
	v_mov_b64_e32 v[30:31], 0
	v_mov_b64_e32 v[32:33], 0
	global_load_b64 v[4:5], v1, s[14:15] scale_offset
	v_mov_b64_e32 v[22:23], 0
	v_mov_b64_e32 v[24:25], 0
	;; [unrolled: 1-line block ×4, first 2 shown]
	s_and_not1_b32 vcc_lo, exec_lo, s4
	s_cbranch_vccnz .LBB426_18
; %bb.8:                                ;   in Loop: Header=BB426_7 Depth=1
	s_lshl_b64 s[20:21], s[6:7], 3
	v_mov_b64_e32 v[20:21], 0
	s_add_nc_u64 s[28:29], s[24:25], s[20:21]
	s_add_nc_u64 s[20:21], s[22:23], s[20:21]
	s_clause 0x1
	global_load_b64 v[2:3], v0, s[28:29]
	global_load_b64 v[28:29], v0, s[20:21]
	v_mov_b64_e32 v[18:19], 0
	v_mov_b64_e32 v[24:25], 0
	;; [unrolled: 1-line block ×7, first 2 shown]
	s_wait_xcnt 0x0
	s_mov_b32 s20, 0
	s_wait_loadcnt 0x1
	v_add_nc_u64_e32 v[26:27], v[2:3], v[14:15]
	s_wait_loadcnt 0x0
	v_add_nc_u64_e32 v[28:29], v[28:29], v[16:17]
	s_branch .LBB426_10
.LBB426_9:                              ;   in Loop: Header=BB426_10 Depth=2
	s_wait_xcnt 0x0
	s_or_b32 exec_lo, exec_lo, s21
	s_wait_dscnt 0x0
	s_barrier_signal -1
	s_barrier_wait -1
	ds_load_b128 v[44:47], v43
	ds_load_b128 v[48:51], v42
	ds_load_b128 v[52:55], v42 offset:256
	ds_load_b128 v[56:59], v43 offset:2048
	;; [unrolled: 1-line block ×10, first 2 shown]
	v_add_nc_u64_e32 v[26:27], 0x80, v[26:27]
	v_add_nc_u64_e32 v[28:29], 0x80, v[28:29]
	s_add_co_i32 s20, s20, 8
	s_delay_alu instid0(SALU_CYCLE_1)
	s_cmp_lt_i32 s20, s5
	s_wait_dscnt 0xa
	v_mul_f64_e32 v[2:3], v[46:47], v[50:51]
	v_mul_f64_e32 v[92:93], v[44:45], v[50:51]
	s_wait_dscnt 0x9
	v_mul_f64_e32 v[94:95], v[46:47], v[54:55]
	v_mul_f64_e32 v[96:97], v[44:45], v[54:55]
	s_wait_dscnt 0x8
	v_mul_f64_e32 v[98:99], v[58:59], v[50:51]
	v_mul_f64_e32 v[100:101], v[56:57], v[50:51]
	v_mul_f64_e32 v[50:51], v[58:59], v[54:55]
	v_mul_f64_e32 v[102:103], v[56:57], v[54:55]
	s_wait_dscnt 0x6
	v_mul_f64_e32 v[104:105], v[62:63], v[66:67]
	v_mul_f64_e32 v[106:107], v[60:61], v[66:67]
	s_wait_dscnt 0x5
	v_mul_f64_e32 v[108:109], v[62:63], v[70:71]
	v_mul_f64_e32 v[110:111], v[60:61], v[70:71]
	s_wait_dscnt 0x4
	v_mul_f64_e32 v[112:113], v[74:75], v[66:67]
	v_mul_f64_e32 v[66:67], v[72:73], v[66:67]
	v_mul_f64_e32 v[114:115], v[74:75], v[70:71]
	v_mul_f64_e32 v[70:71], v[72:73], v[70:71]
	;; [unrolled: 11-line block ×3, first 2 shown]
	v_fma_f64 v[2:3], v[44:45], v[48:49], -v[2:3]
	v_fmac_f64_e32 v[92:93], v[46:47], v[48:49]
	v_fma_f64 v[94:95], v[44:45], v[52:53], -v[94:95]
	v_fmac_f64_e32 v[96:97], v[46:47], v[52:53]
	;; [unrolled: 2-line block ×8, first 2 shown]
	ds_load_b128 v[44:47], v43 offset:48
	ds_load_b128 v[48:51], v43 offset:2096
	ds_load_b128 v[52:55], v42 offset:1536
	ds_load_b128 v[56:59], v42 offset:1792
	v_fma_f64 v[118:119], v[76:77], v[80:81], -v[118:119]
	v_fmac_f64_e32 v[120:121], v[78:79], v[80:81]
	v_fma_f64 v[76:77], v[76:77], v[84:85], -v[122:123]
	v_fmac_f64_e32 v[124:125], v[78:79], v[84:85]
	v_fma_f64 v[78:79], v[88:89], v[80:81], -v[126:127]
	v_fmac_f64_e32 v[82:83], v[90:91], v[80:81]
	v_fma_f64 v[80:81], v[88:89], v[84:85], -v[128:129]
	v_fmac_f64_e32 v[86:87], v[90:91], v[84:85]
	v_add_f64_e32 v[2:3], v[34:35], v[2:3]
	v_add_f64_e32 v[68:69], v[92:93], v[36:37]
	;; [unrolled: 1-line block ×8, first 2 shown]
	s_wait_dscnt 0x1
	v_mul_f64_e32 v[100:101], v[46:47], v[54:55]
	v_mul_f64_e32 v[102:103], v[44:45], v[54:55]
	s_wait_dscnt 0x0
	v_mul_f64_e32 v[108:109], v[46:47], v[58:59]
	v_mul_f64_e32 v[112:113], v[44:45], v[58:59]
	;; [unrolled: 1-line block ×6, first 2 shown]
	ds_load_b128 v[18:21], v43 offset:64
	ds_load_b128 v[22:25], v42 offset:2048
	;; [unrolled: 1-line block ×4, first 2 shown]
	v_add_f64_e32 v[2:3], v[2:3], v[104:105]
	v_add_f64_e32 v[84:85], v[106:107], v[68:69]
	v_add_f64_e32 v[88:89], v[72:73], v[60:61]
	v_add_f64_e32 v[74:75], v[110:111], v[74:75]
	v_add_f64_e32 v[90:91], v[92:93], v[62:63]
	v_add_f64_e32 v[92:93], v[66:67], v[94:95]
	v_add_f64_e32 v[94:95], v[96:97], v[64:65]
	v_add_f64_e32 v[96:97], v[70:71], v[98:99]
	s_wait_dscnt 0x2
	v_mul_f64_e32 v[98:99], v[20:21], v[24:25]
	v_mul_f64_e32 v[104:105], v[18:19], v[24:25]
	s_wait_dscnt 0x1
	v_mul_f64_e32 v[106:107], v[20:21], v[32:33]
	v_mul_f64_e32 v[110:111], v[18:19], v[32:33]
	;; [unrolled: 3-line block ×3, first 2 shown]
	v_mul_f64_e32 v[24:25], v[36:37], v[32:33]
	v_mul_f64_e32 v[128:129], v[34:35], v[32:33]
	v_fma_f64 v[32:33], v[44:45], v[52:53], -v[100:101]
	v_fmac_f64_e32 v[102:103], v[46:47], v[52:53]
	v_fma_f64 v[100:101], v[44:45], v[56:57], -v[108:109]
	v_fmac_f64_e32 v[112:113], v[46:47], v[56:57]
	;; [unrolled: 2-line block ×4, first 2 shown]
	ds_load_b128 v[58:61], v43 offset:80
	ds_load_b128 v[62:65], v43 offset:2128
	ds_load_b128 v[66:69], v42 offset:2560
	ds_load_b128 v[70:73], v42 offset:2816
	v_add_f64_e32 v[2:3], v[2:3], v[118:119]
	v_add_f64_e32 v[56:57], v[120:121], v[84:85]
	;; [unrolled: 1-line block ×8, first 2 shown]
	v_fma_f64 v[98:99], v[18:19], v[22:23], -v[98:99]
	v_fmac_f64_e32 v[104:105], v[20:21], v[22:23]
	v_fma_f64 v[106:107], v[18:19], v[30:31], -v[106:107]
	s_wait_dscnt 0x1
	v_mul_f64_e32 v[90:91], v[60:61], v[68:69]
	v_mul_f64_e32 v[92:93], v[58:59], v[68:69]
	s_wait_dscnt 0x0
	v_mul_f64_e32 v[94:95], v[60:61], v[72:73]
	v_mul_f64_e32 v[96:97], v[58:59], v[72:73]
	;; [unrolled: 1-line block ×6, first 2 shown]
	v_fmac_f64_e32 v[110:111], v[20:21], v[30:31]
	v_fma_f64 v[122:123], v[34:35], v[22:23], -v[122:123]
	v_fmac_f64_e32 v[126:127], v[36:37], v[22:23]
	v_fma_f64 v[124:125], v[34:35], v[30:31], -v[24:25]
	v_fmac_f64_e32 v[128:129], v[36:37], v[30:31]
	ds_load_b128 v[44:47], v43 offset:96
	ds_load_b128 v[48:51], v42 offset:3072
	;; [unrolled: 1-line block ×4, first 2 shown]
	v_add_f64_e32 v[2:3], v[2:3], v[32:33]
	v_add_f64_e32 v[56:57], v[102:103], v[56:57]
	;; [unrolled: 1-line block ×8, first 2 shown]
	ds_load_b128 v[18:21], v43 offset:112
	ds_load_b128 v[22:25], v43 offset:2160
	;; [unrolled: 1-line block ×4, first 2 shown]
	s_wait_dscnt 0x0
	v_mul_f64_e32 v[100:101], v[46:47], v[50:51]
	v_mul_f64_e32 v[102:103], v[44:45], v[50:51]
	;; [unrolled: 1-line block ×8, first 2 shown]
	v_fma_f64 v[90:91], v[58:59], v[66:67], -v[90:91]
	v_fmac_f64_e32 v[92:93], v[60:61], v[66:67]
	v_fma_f64 v[58:59], v[58:59], v[70:71], -v[94:95]
	v_fmac_f64_e32 v[96:97], v[60:61], v[70:71]
	;; [unrolled: 2-line block ×4, first 2 shown]
	s_barrier_signal -1
	s_barrier_wait -1
	v_mul_f64_e32 v[94:95], v[18:19], v[36:37]
	v_add_f64_e32 v[2:3], v[2:3], v[98:99]
	v_add_f64_e32 v[56:57], v[104:105], v[56:57]
	;; [unrolled: 1-line block ×8, first 2 shown]
	v_mul_f64_e32 v[84:85], v[20:21], v[32:33]
	v_mul_f64_e32 v[86:87], v[18:19], v[32:33]
	;; [unrolled: 1-line block ×7, first 2 shown]
	v_fma_f64 v[36:37], v[44:45], v[48:49], -v[100:101]
	v_fmac_f64_e32 v[102:103], v[46:47], v[48:49]
	v_fma_f64 v[44:45], v[44:45], v[52:53], -v[108:109]
	v_fmac_f64_e32 v[112:113], v[46:47], v[52:53]
	;; [unrolled: 2-line block ×4, first 2 shown]
	v_fmac_f64_e32 v[94:95], v[20:21], v[34:35]
	v_add_f64_e32 v[2:3], v[2:3], v[90:91]
	v_add_f64_e32 v[52:53], v[92:93], v[56:57]
	v_add_f64_e32 v[56:57], v[64:65], v[58:59]
	v_add_f64_e32 v[58:59], v[96:97], v[66:67]
	v_add_f64_e32 v[60:61], v[70:71], v[60:61]
	v_add_f64_e32 v[64:65], v[68:69], v[78:79]
	v_add_f64_e32 v[62:63], v[80:81], v[62:63]
	v_add_f64_e32 v[66:67], v[72:73], v[82:83]
	v_fma_f64 v[68:69], v[18:19], v[30:31], -v[84:85]
	v_fmac_f64_e32 v[86:87], v[20:21], v[30:31]
	v_fma_f64 v[18:19], v[18:19], v[34:35], -v[88:89]
	v_fma_f64 v[20:21], v[22:23], v[30:31], -v[98:99]
	v_fmac_f64_e32 v[104:105], v[24:25], v[30:31]
	v_fma_f64 v[70:71], v[22:23], v[34:35], -v[32:33]
	v_fmac_f64_e32 v[106:107], v[24:25], v[34:35]
	v_add_f64_e32 v[2:3], v[2:3], v[36:37]
	v_add_f64_e32 v[22:23], v[102:103], v[52:53]
	;; [unrolled: 1-line block ×16, first 2 shown]
	s_cbranch_scc0 .LBB426_18
.LBB426_10:                             ;   Parent Loop BB426_7 Depth=1
                                        ; =>  This Inner Loop Header: Depth=2
	v_add_nc_u32_e32 v1, s20, v38
	s_delay_alu instid0(VALU_DEP_1) | instskip(SKIP_1) | instid1(SALU_CYCLE_1)
	v_cmp_le_i32_e32 vcc_lo, s5, v1
	s_or_b32 s21, s8, vcc_lo
	s_and_saveexec_b32 s28, s21
	s_delay_alu instid0(SALU_CYCLE_1)
	s_xor_b32 s21, exec_lo, s28
; %bb.11:                               ;   in Loop: Header=BB426_10 Depth=2
	v_dual_mov_b32 v1, v0 :: v_dual_mov_b32 v2, v0
	v_mov_b32_e32 v3, v0
	ds_store_b128 v40, v[0:3]
; %bb.12:                               ;   in Loop: Header=BB426_10 Depth=2
	s_and_not1_saveexec_b32 s21, s21
	s_cbranch_execz .LBB426_14
; %bb.13:                               ;   in Loop: Header=BB426_10 Depth=2
	flat_load_b128 v[44:47], v[26:27]
	s_wait_loadcnt_dscnt 0x0
	ds_store_2addr_b64 v40, v[44:45], v[46:47] offset1:1
.LBB426_14:                             ;   in Loop: Header=BB426_10 Depth=2
	s_wait_xcnt 0x0
	s_or_b32 exec_lo, exec_lo, s21
	v_add_nc_u32_e32 v1, s20, v39
	s_delay_alu instid0(VALU_DEP_1) | instskip(SKIP_1) | instid1(SALU_CYCLE_1)
	v_cmp_le_i32_e32 vcc_lo, s5, v1
	s_or_b32 s21, vcc_lo, s9
	s_and_saveexec_b32 s28, s21
	s_delay_alu instid0(SALU_CYCLE_1)
	s_xor_b32 s21, exec_lo, s28
; %bb.15:                               ;   in Loop: Header=BB426_10 Depth=2
	v_dual_mov_b32 v1, v0 :: v_dual_mov_b32 v2, v0
	v_mov_b32_e32 v3, v0
	ds_store_b128 v41, v[0:3]
; %bb.16:                               ;   in Loop: Header=BB426_10 Depth=2
	s_and_not1_saveexec_b32 s21, s21
	s_cbranch_execz .LBB426_9
; %bb.17:                               ;   in Loop: Header=BB426_10 Depth=2
	flat_load_b128 v[44:47], v[28:29]
	s_wait_loadcnt_dscnt 0x0
	ds_store_2addr_b64 v41, v[44:45], v[46:47] offset1:1
	s_branch .LBB426_9
.LBB426_18:                             ;   in Loop: Header=BB426_7 Depth=1
	s_wait_loadcnt 0x0
	v_add_nc_u64_e32 v[26:27], s[0:1], v[4:5]
	s_delay_alu instid0(VALU_DEP_1)
	v_lshl_add_u64 v[28:29], v[8:9], 4, v[26:27]
	s_wait_xcnt 0x0
	s_and_saveexec_b32 s20, s30
	s_cbranch_execz .LBB426_23
; %bb.19:                               ;   in Loop: Header=BB426_7 Depth=1
	v_mul_f64_e32 v[2:3], s[18:19], v[36:37]
	v_mul_f64_e32 v[4:5], s[16:17], v[36:37]
	s_and_b32 vcc_lo, exec_lo, s26
	s_mov_b32 s21, -1
	s_delay_alu instid0(VALU_DEP_2) | instskip(NEXT) | instid1(VALU_DEP_2)
	v_fma_f64 v[2:3], s[16:17], v[34:35], -v[2:3]
	v_fmac_f64_e32 v[4:5], s[18:19], v[34:35]
	v_lshl_add_u64 v[34:35], v[6:7], 4, v[28:29]
	s_cbranch_vccz .LBB426_21
; %bb.20:                               ;   in Loop: Header=BB426_7 Depth=1
	flat_load_b128 v[44:47], v[34:35]
	s_mov_b32 s21, 0
	s_wait_loadcnt_dscnt 0x0
	v_mul_f64_e32 v[36:37], s[12:13], v[46:47]
	v_mul_f64_e32 v[46:47], s[10:11], v[46:47]
	s_delay_alu instid0(VALU_DEP_2) | instskip(NEXT) | instid1(VALU_DEP_2)
	v_fma_f64 v[36:37], s[10:11], v[44:45], -v[36:37]
	v_fmac_f64_e32 v[46:47], s[12:13], v[44:45]
	s_delay_alu instid0(VALU_DEP_2) | instskip(NEXT) | instid1(VALU_DEP_2)
	v_add_f64_e32 v[44:45], v[2:3], v[36:37]
	v_add_f64_e32 v[46:47], v[4:5], v[46:47]
	flat_store_b128 v[34:35], v[44:47]
.LBB426_21:                             ;   in Loop: Header=BB426_7 Depth=1
	s_and_not1_b32 vcc_lo, exec_lo, s21
	s_cbranch_vccnz .LBB426_23
; %bb.22:                               ;   in Loop: Header=BB426_7 Depth=1
	flat_store_b128 v[34:35], v[2:5]
.LBB426_23:                             ;   in Loop: Header=BB426_7 Depth=1
	s_wait_xcnt 0x0
	s_or_b32 exec_lo, exec_lo, s20
	s_and_saveexec_b32 s20, s31
	s_cbranch_execz .LBB426_28
; %bb.24:                               ;   in Loop: Header=BB426_7 Depth=1
	v_mul_f64_e32 v[2:3], s[18:19], v[32:33]
	v_mul_f64_e32 v[4:5], s[16:17], v[32:33]
	v_lshl_add_u64 v[28:29], v[10:11], 4, v[28:29]
	s_and_not1_b32 vcc_lo, exec_lo, s26
	s_mov_b32 s21, -1
	s_delay_alu instid0(VALU_DEP_3) | instskip(NEXT) | instid1(VALU_DEP_3)
	v_fma_f64 v[2:3], s[16:17], v[30:31], -v[2:3]
	v_fmac_f64_e32 v[4:5], s[18:19], v[30:31]
	s_cbranch_vccnz .LBB426_26
; %bb.25:                               ;   in Loop: Header=BB426_7 Depth=1
	flat_load_b128 v[30:33], v[28:29]
	s_mov_b32 s21, 0
	s_wait_loadcnt_dscnt 0x0
	v_mul_f64_e32 v[34:35], s[12:13], v[32:33]
	v_mul_f64_e32 v[32:33], s[10:11], v[32:33]
	s_delay_alu instid0(VALU_DEP_2) | instskip(NEXT) | instid1(VALU_DEP_2)
	v_fma_f64 v[34:35], s[10:11], v[30:31], -v[34:35]
	v_fmac_f64_e32 v[32:33], s[12:13], v[30:31]
	s_delay_alu instid0(VALU_DEP_2) | instskip(NEXT) | instid1(VALU_DEP_2)
	v_add_f64_e32 v[30:31], v[2:3], v[34:35]
	v_add_f64_e32 v[32:33], v[4:5], v[32:33]
	flat_store_b128 v[28:29], v[30:33]
.LBB426_26:                             ;   in Loop: Header=BB426_7 Depth=1
	s_and_not1_b32 vcc_lo, exec_lo, s21
	s_cbranch_vccnz .LBB426_28
; %bb.27:                               ;   in Loop: Header=BB426_7 Depth=1
	flat_store_b128 v[28:29], v[2:5]
.LBB426_28:                             ;   in Loop: Header=BB426_7 Depth=1
	s_wait_xcnt 0x0
	s_or_b32 exec_lo, exec_lo, s20
	v_lshl_add_u64 v[26:27], v[12:13], 4, v[26:27]
	s_and_saveexec_b32 s20, s2
	s_cbranch_execz .LBB426_33
; %bb.29:                               ;   in Loop: Header=BB426_7 Depth=1
	v_mul_f64_e32 v[2:3], s[18:19], v[24:25]
	v_mul_f64_e32 v[4:5], s[16:17], v[24:25]
	s_and_not1_b32 vcc_lo, exec_lo, s26
	s_mov_b32 s21, -1
	s_delay_alu instid0(VALU_DEP_2) | instskip(NEXT) | instid1(VALU_DEP_2)
	v_fma_f64 v[2:3], s[16:17], v[22:23], -v[2:3]
	v_fmac_f64_e32 v[4:5], s[18:19], v[22:23]
	v_lshl_add_u64 v[22:23], v[6:7], 4, v[26:27]
	s_cbranch_vccnz .LBB426_31
; %bb.30:                               ;   in Loop: Header=BB426_7 Depth=1
	flat_load_b128 v[28:31], v[22:23]
	s_mov_b32 s21, 0
	s_wait_loadcnt_dscnt 0x0
	v_mul_f64_e32 v[24:25], s[12:13], v[30:31]
	v_mul_f64_e32 v[30:31], s[10:11], v[30:31]
	s_delay_alu instid0(VALU_DEP_2) | instskip(NEXT) | instid1(VALU_DEP_2)
	v_fma_f64 v[24:25], s[10:11], v[28:29], -v[24:25]
	v_fmac_f64_e32 v[30:31], s[12:13], v[28:29]
	s_delay_alu instid0(VALU_DEP_2) | instskip(NEXT) | instid1(VALU_DEP_2)
	v_add_f64_e32 v[28:29], v[2:3], v[24:25]
	v_add_f64_e32 v[30:31], v[4:5], v[30:31]
	flat_store_b128 v[22:23], v[28:31]
.LBB426_31:                             ;   in Loop: Header=BB426_7 Depth=1
	s_and_not1_b32 vcc_lo, exec_lo, s21
	s_cbranch_vccnz .LBB426_33
; %bb.32:                               ;   in Loop: Header=BB426_7 Depth=1
	flat_store_b128 v[22:23], v[2:5]
.LBB426_33:                             ;   in Loop: Header=BB426_7 Depth=1
	s_wait_xcnt 0x0
	s_or_b32 exec_lo, exec_lo, s20
	s_and_saveexec_b32 s20, s3
	s_cbranch_execz .LBB426_6
; %bb.34:                               ;   in Loop: Header=BB426_7 Depth=1
	s_delay_alu instid0(VALU_DEP_4) | instskip(SKIP_3) | instid1(VALU_DEP_2)
	v_mul_f64_e32 v[2:3], s[18:19], v[20:21]
	v_mul_f64_e32 v[4:5], s[16:17], v[20:21]
	s_and_not1_b32 vcc_lo, exec_lo, s26
	s_mov_b32 s21, -1
	v_fma_f64 v[2:3], s[16:17], v[18:19], -v[2:3]
	s_delay_alu instid0(VALU_DEP_2)
	v_fmac_f64_e32 v[4:5], s[18:19], v[18:19]
	v_lshl_add_u64 v[18:19], v[10:11], 4, v[26:27]
	s_cbranch_vccnz .LBB426_36
; %bb.35:                               ;   in Loop: Header=BB426_7 Depth=1
	flat_load_b128 v[20:23], v[18:19]
	s_mov_b32 s21, 0
	s_wait_loadcnt_dscnt 0x0
	v_mul_f64_e32 v[24:25], s[12:13], v[22:23]
	v_mul_f64_e32 v[22:23], s[10:11], v[22:23]
	s_delay_alu instid0(VALU_DEP_2) | instskip(NEXT) | instid1(VALU_DEP_2)
	v_fma_f64 v[24:25], s[10:11], v[20:21], -v[24:25]
	v_fmac_f64_e32 v[22:23], s[12:13], v[20:21]
	s_delay_alu instid0(VALU_DEP_2) | instskip(NEXT) | instid1(VALU_DEP_2)
	v_add_f64_e32 v[20:21], v[2:3], v[24:25]
	v_add_f64_e32 v[22:23], v[4:5], v[22:23]
	flat_store_b128 v[18:19], v[20:23]
.LBB426_36:                             ;   in Loop: Header=BB426_7 Depth=1
	s_and_not1_b32 vcc_lo, exec_lo, s21
	s_cbranch_vccnz .LBB426_6
; %bb.37:                               ;   in Loop: Header=BB426_7 Depth=1
	flat_store_b128 v[18:19], v[2:5]
	s_branch .LBB426_6
.LBB426_38:
.LBB426_39:
	s_sendmsg sendmsg(MSG_DEALLOC_VGPRS)
	s_endpgm
	.section	.rodata,"a",@progbits
	.p2align	6, 0x0
	.amdhsa_kernel _ZL29rocblas_internal_gemmt_kernelIiLi16ELi32ELi8ELc84ELc78ELc76ELb0ELb0E19rocblas_complex_numIdES1_PKPKS1_PKPS1_EviT_T9_T10_S9_lSB_S9_lSA_T11_S9_li
		.amdhsa_group_segment_fixed_size 8192
		.amdhsa_private_segment_fixed_size 0
		.amdhsa_kernarg_size 116
		.amdhsa_user_sgpr_count 2
		.amdhsa_user_sgpr_dispatch_ptr 0
		.amdhsa_user_sgpr_queue_ptr 0
		.amdhsa_user_sgpr_kernarg_segment_ptr 1
		.amdhsa_user_sgpr_dispatch_id 0
		.amdhsa_user_sgpr_kernarg_preload_length 0
		.amdhsa_user_sgpr_kernarg_preload_offset 0
		.amdhsa_user_sgpr_private_segment_size 0
		.amdhsa_wavefront_size32 1
		.amdhsa_uses_dynamic_stack 0
		.amdhsa_enable_private_segment 0
		.amdhsa_system_sgpr_workgroup_id_x 1
		.amdhsa_system_sgpr_workgroup_id_y 1
		.amdhsa_system_sgpr_workgroup_id_z 1
		.amdhsa_system_sgpr_workgroup_info 0
		.amdhsa_system_vgpr_workitem_id 1
		.amdhsa_next_free_vgpr 132
		.amdhsa_next_free_sgpr 41
		.amdhsa_named_barrier_count 0
		.amdhsa_reserve_vcc 1
		.amdhsa_float_round_mode_32 0
		.amdhsa_float_round_mode_16_64 0
		.amdhsa_float_denorm_mode_32 3
		.amdhsa_float_denorm_mode_16_64 3
		.amdhsa_fp16_overflow 0
		.amdhsa_memory_ordered 1
		.amdhsa_forward_progress 1
		.amdhsa_inst_pref_size 24
		.amdhsa_round_robin_scheduling 0
		.amdhsa_exception_fp_ieee_invalid_op 0
		.amdhsa_exception_fp_denorm_src 0
		.amdhsa_exception_fp_ieee_div_zero 0
		.amdhsa_exception_fp_ieee_overflow 0
		.amdhsa_exception_fp_ieee_underflow 0
		.amdhsa_exception_fp_ieee_inexact 0
		.amdhsa_exception_int_div_zero 0
	.end_amdhsa_kernel
	.section	.text._ZL29rocblas_internal_gemmt_kernelIiLi16ELi32ELi8ELc84ELc78ELc76ELb0ELb0E19rocblas_complex_numIdES1_PKPKS1_PKPS1_EviT_T9_T10_S9_lSB_S9_lSA_T11_S9_li,"axG",@progbits,_ZL29rocblas_internal_gemmt_kernelIiLi16ELi32ELi8ELc84ELc78ELc76ELb0ELb0E19rocblas_complex_numIdES1_PKPKS1_PKPS1_EviT_T9_T10_S9_lSB_S9_lSA_T11_S9_li,comdat
.Lfunc_end426:
	.size	_ZL29rocblas_internal_gemmt_kernelIiLi16ELi32ELi8ELc84ELc78ELc76ELb0ELb0E19rocblas_complex_numIdES1_PKPKS1_PKPS1_EviT_T9_T10_S9_lSB_S9_lSA_T11_S9_li, .Lfunc_end426-_ZL29rocblas_internal_gemmt_kernelIiLi16ELi32ELi8ELc84ELc78ELc76ELb0ELb0E19rocblas_complex_numIdES1_PKPKS1_PKPS1_EviT_T9_T10_S9_lSB_S9_lSA_T11_S9_li
                                        ; -- End function
	.set _ZL29rocblas_internal_gemmt_kernelIiLi16ELi32ELi8ELc84ELc78ELc76ELb0ELb0E19rocblas_complex_numIdES1_PKPKS1_PKPS1_EviT_T9_T10_S9_lSB_S9_lSA_T11_S9_li.num_vgpr, 132
	.set _ZL29rocblas_internal_gemmt_kernelIiLi16ELi32ELi8ELc84ELc78ELc76ELb0ELb0E19rocblas_complex_numIdES1_PKPKS1_PKPS1_EviT_T9_T10_S9_lSB_S9_lSA_T11_S9_li.num_agpr, 0
	.set _ZL29rocblas_internal_gemmt_kernelIiLi16ELi32ELi8ELc84ELc78ELc76ELb0ELb0E19rocblas_complex_numIdES1_PKPKS1_PKPS1_EviT_T9_T10_S9_lSB_S9_lSA_T11_S9_li.numbered_sgpr, 41
	.set _ZL29rocblas_internal_gemmt_kernelIiLi16ELi32ELi8ELc84ELc78ELc76ELb0ELb0E19rocblas_complex_numIdES1_PKPKS1_PKPS1_EviT_T9_T10_S9_lSB_S9_lSA_T11_S9_li.num_named_barrier, 0
	.set _ZL29rocblas_internal_gemmt_kernelIiLi16ELi32ELi8ELc84ELc78ELc76ELb0ELb0E19rocblas_complex_numIdES1_PKPKS1_PKPS1_EviT_T9_T10_S9_lSB_S9_lSA_T11_S9_li.private_seg_size, 0
	.set _ZL29rocblas_internal_gemmt_kernelIiLi16ELi32ELi8ELc84ELc78ELc76ELb0ELb0E19rocblas_complex_numIdES1_PKPKS1_PKPS1_EviT_T9_T10_S9_lSB_S9_lSA_T11_S9_li.uses_vcc, 1
	.set _ZL29rocblas_internal_gemmt_kernelIiLi16ELi32ELi8ELc84ELc78ELc76ELb0ELb0E19rocblas_complex_numIdES1_PKPKS1_PKPS1_EviT_T9_T10_S9_lSB_S9_lSA_T11_S9_li.uses_flat_scratch, 0
	.set _ZL29rocblas_internal_gemmt_kernelIiLi16ELi32ELi8ELc84ELc78ELc76ELb0ELb0E19rocblas_complex_numIdES1_PKPKS1_PKPS1_EviT_T9_T10_S9_lSB_S9_lSA_T11_S9_li.has_dyn_sized_stack, 0
	.set _ZL29rocblas_internal_gemmt_kernelIiLi16ELi32ELi8ELc84ELc78ELc76ELb0ELb0E19rocblas_complex_numIdES1_PKPKS1_PKPS1_EviT_T9_T10_S9_lSB_S9_lSA_T11_S9_li.has_recursion, 0
	.set _ZL29rocblas_internal_gemmt_kernelIiLi16ELi32ELi8ELc84ELc78ELc76ELb0ELb0E19rocblas_complex_numIdES1_PKPKS1_PKPS1_EviT_T9_T10_S9_lSB_S9_lSA_T11_S9_li.has_indirect_call, 0
	.section	.AMDGPU.csdata,"",@progbits
; Kernel info:
; codeLenInByte = 2984
; TotalNumSgprs: 43
; NumVgprs: 132
; ScratchSize: 0
; MemoryBound: 0
; FloatMode: 240
; IeeeMode: 1
; LDSByteSize: 8192 bytes/workgroup (compile time only)
; SGPRBlocks: 0
; VGPRBlocks: 8
; NumSGPRsForWavesPerEU: 43
; NumVGPRsForWavesPerEU: 132
; NamedBarCnt: 0
; Occupancy: 7
; WaveLimiterHint : 1
; COMPUTE_PGM_RSRC2:SCRATCH_EN: 0
; COMPUTE_PGM_RSRC2:USER_SGPR: 2
; COMPUTE_PGM_RSRC2:TRAP_HANDLER: 0
; COMPUTE_PGM_RSRC2:TGID_X_EN: 1
; COMPUTE_PGM_RSRC2:TGID_Y_EN: 1
; COMPUTE_PGM_RSRC2:TGID_Z_EN: 1
; COMPUTE_PGM_RSRC2:TIDIG_COMP_CNT: 1
	.section	.text._ZL29rocblas_internal_gemmt_kernelIiLi16ELi32ELi8ELc84ELc84ELc76ELb0ELb0E19rocblas_complex_numIdES1_PKPKS1_PKPS1_EviT_T9_T10_S9_lSB_S9_lSA_T11_S9_li,"axG",@progbits,_ZL29rocblas_internal_gemmt_kernelIiLi16ELi32ELi8ELc84ELc84ELc76ELb0ELb0E19rocblas_complex_numIdES1_PKPKS1_PKPS1_EviT_T9_T10_S9_lSB_S9_lSA_T11_S9_li,comdat
	.globl	_ZL29rocblas_internal_gemmt_kernelIiLi16ELi32ELi8ELc84ELc84ELc76ELb0ELb0E19rocblas_complex_numIdES1_PKPKS1_PKPS1_EviT_T9_T10_S9_lSB_S9_lSA_T11_S9_li ; -- Begin function _ZL29rocblas_internal_gemmt_kernelIiLi16ELi32ELi8ELc84ELc84ELc76ELb0ELb0E19rocblas_complex_numIdES1_PKPKS1_PKPS1_EviT_T9_T10_S9_lSB_S9_lSA_T11_S9_li
	.p2align	8
	.type	_ZL29rocblas_internal_gemmt_kernelIiLi16ELi32ELi8ELc84ELc84ELc76ELb0ELb0E19rocblas_complex_numIdES1_PKPKS1_PKPS1_EviT_T9_T10_S9_lSB_S9_lSA_T11_S9_li,@function
_ZL29rocblas_internal_gemmt_kernelIiLi16ELi32ELi8ELc84ELc84ELc76ELb0ELb0E19rocblas_complex_numIdES1_PKPKS1_PKPS1_EviT_T9_T10_S9_lSB_S9_lSA_T11_S9_li: ; @_ZL29rocblas_internal_gemmt_kernelIiLi16ELi32ELi8ELc84ELc84ELc76ELb0ELb0E19rocblas_complex_numIdES1_PKPKS1_PKPS1_EviT_T9_T10_S9_lSB_S9_lSA_T11_S9_li
; %bb.0:
	s_clause 0x2
	s_load_b256 s[8:15], s[0:1], 0x40
	s_load_b64 s[4:5], s[0:1], 0x0
	s_load_b128 s[16:19], s[0:1], 0x8
	s_wait_kmcnt 0x0
	v_cmp_eq_f64_e64 s2, s[10:11], 1.0
	v_cmp_eq_f64_e64 s33, s[12:13], 0
	s_and_b32 s2, s2, s33
	s_delay_alu instid0(SALU_CYCLE_1)
	s_and_not1_b32 vcc_lo, exec_lo, s2
	s_mov_b32 s2, -1
	s_cbranch_vccnz .LBB427_3
; %bb.1:
	s_cmp_lg_u32 s5, 0
	s_cbranch_scc0 .LBB427_38
; %bb.2:
	v_cmp_neq_f64_e64 s2, s[16:17], 0
	v_cmp_neq_f64_e64 s3, s[18:19], 0
	s_or_b32 s2, s2, s3
.LBB427_3:
	s_delay_alu instid0(SALU_CYCLE_1)
	s_and_b32 vcc_lo, exec_lo, s2
	s_cbranch_vccz .LBB427_39
; %bb.4:
	s_load_b32 s27, s[0:1], 0x70
	s_bfe_u32 s2, ttmp6, 0x40014
	s_lshr_b32 s3, ttmp7, 16
	s_add_co_i32 s2, s2, 1
	s_bfe_u32 s6, ttmp6, 0x40008
	s_mul_i32 s2, s3, s2
	s_getreg_b32 s34, hwreg(HW_REG_IB_STS2, 6, 4)
	s_add_co_i32 s6, s6, s2
	s_cmp_eq_u32 s34, 0
	s_mov_b32 s7, 0
	s_cselect_b32 s6, s3, s6
	s_wait_kmcnt 0x0
	s_cmp_ge_u32 s6, s27
	s_cbranch_scc1 .LBB427_39
; %bb.5:
	s_clause 0x2
	s_load_b96 s[24:26], s[0:1], 0x18
	s_load_b32 s28, s[0:1], 0x38
	s_load_b32 s2, s[0:1], 0x60
	v_and_b32_e32 v1, 0x3ff, v0
	v_bfe_u32 v9, v0, 10, 10
	s_clause 0x1
	s_load_b128 s[20:23], s[0:1], 0x28
	s_load_b64 s[30:31], s[0:1], 0x68
	s_wait_xcnt 0x0
	s_bfe_u32 s0, ttmp6, 0x4000c
	s_bfe_u32 s39, ttmp6, 0x40010
	v_cmp_neq_f64_e64 s35, s[16:17], 0
	v_cmp_neq_f64_e64 s36, s[18:19], 0
	s_and_b32 s38, ttmp7, 0xffff
	s_add_co_i32 s40, s0, 1
	s_add_co_i32 s39, s39, 1
	v_and_b32_e32 v6, 7, v0
	v_lshl_add_u32 v0, v9, 4, v1
	s_and_b32 s37, ttmp6, 15
	s_mul_i32 s39, s38, s39
	v_lshl_add_u32 v43, v9, 7, 0x1000
	s_delay_alu instid0(VALU_DEP_2)
	v_dual_lshlrev_b32 v42, 4, v1 :: v_dual_bitop2_b32 v5, 31, v0 bitop3:0x40
	v_lshrrev_b32_e32 v8, 3, v0
	s_wait_kmcnt 0x0
	s_ashr_i32 s1, s26, 31
	s_mov_b32 s0, s26
	s_mul_i32 s26, ttmp9, s40
	s_bfe_u32 s40, ttmp6, 0x40004
	s_ashr_i32 s29, s28, 31
	s_ashr_i32 s3, s2, 31
	s_add_co_i32 s37, s37, s26
	s_add_co_i32 s40, s40, s39
	s_cmp_eq_u32 s34, 0
	v_lshrrev_b32_e32 v40, 5, v0
	s_cselect_b32 s26, ttmp9, s37
	s_cselect_b32 s34, s38, s40
	s_lshl_b32 s26, s26, 5
	s_delay_alu instid0(SALU_CYCLE_1)
	v_dual_mov_b32 v0, 0 :: v_dual_bitop2_b32 v2, s26, v5 bitop3:0x54
	s_lshl_b32 s34, s34, 5
	s_delay_alu instid0(VALU_DEP_1) | instid1(SALU_CYCLE_1)
	v_dual_mov_b32 v7, v0 :: v_dual_add_nc_u32 v18, s34, v9
	s_delay_alu instid0(VALU_DEP_2) | instskip(SKIP_3) | instid1(VALU_DEP_3)
	v_dual_ashrrev_i32 v3, 31, v2 :: v_dual_add_nc_u32 v4, s34, v8
	v_cmp_gt_i32_e32 vcc_lo, s4, v2
	s_or_b32 s35, s35, s36
	v_cmp_neq_f64_e64 s36, s[10:11], 0
	v_mul_u64_e32 v[16:17], s[0:1], v[2:3]
	v_dual_lshlrev_b32 v3, 4, v5 :: v_dual_lshlrev_b32 v5, 4, v6
	v_mul_u64_e32 v[20:21], s[28:29], v[6:7]
	v_dual_add_nc_u32 v2, 16, v18 :: v_dual_ashrrev_i32 v19, 31, v18
	s_delay_alu instid0(VALU_DEP_3) | instskip(NEXT) | instid1(VALU_DEP_4)
	v_lshl_or_b32 v7, v40, 9, v3
	v_lshl_or_b32 v5, v8, 7, v5
	s_delay_alu instid0(VALU_DEP_3) | instskip(NEXT) | instid1(VALU_DEP_4)
	v_dual_add_nc_u32 v8, s26, v1 :: v_dual_ashrrev_i32 v3, 31, v2
	v_mul_u64_e32 v[10:11], s[2:3], v[18:19]
	v_cmp_gt_i32_e64 s0, s4, v4
	s_cmp_gt_i32 s5, 0
	v_dual_add_nc_u32 v12, 16, v8 :: v_dual_ashrrev_i32 v9, 31, v8
	v_mul_u64_e32 v[14:15], s[2:3], v[2:3]
	v_cmp_le_i32_e64 s1, v18, v8
	v_cmp_gt_i32_e64 s2, s4, v8
	s_delay_alu instid0(VALU_DEP_4)
	v_cmp_le_i32_e64 s3, v18, v12
	v_cmp_gt_i32_e64 s4, s4, v12
	s_cselect_b32 s37, -1, 0
	s_lshl_b64 s[20:21], s[20:21], 4
	s_xor_b32 s26, s33, -1
	s_and_b32 s33, s1, s2
	s_and_b32 s34, s3, s4
	v_cmp_le_i32_e64 s1, v2, v8
	v_cmp_le_i32_e64 s3, v2, v12
	s_lshl_b64 s[8:9], s[8:9], 4
	v_add_nc_u32_e32 v41, 0x1000, v5
	v_ashrrev_i32_e32 v5, 31, v4
	v_ashrrev_i32_e32 v13, 31, v12
	s_or_b32 s26, s36, s26
	v_lshl_add_u64 v[2:3], v[16:17], 4, s[20:21]
	v_dual_mov_b32 v17, v0 :: v_dual_lshlrev_b32 v16, 4, v40
	v_lshl_add_u64 v[18:19], v[20:21], 4, s[8:9]
	s_and_b32 s8, s1, s2
	s_and_b32 s4, s3, s4
	s_lshl_b64 s[2:3], s[28:29], 7
	v_add_nc_u64_e32 v[16:17], v[2:3], v[16:17]
	v_lshl_add_u64 v[18:19], v[4:5], 4, v[18:19]
	s_and_b32 s9, s35, s37
	s_xor_b32 s20, vcc_lo, -1
	s_xor_b32 s21, s0, -1
	s_lshl_b64 s[0:1], s[30:31], 4
	s_branch .LBB427_7
.LBB427_6:                              ;   in Loop: Header=BB427_7 Depth=1
	s_wait_xcnt 0x0
	s_or_b32 exec_lo, exec_lo, s28
	s_add_co_i32 s6, s6, 0x10000
	s_delay_alu instid0(SALU_CYCLE_1)
	s_cmp_lt_u32 s6, s27
	s_cbranch_scc0 .LBB427_39
.LBB427_7:                              ; =>This Loop Header: Depth=1
                                        ;     Child Loop BB427_10 Depth 2
	v_mov_b32_e32 v1, s6
	v_mov_b64_e32 v[36:37], 0
	v_mov_b64_e32 v[38:39], 0
	;; [unrolled: 1-line block ×4, first 2 shown]
	global_load_b64 v[4:5], v1, s[14:15] scale_offset
	v_mov_b64_e32 v[24:25], 0
	v_mov_b64_e32 v[26:27], 0
	;; [unrolled: 1-line block ×4, first 2 shown]
	s_and_not1_b32 vcc_lo, exec_lo, s9
	s_cbranch_vccnz .LBB427_18
; %bb.8:                                ;   in Loop: Header=BB427_7 Depth=1
	s_lshl_b64 s[28:29], s[6:7], 3
	v_mov_b64_e32 v[22:23], 0
	s_add_nc_u64 s[30:31], s[24:25], s[28:29]
	s_add_nc_u64 s[28:29], s[22:23], s[28:29]
	s_clause 0x1
	global_load_b64 v[2:3], v0, s[30:31]
	global_load_b64 v[30:31], v0, s[28:29]
	v_mov_b64_e32 v[20:21], 0
	v_mov_b64_e32 v[26:27], 0
	;; [unrolled: 1-line block ×7, first 2 shown]
	s_wait_xcnt 0x0
	s_mov_b32 s28, 0
	s_wait_loadcnt 0x1
	v_add_nc_u64_e32 v[28:29], v[2:3], v[16:17]
	s_wait_loadcnt 0x0
	v_add_nc_u64_e32 v[30:31], v[30:31], v[18:19]
	s_branch .LBB427_10
.LBB427_9:                              ;   in Loop: Header=BB427_10 Depth=2
	s_wait_xcnt 0x0
	s_or_b32 exec_lo, exec_lo, s29
	s_wait_dscnt 0x0
	s_barrier_signal -1
	s_barrier_wait -1
	ds_load_b128 v[44:47], v43
	ds_load_b128 v[48:51], v42
	ds_load_b128 v[52:55], v42 offset:256
	ds_load_b128 v[56:59], v43 offset:2048
	;; [unrolled: 1-line block ×10, first 2 shown]
	v_add_nc_u64_e32 v[28:29], 0x80, v[28:29]
	v_add_nc_u64_e32 v[30:31], s[2:3], v[30:31]
	s_add_co_i32 s28, s28, 8
	s_delay_alu instid0(SALU_CYCLE_1)
	s_cmp_lt_i32 s28, s5
	s_wait_dscnt 0xa
	v_mul_f64_e32 v[2:3], v[46:47], v[50:51]
	v_mul_f64_e32 v[92:93], v[44:45], v[50:51]
	s_wait_dscnt 0x9
	v_mul_f64_e32 v[94:95], v[46:47], v[54:55]
	v_mul_f64_e32 v[96:97], v[44:45], v[54:55]
	s_wait_dscnt 0x8
	v_mul_f64_e32 v[98:99], v[58:59], v[50:51]
	v_mul_f64_e32 v[100:101], v[56:57], v[50:51]
	v_mul_f64_e32 v[50:51], v[58:59], v[54:55]
	v_mul_f64_e32 v[102:103], v[56:57], v[54:55]
	s_wait_dscnt 0x6
	v_mul_f64_e32 v[104:105], v[62:63], v[66:67]
	v_mul_f64_e32 v[106:107], v[60:61], v[66:67]
	s_wait_dscnt 0x5
	v_mul_f64_e32 v[108:109], v[62:63], v[70:71]
	v_mul_f64_e32 v[110:111], v[60:61], v[70:71]
	s_wait_dscnt 0x4
	v_mul_f64_e32 v[112:113], v[74:75], v[66:67]
	v_mul_f64_e32 v[66:67], v[72:73], v[66:67]
	v_mul_f64_e32 v[114:115], v[74:75], v[70:71]
	v_mul_f64_e32 v[70:71], v[72:73], v[70:71]
	;; [unrolled: 11-line block ×3, first 2 shown]
	v_fma_f64 v[2:3], v[44:45], v[48:49], -v[2:3]
	v_fmac_f64_e32 v[92:93], v[46:47], v[48:49]
	v_fma_f64 v[94:95], v[44:45], v[52:53], -v[94:95]
	v_fmac_f64_e32 v[96:97], v[46:47], v[52:53]
	;; [unrolled: 2-line block ×8, first 2 shown]
	ds_load_b128 v[44:47], v43 offset:48
	ds_load_b128 v[48:51], v43 offset:2096
	;; [unrolled: 1-line block ×4, first 2 shown]
	v_fma_f64 v[118:119], v[76:77], v[80:81], -v[118:119]
	v_fmac_f64_e32 v[120:121], v[78:79], v[80:81]
	v_fma_f64 v[76:77], v[76:77], v[84:85], -v[122:123]
	v_fmac_f64_e32 v[124:125], v[78:79], v[84:85]
	;; [unrolled: 2-line block ×4, first 2 shown]
	v_add_f64_e32 v[2:3], v[36:37], v[2:3]
	v_add_f64_e32 v[68:69], v[92:93], v[38:39]
	;; [unrolled: 1-line block ×8, first 2 shown]
	s_wait_dscnt 0x1
	v_mul_f64_e32 v[100:101], v[46:47], v[54:55]
	v_mul_f64_e32 v[102:103], v[44:45], v[54:55]
	s_wait_dscnt 0x0
	v_mul_f64_e32 v[108:109], v[46:47], v[58:59]
	v_mul_f64_e32 v[112:113], v[44:45], v[58:59]
	;; [unrolled: 1-line block ×6, first 2 shown]
	ds_load_b128 v[20:23], v43 offset:64
	ds_load_b128 v[24:27], v42 offset:2048
	;; [unrolled: 1-line block ×4, first 2 shown]
	v_add_f64_e32 v[2:3], v[2:3], v[104:105]
	v_add_f64_e32 v[84:85], v[106:107], v[68:69]
	;; [unrolled: 1-line block ×8, first 2 shown]
	s_wait_dscnt 0x2
	v_mul_f64_e32 v[98:99], v[22:23], v[26:27]
	v_mul_f64_e32 v[104:105], v[20:21], v[26:27]
	s_wait_dscnt 0x1
	v_mul_f64_e32 v[106:107], v[22:23], v[34:35]
	v_mul_f64_e32 v[110:111], v[20:21], v[34:35]
	;; [unrolled: 3-line block ×3, first 2 shown]
	v_mul_f64_e32 v[26:27], v[38:39], v[34:35]
	v_mul_f64_e32 v[128:129], v[36:37], v[34:35]
	v_fma_f64 v[34:35], v[44:45], v[52:53], -v[100:101]
	v_fmac_f64_e32 v[102:103], v[46:47], v[52:53]
	v_fma_f64 v[100:101], v[44:45], v[56:57], -v[108:109]
	v_fmac_f64_e32 v[112:113], v[46:47], v[56:57]
	;; [unrolled: 2-line block ×4, first 2 shown]
	ds_load_b128 v[58:61], v43 offset:80
	ds_load_b128 v[62:65], v43 offset:2128
	;; [unrolled: 1-line block ×4, first 2 shown]
	v_add_f64_e32 v[2:3], v[2:3], v[118:119]
	v_add_f64_e32 v[56:57], v[120:121], v[84:85]
	;; [unrolled: 1-line block ×8, first 2 shown]
	v_fma_f64 v[98:99], v[20:21], v[24:25], -v[98:99]
	v_fmac_f64_e32 v[104:105], v[22:23], v[24:25]
	v_fma_f64 v[106:107], v[20:21], v[32:33], -v[106:107]
	s_wait_dscnt 0x1
	v_mul_f64_e32 v[90:91], v[60:61], v[68:69]
	v_mul_f64_e32 v[92:93], v[58:59], v[68:69]
	s_wait_dscnt 0x0
	v_mul_f64_e32 v[94:95], v[60:61], v[72:73]
	v_mul_f64_e32 v[96:97], v[58:59], v[72:73]
	;; [unrolled: 1-line block ×6, first 2 shown]
	v_fmac_f64_e32 v[110:111], v[22:23], v[32:33]
	v_fma_f64 v[122:123], v[36:37], v[24:25], -v[122:123]
	v_fmac_f64_e32 v[126:127], v[38:39], v[24:25]
	v_fma_f64 v[124:125], v[36:37], v[32:33], -v[26:27]
	v_fmac_f64_e32 v[128:129], v[38:39], v[32:33]
	ds_load_b128 v[44:47], v43 offset:96
	ds_load_b128 v[48:51], v42 offset:3072
	;; [unrolled: 1-line block ×4, first 2 shown]
	v_add_f64_e32 v[2:3], v[2:3], v[34:35]
	v_add_f64_e32 v[56:57], v[102:103], v[56:57]
	;; [unrolled: 1-line block ×8, first 2 shown]
	ds_load_b128 v[20:23], v43 offset:112
	ds_load_b128 v[24:27], v43 offset:2160
	;; [unrolled: 1-line block ×4, first 2 shown]
	s_wait_dscnt 0x0
	v_mul_f64_e32 v[100:101], v[46:47], v[50:51]
	v_mul_f64_e32 v[102:103], v[44:45], v[50:51]
	;; [unrolled: 1-line block ×8, first 2 shown]
	v_fma_f64 v[90:91], v[58:59], v[66:67], -v[90:91]
	v_fmac_f64_e32 v[92:93], v[60:61], v[66:67]
	v_fma_f64 v[58:59], v[58:59], v[70:71], -v[94:95]
	v_fmac_f64_e32 v[96:97], v[60:61], v[70:71]
	;; [unrolled: 2-line block ×4, first 2 shown]
	s_barrier_signal -1
	s_barrier_wait -1
	v_mul_f64_e32 v[94:95], v[20:21], v[38:39]
	v_add_f64_e32 v[2:3], v[2:3], v[98:99]
	v_add_f64_e32 v[56:57], v[104:105], v[56:57]
	;; [unrolled: 1-line block ×8, first 2 shown]
	v_mul_f64_e32 v[84:85], v[22:23], v[34:35]
	v_mul_f64_e32 v[86:87], v[20:21], v[34:35]
	;; [unrolled: 1-line block ×7, first 2 shown]
	v_fma_f64 v[38:39], v[44:45], v[48:49], -v[100:101]
	v_fmac_f64_e32 v[102:103], v[46:47], v[48:49]
	v_fma_f64 v[44:45], v[44:45], v[52:53], -v[108:109]
	v_fmac_f64_e32 v[112:113], v[46:47], v[52:53]
	;; [unrolled: 2-line block ×4, first 2 shown]
	v_fmac_f64_e32 v[94:95], v[22:23], v[36:37]
	v_add_f64_e32 v[2:3], v[2:3], v[90:91]
	v_add_f64_e32 v[52:53], v[92:93], v[56:57]
	;; [unrolled: 1-line block ×8, first 2 shown]
	v_fma_f64 v[68:69], v[20:21], v[32:33], -v[84:85]
	v_fmac_f64_e32 v[86:87], v[22:23], v[32:33]
	v_fma_f64 v[20:21], v[20:21], v[36:37], -v[88:89]
	v_fma_f64 v[22:23], v[24:25], v[32:33], -v[98:99]
	v_fmac_f64_e32 v[104:105], v[26:27], v[32:33]
	v_fma_f64 v[70:71], v[24:25], v[36:37], -v[34:35]
	v_fmac_f64_e32 v[106:107], v[26:27], v[36:37]
	v_add_f64_e32 v[2:3], v[2:3], v[38:39]
	v_add_f64_e32 v[24:25], v[102:103], v[52:53]
	;; [unrolled: 1-line block ×16, first 2 shown]
	s_cbranch_scc0 .LBB427_18
.LBB427_10:                             ;   Parent Loop BB427_7 Depth=1
                                        ; =>  This Inner Loop Header: Depth=2
	v_add_nc_u32_e32 v1, s28, v40
	s_delay_alu instid0(VALU_DEP_1) | instskip(SKIP_1) | instid1(SALU_CYCLE_1)
	v_cmp_le_i32_e32 vcc_lo, s5, v1
	s_or_b32 s29, s20, vcc_lo
	s_and_saveexec_b32 s30, s29
	s_delay_alu instid0(SALU_CYCLE_1)
	s_xor_b32 s29, exec_lo, s30
; %bb.11:                               ;   in Loop: Header=BB427_10 Depth=2
	v_dual_mov_b32 v1, v0 :: v_dual_mov_b32 v2, v0
	v_mov_b32_e32 v3, v0
	ds_store_b128 v7, v[0:3]
; %bb.12:                               ;   in Loop: Header=BB427_10 Depth=2
	s_and_not1_saveexec_b32 s29, s29
	s_cbranch_execz .LBB427_14
; %bb.13:                               ;   in Loop: Header=BB427_10 Depth=2
	flat_load_b128 v[44:47], v[28:29]
	s_wait_loadcnt_dscnt 0x0
	ds_store_2addr_b64 v7, v[44:45], v[46:47] offset1:1
.LBB427_14:                             ;   in Loop: Header=BB427_10 Depth=2
	s_wait_xcnt 0x0
	s_or_b32 exec_lo, exec_lo, s29
	v_add_nc_u32_e32 v1, s28, v6
	s_delay_alu instid0(VALU_DEP_1) | instskip(SKIP_1) | instid1(SALU_CYCLE_1)
	v_cmp_le_i32_e32 vcc_lo, s5, v1
	s_or_b32 s29, vcc_lo, s21
	s_and_saveexec_b32 s30, s29
	s_delay_alu instid0(SALU_CYCLE_1)
	s_xor_b32 s29, exec_lo, s30
; %bb.15:                               ;   in Loop: Header=BB427_10 Depth=2
	v_dual_mov_b32 v1, v0 :: v_dual_mov_b32 v2, v0
	v_mov_b32_e32 v3, v0
	ds_store_b128 v41, v[0:3]
; %bb.16:                               ;   in Loop: Header=BB427_10 Depth=2
	s_and_not1_saveexec_b32 s29, s29
	s_cbranch_execz .LBB427_9
; %bb.17:                               ;   in Loop: Header=BB427_10 Depth=2
	flat_load_b128 v[44:47], v[30:31]
	s_wait_loadcnt_dscnt 0x0
	ds_store_2addr_b64 v41, v[44:45], v[46:47] offset1:1
	s_branch .LBB427_9
.LBB427_18:                             ;   in Loop: Header=BB427_7 Depth=1
	s_wait_loadcnt 0x0
	v_add_nc_u64_e32 v[28:29], s[0:1], v[4:5]
	s_delay_alu instid0(VALU_DEP_1)
	v_lshl_add_u64 v[30:31], v[10:11], 4, v[28:29]
	s_wait_xcnt 0x0
	s_and_saveexec_b32 s28, s33
	s_cbranch_execz .LBB427_23
; %bb.19:                               ;   in Loop: Header=BB427_7 Depth=1
	v_mul_f64_e32 v[2:3], s[18:19], v[38:39]
	v_mul_f64_e32 v[4:5], s[16:17], v[38:39]
	s_and_b32 vcc_lo, exec_lo, s26
	s_mov_b32 s29, -1
	s_delay_alu instid0(VALU_DEP_2) | instskip(NEXT) | instid1(VALU_DEP_2)
	v_fma_f64 v[2:3], s[16:17], v[36:37], -v[2:3]
	v_fmac_f64_e32 v[4:5], s[18:19], v[36:37]
	v_lshl_add_u64 v[36:37], v[8:9], 4, v[30:31]
	s_cbranch_vccz .LBB427_21
; %bb.20:                               ;   in Loop: Header=BB427_7 Depth=1
	flat_load_b128 v[44:47], v[36:37]
	s_mov_b32 s29, 0
	s_wait_loadcnt_dscnt 0x0
	v_mul_f64_e32 v[38:39], s[12:13], v[46:47]
	v_mul_f64_e32 v[46:47], s[10:11], v[46:47]
	s_delay_alu instid0(VALU_DEP_2) | instskip(NEXT) | instid1(VALU_DEP_2)
	v_fma_f64 v[38:39], s[10:11], v[44:45], -v[38:39]
	v_fmac_f64_e32 v[46:47], s[12:13], v[44:45]
	s_delay_alu instid0(VALU_DEP_2) | instskip(NEXT) | instid1(VALU_DEP_2)
	v_add_f64_e32 v[44:45], v[2:3], v[38:39]
	v_add_f64_e32 v[46:47], v[4:5], v[46:47]
	flat_store_b128 v[36:37], v[44:47]
.LBB427_21:                             ;   in Loop: Header=BB427_7 Depth=1
	s_and_not1_b32 vcc_lo, exec_lo, s29
	s_cbranch_vccnz .LBB427_23
; %bb.22:                               ;   in Loop: Header=BB427_7 Depth=1
	flat_store_b128 v[36:37], v[2:5]
.LBB427_23:                             ;   in Loop: Header=BB427_7 Depth=1
	s_wait_xcnt 0x0
	s_or_b32 exec_lo, exec_lo, s28
	s_and_saveexec_b32 s28, s34
	s_cbranch_execz .LBB427_28
; %bb.24:                               ;   in Loop: Header=BB427_7 Depth=1
	v_mul_f64_e32 v[2:3], s[18:19], v[34:35]
	v_mul_f64_e32 v[4:5], s[16:17], v[34:35]
	v_lshl_add_u64 v[30:31], v[12:13], 4, v[30:31]
	s_and_not1_b32 vcc_lo, exec_lo, s26
	s_mov_b32 s29, -1
	s_delay_alu instid0(VALU_DEP_3) | instskip(NEXT) | instid1(VALU_DEP_3)
	v_fma_f64 v[2:3], s[16:17], v[32:33], -v[2:3]
	v_fmac_f64_e32 v[4:5], s[18:19], v[32:33]
	s_cbranch_vccnz .LBB427_26
; %bb.25:                               ;   in Loop: Header=BB427_7 Depth=1
	flat_load_b128 v[32:35], v[30:31]
	s_mov_b32 s29, 0
	s_wait_loadcnt_dscnt 0x0
	v_mul_f64_e32 v[36:37], s[12:13], v[34:35]
	v_mul_f64_e32 v[34:35], s[10:11], v[34:35]
	s_delay_alu instid0(VALU_DEP_2) | instskip(NEXT) | instid1(VALU_DEP_2)
	v_fma_f64 v[36:37], s[10:11], v[32:33], -v[36:37]
	v_fmac_f64_e32 v[34:35], s[12:13], v[32:33]
	s_delay_alu instid0(VALU_DEP_2) | instskip(NEXT) | instid1(VALU_DEP_2)
	v_add_f64_e32 v[32:33], v[2:3], v[36:37]
	v_add_f64_e32 v[34:35], v[4:5], v[34:35]
	flat_store_b128 v[30:31], v[32:35]
.LBB427_26:                             ;   in Loop: Header=BB427_7 Depth=1
	s_and_not1_b32 vcc_lo, exec_lo, s29
	s_cbranch_vccnz .LBB427_28
; %bb.27:                               ;   in Loop: Header=BB427_7 Depth=1
	flat_store_b128 v[30:31], v[2:5]
.LBB427_28:                             ;   in Loop: Header=BB427_7 Depth=1
	s_wait_xcnt 0x0
	s_or_b32 exec_lo, exec_lo, s28
	v_lshl_add_u64 v[28:29], v[14:15], 4, v[28:29]
	s_and_saveexec_b32 s28, s8
	s_cbranch_execz .LBB427_33
; %bb.29:                               ;   in Loop: Header=BB427_7 Depth=1
	v_mul_f64_e32 v[2:3], s[18:19], v[26:27]
	v_mul_f64_e32 v[4:5], s[16:17], v[26:27]
	s_and_not1_b32 vcc_lo, exec_lo, s26
	s_mov_b32 s29, -1
	s_delay_alu instid0(VALU_DEP_2) | instskip(NEXT) | instid1(VALU_DEP_2)
	v_fma_f64 v[2:3], s[16:17], v[24:25], -v[2:3]
	v_fmac_f64_e32 v[4:5], s[18:19], v[24:25]
	v_lshl_add_u64 v[24:25], v[8:9], 4, v[28:29]
	s_cbranch_vccnz .LBB427_31
; %bb.30:                               ;   in Loop: Header=BB427_7 Depth=1
	flat_load_b128 v[30:33], v[24:25]
	s_mov_b32 s29, 0
	s_wait_loadcnt_dscnt 0x0
	v_mul_f64_e32 v[26:27], s[12:13], v[32:33]
	v_mul_f64_e32 v[32:33], s[10:11], v[32:33]
	s_delay_alu instid0(VALU_DEP_2) | instskip(NEXT) | instid1(VALU_DEP_2)
	v_fma_f64 v[26:27], s[10:11], v[30:31], -v[26:27]
	v_fmac_f64_e32 v[32:33], s[12:13], v[30:31]
	s_delay_alu instid0(VALU_DEP_2) | instskip(NEXT) | instid1(VALU_DEP_2)
	v_add_f64_e32 v[30:31], v[2:3], v[26:27]
	v_add_f64_e32 v[32:33], v[4:5], v[32:33]
	flat_store_b128 v[24:25], v[30:33]
.LBB427_31:                             ;   in Loop: Header=BB427_7 Depth=1
	s_and_not1_b32 vcc_lo, exec_lo, s29
	s_cbranch_vccnz .LBB427_33
; %bb.32:                               ;   in Loop: Header=BB427_7 Depth=1
	flat_store_b128 v[24:25], v[2:5]
.LBB427_33:                             ;   in Loop: Header=BB427_7 Depth=1
	s_wait_xcnt 0x0
	s_or_b32 exec_lo, exec_lo, s28
	s_and_saveexec_b32 s28, s4
	s_cbranch_execz .LBB427_6
; %bb.34:                               ;   in Loop: Header=BB427_7 Depth=1
	s_delay_alu instid0(VALU_DEP_4) | instskip(SKIP_3) | instid1(VALU_DEP_2)
	v_mul_f64_e32 v[2:3], s[18:19], v[22:23]
	v_mul_f64_e32 v[4:5], s[16:17], v[22:23]
	s_and_not1_b32 vcc_lo, exec_lo, s26
	s_mov_b32 s29, -1
	v_fma_f64 v[2:3], s[16:17], v[20:21], -v[2:3]
	s_delay_alu instid0(VALU_DEP_2)
	v_fmac_f64_e32 v[4:5], s[18:19], v[20:21]
	v_lshl_add_u64 v[20:21], v[12:13], 4, v[28:29]
	s_cbranch_vccnz .LBB427_36
; %bb.35:                               ;   in Loop: Header=BB427_7 Depth=1
	flat_load_b128 v[22:25], v[20:21]
	s_mov_b32 s29, 0
	s_wait_loadcnt_dscnt 0x0
	v_mul_f64_e32 v[26:27], s[12:13], v[24:25]
	v_mul_f64_e32 v[24:25], s[10:11], v[24:25]
	s_delay_alu instid0(VALU_DEP_2) | instskip(NEXT) | instid1(VALU_DEP_2)
	v_fma_f64 v[26:27], s[10:11], v[22:23], -v[26:27]
	v_fmac_f64_e32 v[24:25], s[12:13], v[22:23]
	s_delay_alu instid0(VALU_DEP_2) | instskip(NEXT) | instid1(VALU_DEP_2)
	v_add_f64_e32 v[22:23], v[2:3], v[26:27]
	v_add_f64_e32 v[24:25], v[4:5], v[24:25]
	flat_store_b128 v[20:21], v[22:25]
.LBB427_36:                             ;   in Loop: Header=BB427_7 Depth=1
	s_and_not1_b32 vcc_lo, exec_lo, s29
	s_cbranch_vccnz .LBB427_6
; %bb.37:                               ;   in Loop: Header=BB427_7 Depth=1
	flat_store_b128 v[20:21], v[2:5]
	s_branch .LBB427_6
.LBB427_38:
.LBB427_39:
	s_sendmsg sendmsg(MSG_DEALLOC_VGPRS)
	s_endpgm
	.section	.rodata,"a",@progbits
	.p2align	6, 0x0
	.amdhsa_kernel _ZL29rocblas_internal_gemmt_kernelIiLi16ELi32ELi8ELc84ELc84ELc76ELb0ELb0E19rocblas_complex_numIdES1_PKPKS1_PKPS1_EviT_T9_T10_S9_lSB_S9_lSA_T11_S9_li
		.amdhsa_group_segment_fixed_size 8192
		.amdhsa_private_segment_fixed_size 0
		.amdhsa_kernarg_size 116
		.amdhsa_user_sgpr_count 2
		.amdhsa_user_sgpr_dispatch_ptr 0
		.amdhsa_user_sgpr_queue_ptr 0
		.amdhsa_user_sgpr_kernarg_segment_ptr 1
		.amdhsa_user_sgpr_dispatch_id 0
		.amdhsa_user_sgpr_kernarg_preload_length 0
		.amdhsa_user_sgpr_kernarg_preload_offset 0
		.amdhsa_user_sgpr_private_segment_size 0
		.amdhsa_wavefront_size32 1
		.amdhsa_uses_dynamic_stack 0
		.amdhsa_enable_private_segment 0
		.amdhsa_system_sgpr_workgroup_id_x 1
		.amdhsa_system_sgpr_workgroup_id_y 1
		.amdhsa_system_sgpr_workgroup_id_z 1
		.amdhsa_system_sgpr_workgroup_info 0
		.amdhsa_system_vgpr_workitem_id 1
		.amdhsa_next_free_vgpr 132
		.amdhsa_next_free_sgpr 41
		.amdhsa_named_barrier_count 0
		.amdhsa_reserve_vcc 1
		.amdhsa_float_round_mode_32 0
		.amdhsa_float_round_mode_16_64 0
		.amdhsa_float_denorm_mode_32 3
		.amdhsa_float_denorm_mode_16_64 3
		.amdhsa_fp16_overflow 0
		.amdhsa_memory_ordered 1
		.amdhsa_forward_progress 1
		.amdhsa_inst_pref_size 24
		.amdhsa_round_robin_scheduling 0
		.amdhsa_exception_fp_ieee_invalid_op 0
		.amdhsa_exception_fp_denorm_src 0
		.amdhsa_exception_fp_ieee_div_zero 0
		.amdhsa_exception_fp_ieee_overflow 0
		.amdhsa_exception_fp_ieee_underflow 0
		.amdhsa_exception_fp_ieee_inexact 0
		.amdhsa_exception_int_div_zero 0
	.end_amdhsa_kernel
	.section	.text._ZL29rocblas_internal_gemmt_kernelIiLi16ELi32ELi8ELc84ELc84ELc76ELb0ELb0E19rocblas_complex_numIdES1_PKPKS1_PKPS1_EviT_T9_T10_S9_lSB_S9_lSA_T11_S9_li,"axG",@progbits,_ZL29rocblas_internal_gemmt_kernelIiLi16ELi32ELi8ELc84ELc84ELc76ELb0ELb0E19rocblas_complex_numIdES1_PKPKS1_PKPS1_EviT_T9_T10_S9_lSB_S9_lSA_T11_S9_li,comdat
.Lfunc_end427:
	.size	_ZL29rocblas_internal_gemmt_kernelIiLi16ELi32ELi8ELc84ELc84ELc76ELb0ELb0E19rocblas_complex_numIdES1_PKPKS1_PKPS1_EviT_T9_T10_S9_lSB_S9_lSA_T11_S9_li, .Lfunc_end427-_ZL29rocblas_internal_gemmt_kernelIiLi16ELi32ELi8ELc84ELc84ELc76ELb0ELb0E19rocblas_complex_numIdES1_PKPKS1_PKPS1_EviT_T9_T10_S9_lSB_S9_lSA_T11_S9_li
                                        ; -- End function
	.set _ZL29rocblas_internal_gemmt_kernelIiLi16ELi32ELi8ELc84ELc84ELc76ELb0ELb0E19rocblas_complex_numIdES1_PKPKS1_PKPS1_EviT_T9_T10_S9_lSB_S9_lSA_T11_S9_li.num_vgpr, 132
	.set _ZL29rocblas_internal_gemmt_kernelIiLi16ELi32ELi8ELc84ELc84ELc76ELb0ELb0E19rocblas_complex_numIdES1_PKPKS1_PKPS1_EviT_T9_T10_S9_lSB_S9_lSA_T11_S9_li.num_agpr, 0
	.set _ZL29rocblas_internal_gemmt_kernelIiLi16ELi32ELi8ELc84ELc84ELc76ELb0ELb0E19rocblas_complex_numIdES1_PKPKS1_PKPS1_EviT_T9_T10_S9_lSB_S9_lSA_T11_S9_li.numbered_sgpr, 41
	.set _ZL29rocblas_internal_gemmt_kernelIiLi16ELi32ELi8ELc84ELc84ELc76ELb0ELb0E19rocblas_complex_numIdES1_PKPKS1_PKPS1_EviT_T9_T10_S9_lSB_S9_lSA_T11_S9_li.num_named_barrier, 0
	.set _ZL29rocblas_internal_gemmt_kernelIiLi16ELi32ELi8ELc84ELc84ELc76ELb0ELb0E19rocblas_complex_numIdES1_PKPKS1_PKPS1_EviT_T9_T10_S9_lSB_S9_lSA_T11_S9_li.private_seg_size, 0
	.set _ZL29rocblas_internal_gemmt_kernelIiLi16ELi32ELi8ELc84ELc84ELc76ELb0ELb0E19rocblas_complex_numIdES1_PKPKS1_PKPS1_EviT_T9_T10_S9_lSB_S9_lSA_T11_S9_li.uses_vcc, 1
	.set _ZL29rocblas_internal_gemmt_kernelIiLi16ELi32ELi8ELc84ELc84ELc76ELb0ELb0E19rocblas_complex_numIdES1_PKPKS1_PKPS1_EviT_T9_T10_S9_lSB_S9_lSA_T11_S9_li.uses_flat_scratch, 0
	.set _ZL29rocblas_internal_gemmt_kernelIiLi16ELi32ELi8ELc84ELc84ELc76ELb0ELb0E19rocblas_complex_numIdES1_PKPKS1_PKPS1_EviT_T9_T10_S9_lSB_S9_lSA_T11_S9_li.has_dyn_sized_stack, 0
	.set _ZL29rocblas_internal_gemmt_kernelIiLi16ELi32ELi8ELc84ELc84ELc76ELb0ELb0E19rocblas_complex_numIdES1_PKPKS1_PKPS1_EviT_T9_T10_S9_lSB_S9_lSA_T11_S9_li.has_recursion, 0
	.set _ZL29rocblas_internal_gemmt_kernelIiLi16ELi32ELi8ELc84ELc84ELc76ELb0ELb0E19rocblas_complex_numIdES1_PKPKS1_PKPS1_EviT_T9_T10_S9_lSB_S9_lSA_T11_S9_li.has_indirect_call, 0
	.section	.AMDGPU.csdata,"",@progbits
; Kernel info:
; codeLenInByte = 2996
; TotalNumSgprs: 43
; NumVgprs: 132
; ScratchSize: 0
; MemoryBound: 0
; FloatMode: 240
; IeeeMode: 1
; LDSByteSize: 8192 bytes/workgroup (compile time only)
; SGPRBlocks: 0
; VGPRBlocks: 8
; NumSGPRsForWavesPerEU: 43
; NumVGPRsForWavesPerEU: 132
; NamedBarCnt: 0
; Occupancy: 7
; WaveLimiterHint : 1
; COMPUTE_PGM_RSRC2:SCRATCH_EN: 0
; COMPUTE_PGM_RSRC2:USER_SGPR: 2
; COMPUTE_PGM_RSRC2:TRAP_HANDLER: 0
; COMPUTE_PGM_RSRC2:TGID_X_EN: 1
; COMPUTE_PGM_RSRC2:TGID_Y_EN: 1
; COMPUTE_PGM_RSRC2:TGID_Z_EN: 1
; COMPUTE_PGM_RSRC2:TIDIG_COMP_CNT: 1
	.section	.text._ZL29rocblas_internal_gemmt_kernelIiLi16ELi32ELi8ELc84ELc67ELc76ELb0ELb1E19rocblas_complex_numIdES1_PKPKS1_PKPS1_EviT_T9_T10_S9_lSB_S9_lSA_T11_S9_li,"axG",@progbits,_ZL29rocblas_internal_gemmt_kernelIiLi16ELi32ELi8ELc84ELc67ELc76ELb0ELb1E19rocblas_complex_numIdES1_PKPKS1_PKPS1_EviT_T9_T10_S9_lSB_S9_lSA_T11_S9_li,comdat
	.globl	_ZL29rocblas_internal_gemmt_kernelIiLi16ELi32ELi8ELc84ELc67ELc76ELb0ELb1E19rocblas_complex_numIdES1_PKPKS1_PKPS1_EviT_T9_T10_S9_lSB_S9_lSA_T11_S9_li ; -- Begin function _ZL29rocblas_internal_gemmt_kernelIiLi16ELi32ELi8ELc84ELc67ELc76ELb0ELb1E19rocblas_complex_numIdES1_PKPKS1_PKPS1_EviT_T9_T10_S9_lSB_S9_lSA_T11_S9_li
	.p2align	8
	.type	_ZL29rocblas_internal_gemmt_kernelIiLi16ELi32ELi8ELc84ELc67ELc76ELb0ELb1E19rocblas_complex_numIdES1_PKPKS1_PKPS1_EviT_T9_T10_S9_lSB_S9_lSA_T11_S9_li,@function
_ZL29rocblas_internal_gemmt_kernelIiLi16ELi32ELi8ELc84ELc67ELc76ELb0ELb1E19rocblas_complex_numIdES1_PKPKS1_PKPS1_EviT_T9_T10_S9_lSB_S9_lSA_T11_S9_li: ; @_ZL29rocblas_internal_gemmt_kernelIiLi16ELi32ELi8ELc84ELc67ELc76ELb0ELb1E19rocblas_complex_numIdES1_PKPKS1_PKPS1_EviT_T9_T10_S9_lSB_S9_lSA_T11_S9_li
; %bb.0:
	s_clause 0x2
	s_load_b256 s[8:15], s[0:1], 0x40
	s_load_b64 s[4:5], s[0:1], 0x0
	s_load_b128 s[16:19], s[0:1], 0x8
	s_wait_kmcnt 0x0
	v_cmp_eq_f64_e64 s2, s[10:11], 1.0
	v_cmp_eq_f64_e64 s33, s[12:13], 0
	s_and_b32 s2, s2, s33
	s_delay_alu instid0(SALU_CYCLE_1)
	s_and_not1_b32 vcc_lo, exec_lo, s2
	s_mov_b32 s2, -1
	s_cbranch_vccnz .LBB428_3
; %bb.1:
	s_cmp_lg_u32 s5, 0
	s_cbranch_scc0 .LBB428_36
; %bb.2:
	v_cmp_neq_f64_e64 s2, s[16:17], 0
	v_cmp_neq_f64_e64 s3, s[18:19], 0
	s_or_b32 s2, s2, s3
.LBB428_3:
	s_delay_alu instid0(SALU_CYCLE_1)
	s_and_b32 vcc_lo, exec_lo, s2
	s_cbranch_vccz .LBB428_37
; %bb.4:
	s_load_b32 s27, s[0:1], 0x70
	s_bfe_u32 s2, ttmp6, 0x40014
	s_lshr_b32 s3, ttmp7, 16
	s_add_co_i32 s2, s2, 1
	s_bfe_u32 s6, ttmp6, 0x40008
	s_mul_i32 s2, s3, s2
	s_getreg_b32 s34, hwreg(HW_REG_IB_STS2, 6, 4)
	s_add_co_i32 s6, s6, s2
	s_cmp_eq_u32 s34, 0
	s_mov_b32 s7, 0
	s_cselect_b32 s6, s3, s6
	s_wait_kmcnt 0x0
	s_cmp_ge_u32 s6, s27
	s_cbranch_scc1 .LBB428_37
; %bb.5:
	s_clause 0x2
	s_load_b96 s[24:26], s[0:1], 0x18
	s_load_b32 s28, s[0:1], 0x38
	s_load_b32 s2, s[0:1], 0x60
	v_and_b32_e32 v1, 0x3ff, v0
	v_bfe_u32 v9, v0, 10, 10
	s_clause 0x1
	s_load_b128 s[20:23], s[0:1], 0x28
	s_load_b64 s[30:31], s[0:1], 0x68
	s_wait_xcnt 0x0
	s_bfe_u32 s0, ttmp6, 0x4000c
	s_bfe_u32 s38, ttmp6, 0x40010
	s_add_co_i32 s39, s0, 1
	s_add_co_i32 s38, s38, 1
	v_and_b32_e32 v6, 7, v0
	v_lshl_add_u32 v0, v9, 4, v1
	s_and_b32 s37, ttmp6, 15
	s_mul_i32 s39, ttmp9, s39
	s_bfe_u32 s40, ttmp6, 0x40004
	s_add_co_i32 s37, s37, s39
	v_dual_lshrrev_b32 v5, 3, v0 :: v_dual_bitop2_b32 v8, 31, v0 bitop3:0x40
	v_lshrrev_b32_e32 v42, 5, v0
	v_cmp_neq_f64_e64 s35, s[16:17], 0
	s_wait_kmcnt 0x0
	s_ashr_i32 s1, s26, 31
	s_mov_b32 s0, s26
	s_and_b32 s26, ttmp7, 0xffff
	s_ashr_i32 s29, s28, 31
	s_mul_i32 s38, s26, s38
	s_ashr_i32 s3, s2, 31
	s_add_co_i32 s40, s40, s38
	s_cmp_eq_u32 s34, 0
	v_cmp_neq_f64_e64 s36, s[18:19], 0
	s_cselect_b32 s34, ttmp9, s37
	s_cselect_b32 s26, s26, s40
	s_lshl_b32 s34, s34, 5
	s_delay_alu instid0(SALU_CYCLE_1) | instskip(SKIP_2) | instid1(VALU_DEP_2)
	v_dual_mov_b32 v0, 0 :: v_dual_bitop2_b32 v2, s34, v8 bitop3:0x54
	s_lshl_b32 s26, s26, 5
	v_cmp_neq_f64_e64 s37, s[10:11], 0
	v_dual_mov_b32 v7, v0 :: v_dual_add_nc_u32 v4, s26, v5
	s_delay_alu instid0(VALU_DEP_3) | instskip(SKIP_2) | instid1(VALU_DEP_4)
	v_dual_ashrrev_i32 v3, 31, v2 :: v_dual_lshlrev_b32 v8, 4, v8
	v_add_nc_u32_e32 v18, s26, v9
	v_cmp_gt_i32_e32 vcc_lo, s4, v2
	v_mul_u64_e32 v[16:17], s[28:29], v[6:7]
	s_delay_alu instid0(VALU_DEP_4) | instskip(SKIP_4) | instid1(VALU_DEP_4)
	v_mul_u64_e32 v[20:21], s[0:1], v[2:3]
	v_lshlrev_b32_e32 v3, 4, v6
	v_dual_add_nc_u32 v2, 16, v18 :: v_dual_ashrrev_i32 v19, 31, v18
	v_lshl_or_b32 v7, v42, 9, v8
	v_add_nc_u32_e32 v8, s34, v1
	v_lshl_or_b32 v5, v5, 7, v3
	s_delay_alu instid0(VALU_DEP_4)
	v_ashrrev_i32_e32 v3, 31, v2
	v_mul_u64_e32 v[10:11], s[2:3], v[18:19]
	v_cmp_gt_i32_e64 s0, s4, v4
	v_add_nc_u32_e32 v12, 16, v8
	v_cmp_le_i32_e64 s1, v18, v8
	v_mul_u64_e32 v[14:15], s[2:3], v[2:3]
	v_cmp_gt_i32_e64 s2, s4, v8
	v_lshl_add_u32 v45, v9, 7, 0x1000
	v_ashrrev_i32_e32 v9, 31, v8
	v_cmp_le_i32_e64 s3, v18, v12
	s_or_b32 s35, s35, s36
	s_cmp_gt_i32 s5, 0
	v_cmp_gt_i32_e64 s4, s4, v12
	s_cselect_b32 s36, -1, 0
	s_lshl_b64 s[8:9], s[8:9], 4
	v_add_nc_u32_e32 v43, 0x1000, v5
	v_dual_ashrrev_i32 v5, 31, v4 :: v_dual_lshlrev_b32 v44, 4, v1
	s_lshl_b64 s[20:21], s[20:21], 4
	s_xor_b32 s26, s33, -1
	s_and_b32 s33, s1, s2
	s_and_b32 s34, s3, s4
	v_cmp_le_i32_e64 s1, v2, v8
	v_cmp_le_i32_e64 s3, v2, v12
	v_lshl_add_u64 v[16:17], v[16:17], 4, s[8:9]
	v_lshl_add_u64 v[2:3], v[20:21], 4, s[20:21]
	v_dual_mov_b32 v19, v0 :: v_dual_lshlrev_b32 v18, 4, v42
	v_ashrrev_i32_e32 v13, 31, v12
	s_delay_alu instid0(VALU_DEP_4)
	v_lshl_add_u64 v[16:17], v[4:5], 4, v[16:17]
	s_or_b32 s26, s37, s26
	s_and_b32 s1, s1, s2
	v_add_nc_u64_e32 v[18:19], v[2:3], v[18:19]
	s_and_b32 s4, s3, s4
	v_or_b32_e32 v16, 8, v16
	s_and_b32 s20, s35, s36
	s_lshl_b64 s[2:3], s[28:29], 7
	s_xor_b32 s21, vcc_lo, -1
	s_lshl_b64 s[8:9], s[30:31], 4
	s_branch .LBB428_7
.LBB428_6:                              ;   in Loop: Header=BB428_7 Depth=1
	s_wait_xcnt 0x0
	s_or_b32 exec_lo, exec_lo, s28
	s_add_co_i32 s6, s6, 0x10000
	s_delay_alu instid0(SALU_CYCLE_1)
	s_cmp_lt_u32 s6, s27
	s_cbranch_scc0 .LBB428_37
.LBB428_7:                              ; =>This Loop Header: Depth=1
                                        ;     Child Loop BB428_10 Depth 2
	v_mov_b32_e32 v1, s6
	v_mov_b64_e32 v[38:39], 0
	v_mov_b64_e32 v[40:41], 0
	;; [unrolled: 1-line block ×4, first 2 shown]
	global_load_b64 v[24:25], v1, s[14:15] scale_offset
	v_mov_b64_e32 v[26:27], 0
	v_mov_b64_e32 v[28:29], 0
	;; [unrolled: 1-line block ×4, first 2 shown]
	s_and_not1_b32 vcc_lo, exec_lo, s20
	s_cbranch_vccnz .LBB428_16
; %bb.8:                                ;   in Loop: Header=BB428_7 Depth=1
	s_lshl_b64 s[28:29], s[6:7], 3
	v_mov_b64_e32 v[22:23], 0
	s_add_nc_u64 s[30:31], s[24:25], s[28:29]
	s_add_nc_u64 s[28:29], s[22:23], s[28:29]
	s_clause 0x1
	global_load_b64 v[2:3], v0, s[30:31]
	global_load_b64 v[4:5], v0, s[28:29]
	v_mov_b64_e32 v[20:21], 0
	v_mov_b64_e32 v[28:29], 0
	;; [unrolled: 1-line block ×7, first 2 shown]
	s_wait_xcnt 0x0
	s_mov_b32 s28, 0
	s_wait_loadcnt 0x1
	v_add_nc_u64_e32 v[30:31], v[2:3], v[18:19]
	s_wait_loadcnt 0x0
	v_add_nc_u64_e32 v[32:33], v[4:5], v[16:17]
	s_branch .LBB428_10
.LBB428_9:                              ;   in Loop: Header=BB428_10 Depth=2
	s_wait_xcnt 0x0
	s_or_b32 exec_lo, exec_lo, s29
	ds_store_b128 v43, v[2:5]
	s_wait_dscnt 0x0
	s_barrier_signal -1
	s_barrier_wait -1
	ds_load_b128 v[2:5], v45
	ds_load_b128 v[46:49], v44
	ds_load_b128 v[50:53], v44 offset:256
	ds_load_b128 v[54:57], v45 offset:2048
	;; [unrolled: 1-line block ×10, first 2 shown]
	v_add_nc_u64_e32 v[30:31], 0x80, v[30:31]
	v_add_nc_u64_e32 v[32:33], s[2:3], v[32:33]
	s_add_co_i32 s28, s28, 8
	s_delay_alu instid0(SALU_CYCLE_1)
	s_cmp_lt_i32 s28, s5
	s_wait_dscnt 0xa
	v_mul_f64_e32 v[90:91], v[4:5], v[48:49]
	v_mul_f64_e32 v[92:93], v[2:3], v[48:49]
	s_wait_dscnt 0x9
	v_mul_f64_e32 v[94:95], v[4:5], v[52:53]
	v_mul_f64_e32 v[96:97], v[2:3], v[52:53]
	s_wait_dscnt 0x8
	v_mul_f64_e32 v[98:99], v[56:57], v[48:49]
	v_mul_f64_e32 v[100:101], v[54:55], v[48:49]
	v_mul_f64_e32 v[48:49], v[56:57], v[52:53]
	v_mul_f64_e32 v[102:103], v[54:55], v[52:53]
	s_wait_dscnt 0x6
	v_mul_f64_e32 v[104:105], v[60:61], v[64:65]
	v_mul_f64_e32 v[106:107], v[58:59], v[64:65]
	s_wait_dscnt 0x5
	v_mul_f64_e32 v[108:109], v[60:61], v[68:69]
	v_mul_f64_e32 v[110:111], v[58:59], v[68:69]
	s_wait_dscnt 0x4
	v_mul_f64_e32 v[112:113], v[72:73], v[64:65]
	v_mul_f64_e32 v[64:65], v[70:71], v[64:65]
	v_mul_f64_e32 v[114:115], v[72:73], v[68:69]
	v_mul_f64_e32 v[68:69], v[70:71], v[68:69]
	;; [unrolled: 11-line block ×3, first 2 shown]
	v_fma_f64 v[90:91], v[2:3], v[46:47], -v[90:91]
	v_fmac_f64_e32 v[92:93], v[4:5], v[46:47]
	v_fma_f64 v[94:95], v[2:3], v[50:51], -v[94:95]
	v_fmac_f64_e32 v[96:97], v[4:5], v[50:51]
	;; [unrolled: 2-line block ×8, first 2 shown]
	ds_load_b128 v[2:5], v45 offset:48
	ds_load_b128 v[46:49], v45 offset:2096
	;; [unrolled: 1-line block ×4, first 2 shown]
	v_fma_f64 v[118:119], v[74:75], v[78:79], -v[118:119]
	v_fmac_f64_e32 v[120:121], v[76:77], v[78:79]
	v_fma_f64 v[74:75], v[74:75], v[82:83], -v[122:123]
	v_fmac_f64_e32 v[124:125], v[76:77], v[82:83]
	v_fma_f64 v[76:77], v[86:87], v[78:79], -v[126:127]
	v_fmac_f64_e32 v[80:81], v[88:89], v[78:79]
	v_fma_f64 v[78:79], v[86:87], v[82:83], -v[128:129]
	v_fmac_f64_e32 v[84:85], v[88:89], v[82:83]
	v_add_f64_e32 v[66:67], v[38:39], v[90:91]
	v_add_f64_e32 v[70:71], v[92:93], v[40:41]
	;; [unrolled: 1-line block ×8, first 2 shown]
	s_wait_dscnt 0x1
	v_mul_f64_e32 v[100:101], v[4:5], v[52:53]
	v_mul_f64_e32 v[102:103], v[2:3], v[52:53]
	s_wait_dscnt 0x0
	v_mul_f64_e32 v[108:109], v[4:5], v[56:57]
	v_mul_f64_e32 v[112:113], v[2:3], v[56:57]
	;; [unrolled: 1-line block ×6, first 2 shown]
	ds_load_b128 v[20:23], v45 offset:64
	ds_load_b128 v[26:29], v44 offset:2048
	;; [unrolled: 1-line block ×4, first 2 shown]
	v_add_f64_e32 v[82:83], v[66:67], v[104:105]
	v_add_f64_e32 v[86:87], v[106:107], v[70:71]
	v_add_f64_e32 v[72:73], v[72:73], v[58:59]
	v_add_f64_e32 v[88:89], v[110:111], v[90:91]
	v_add_f64_e32 v[90:91], v[92:93], v[60:61]
	v_add_f64_e32 v[92:93], v[64:65], v[94:95]
	v_add_f64_e32 v[94:95], v[96:97], v[62:63]
	v_add_f64_e32 v[96:97], v[68:69], v[98:99]
	s_wait_dscnt 0x2
	v_mul_f64_e32 v[98:99], v[22:23], v[28:29]
	v_mul_f64_e32 v[104:105], v[20:21], v[28:29]
	s_wait_dscnt 0x1
	v_mul_f64_e32 v[106:107], v[22:23], v[36:37]
	v_mul_f64_e32 v[110:111], v[20:21], v[36:37]
	;; [unrolled: 3-line block ×3, first 2 shown]
	v_mul_f64_e32 v[28:29], v[40:41], v[36:37]
	v_mul_f64_e32 v[128:129], v[38:39], v[36:37]
	v_fma_f64 v[36:37], v[2:3], v[50:51], -v[100:101]
	v_fmac_f64_e32 v[102:103], v[4:5], v[50:51]
	v_fma_f64 v[100:101], v[2:3], v[54:55], -v[108:109]
	v_fmac_f64_e32 v[112:113], v[4:5], v[54:55]
	;; [unrolled: 2-line block ×4, first 2 shown]
	ds_load_b128 v[56:59], v45 offset:80
	ds_load_b128 v[60:63], v45 offset:2128
	;; [unrolled: 1-line block ×4, first 2 shown]
	v_add_f64_e32 v[54:55], v[82:83], v[118:119]
	v_add_f64_e32 v[82:83], v[120:121], v[86:87]
	;; [unrolled: 1-line block ×8, first 2 shown]
	v_fma_f64 v[98:99], v[20:21], v[26:27], -v[98:99]
	v_fmac_f64_e32 v[104:105], v[22:23], v[26:27]
	v_fma_f64 v[106:107], v[20:21], v[34:35], -v[106:107]
	s_wait_dscnt 0x1
	v_mul_f64_e32 v[90:91], v[58:59], v[66:67]
	v_mul_f64_e32 v[92:93], v[56:57], v[66:67]
	s_wait_dscnt 0x0
	v_mul_f64_e32 v[94:95], v[58:59], v[70:71]
	v_mul_f64_e32 v[96:97], v[56:57], v[70:71]
	;; [unrolled: 1-line block ×6, first 2 shown]
	v_fmac_f64_e32 v[110:111], v[22:23], v[34:35]
	v_fma_f64 v[122:123], v[38:39], v[26:27], -v[122:123]
	v_fmac_f64_e32 v[126:127], v[40:41], v[26:27]
	v_fma_f64 v[124:125], v[38:39], v[34:35], -v[28:29]
	v_fmac_f64_e32 v[128:129], v[40:41], v[34:35]
	ds_load_b128 v[2:5], v45 offset:96
	ds_load_b128 v[46:49], v44 offset:3072
	;; [unrolled: 1-line block ×4, first 2 shown]
	v_add_f64_e32 v[54:55], v[54:55], v[36:37]
	v_add_f64_e32 v[82:83], v[102:103], v[82:83]
	v_add_f64_e32 v[86:87], v[86:87], v[100:101]
	v_add_f64_e32 v[88:89], v[112:113], v[88:89]
	v_add_f64_e32 v[76:77], v[76:77], v[108:109]
	v_add_f64_e32 v[80:81], v[116:117], v[80:81]
	v_add_f64_e32 v[78:79], v[78:79], v[114:115]
	v_add_f64_e32 v[84:85], v[130:131], v[84:85]
	ds_load_b128 v[20:23], v45 offset:112
	ds_load_b128 v[26:29], v45 offset:2160
	;; [unrolled: 1-line block ×4, first 2 shown]
	s_wait_dscnt 0x0
	v_mul_f64_e32 v[100:101], v[4:5], v[48:49]
	v_mul_f64_e32 v[102:103], v[2:3], v[48:49]
	;; [unrolled: 1-line block ×8, first 2 shown]
	v_fma_f64 v[90:91], v[56:57], v[64:65], -v[90:91]
	v_fmac_f64_e32 v[92:93], v[58:59], v[64:65]
	v_fma_f64 v[56:57], v[56:57], v[68:69], -v[94:95]
	v_fmac_f64_e32 v[96:97], v[58:59], v[68:69]
	;; [unrolled: 2-line block ×4, first 2 shown]
	s_barrier_signal -1
	s_barrier_wait -1
	v_mul_f64_e32 v[94:95], v[20:21], v[40:41]
	v_add_f64_e32 v[54:55], v[54:55], v[98:99]
	v_add_f64_e32 v[62:63], v[104:105], v[82:83]
	;; [unrolled: 1-line block ×8, first 2 shown]
	v_mul_f64_e32 v[84:85], v[22:23], v[36:37]
	v_mul_f64_e32 v[86:87], v[20:21], v[36:37]
	;; [unrolled: 1-line block ×7, first 2 shown]
	v_fma_f64 v[40:41], v[2:3], v[46:47], -v[100:101]
	v_fmac_f64_e32 v[102:103], v[4:5], v[46:47]
	v_fma_f64 v[2:3], v[2:3], v[50:51], -v[108:109]
	v_fmac_f64_e32 v[112:113], v[4:5], v[50:51]
	;; [unrolled: 2-line block ×4, first 2 shown]
	v_fmac_f64_e32 v[94:95], v[22:23], v[38:39]
	v_add_f64_e32 v[50:51], v[54:55], v[90:91]
	v_add_f64_e32 v[54:55], v[92:93], v[62:63]
	;; [unrolled: 1-line block ×8, first 2 shown]
	v_fma_f64 v[68:69], v[20:21], v[34:35], -v[84:85]
	v_fmac_f64_e32 v[86:87], v[22:23], v[34:35]
	v_fma_f64 v[20:21], v[20:21], v[38:39], -v[88:89]
	v_fma_f64 v[22:23], v[26:27], v[34:35], -v[98:99]
	v_fmac_f64_e32 v[104:105], v[28:29], v[34:35]
	v_fma_f64 v[70:71], v[26:27], v[38:39], -v[36:37]
	v_fmac_f64_e32 v[106:107], v[28:29], v[38:39]
	v_add_f64_e32 v[26:27], v[50:51], v[40:41]
	v_add_f64_e32 v[28:29], v[102:103], v[54:55]
	;; [unrolled: 1-line block ×16, first 2 shown]
	s_cbranch_scc0 .LBB428_16
.LBB428_10:                             ;   Parent Loop BB428_7 Depth=1
                                        ; =>  This Inner Loop Header: Depth=2
	v_add_nc_u32_e32 v1, s28, v42
	s_delay_alu instid0(VALU_DEP_1) | instskip(SKIP_1) | instid1(SALU_CYCLE_1)
	v_cmp_le_i32_e32 vcc_lo, s5, v1
	s_or_b32 s29, s21, vcc_lo
	s_and_saveexec_b32 s30, s29
	s_delay_alu instid0(SALU_CYCLE_1)
	s_xor_b32 s29, exec_lo, s30
; %bb.11:                               ;   in Loop: Header=BB428_10 Depth=2
	v_dual_mov_b32 v1, v0 :: v_dual_mov_b32 v2, v0
	v_mov_b32_e32 v3, v0
	ds_store_b128 v7, v[0:3]
; %bb.12:                               ;   in Loop: Header=BB428_10 Depth=2
	s_and_not1_saveexec_b32 s29, s29
	s_cbranch_execz .LBB428_14
; %bb.13:                               ;   in Loop: Header=BB428_10 Depth=2
	flat_load_b128 v[2:5], v[30:31]
	s_wait_loadcnt_dscnt 0x0
	ds_store_2addr_b64 v7, v[2:3], v[4:5] offset1:1
.LBB428_14:                             ;   in Loop: Header=BB428_10 Depth=2
	s_wait_xcnt 0x0
	s_or_b32 exec_lo, exec_lo, s29
	v_add_nc_u32_e32 v1, s28, v6
	v_mov_b64_e32 v[2:3], 0
	v_mov_b64_e32 v[4:5], 0
	s_delay_alu instid0(VALU_DEP_3) | instskip(SKIP_1) | instid1(SALU_CYCLE_1)
	v_cmp_gt_i32_e32 vcc_lo, s5, v1
	s_and_b32 s30, vcc_lo, s0
	s_and_saveexec_b32 s29, s30
	s_cbranch_execz .LBB428_9
; %bb.15:                               ;   in Loop: Header=BB428_10 Depth=2
	flat_load_b128 v[2:5], v[32:33] offset:-8
	s_wait_loadcnt_dscnt 0x0
	v_xor_b32_e32 v5, 0x80000000, v5
	s_branch .LBB428_9
.LBB428_16:                             ;   in Loop: Header=BB428_7 Depth=1
	s_wait_loadcnt 0x0
	v_add_nc_u64_e32 v[24:25], s[8:9], v[24:25]
	s_delay_alu instid0(VALU_DEP_1)
	v_lshl_add_u64 v[30:31], v[10:11], 4, v[24:25]
	s_wait_xcnt 0x0
	s_and_saveexec_b32 s28, s33
	s_cbranch_execz .LBB428_21
; %bb.17:                               ;   in Loop: Header=BB428_7 Depth=1
	v_mul_f64_e32 v[2:3], s[18:19], v[40:41]
	v_mul_f64_e32 v[4:5], s[16:17], v[40:41]
	v_lshl_add_u64 v[32:33], v[8:9], 4, v[30:31]
	s_and_b32 vcc_lo, exec_lo, s26
	s_mov_b32 s29, -1
	s_delay_alu instid0(VALU_DEP_3) | instskip(NEXT) | instid1(VALU_DEP_3)
	v_fma_f64 v[2:3], s[16:17], v[38:39], -v[2:3]
	v_fmac_f64_e32 v[4:5], s[18:19], v[38:39]
	s_cbranch_vccz .LBB428_19
; %bb.18:                               ;   in Loop: Header=BB428_7 Depth=1
	flat_load_b128 v[38:41], v[32:33]
	s_mov_b32 s29, 0
	s_wait_loadcnt_dscnt 0x0
	v_mul_f64_e32 v[46:47], s[12:13], v[40:41]
	v_mul_f64_e32 v[40:41], s[10:11], v[40:41]
	s_delay_alu instid0(VALU_DEP_2) | instskip(NEXT) | instid1(VALU_DEP_2)
	v_fma_f64 v[46:47], s[10:11], v[38:39], -v[46:47]
	v_fmac_f64_e32 v[40:41], s[12:13], v[38:39]
	s_delay_alu instid0(VALU_DEP_2) | instskip(NEXT) | instid1(VALU_DEP_2)
	v_add_f64_e32 v[38:39], v[2:3], v[46:47]
	v_add_f64_e32 v[40:41], v[4:5], v[40:41]
	flat_store_b128 v[32:33], v[38:41]
.LBB428_19:                             ;   in Loop: Header=BB428_7 Depth=1
	s_and_not1_b32 vcc_lo, exec_lo, s29
	s_cbranch_vccnz .LBB428_21
; %bb.20:                               ;   in Loop: Header=BB428_7 Depth=1
	flat_store_b128 v[32:33], v[2:5]
.LBB428_21:                             ;   in Loop: Header=BB428_7 Depth=1
	s_wait_xcnt 0x0
	s_or_b32 exec_lo, exec_lo, s28
	s_and_saveexec_b32 s28, s34
	s_cbranch_execz .LBB428_26
; %bb.22:                               ;   in Loop: Header=BB428_7 Depth=1
	v_mul_f64_e32 v[2:3], s[18:19], v[36:37]
	v_mul_f64_e32 v[4:5], s[16:17], v[36:37]
	v_lshl_add_u64 v[30:31], v[12:13], 4, v[30:31]
	s_and_not1_b32 vcc_lo, exec_lo, s26
	s_mov_b32 s29, -1
	s_delay_alu instid0(VALU_DEP_3) | instskip(NEXT) | instid1(VALU_DEP_3)
	v_fma_f64 v[2:3], s[16:17], v[34:35], -v[2:3]
	v_fmac_f64_e32 v[4:5], s[18:19], v[34:35]
	s_cbranch_vccnz .LBB428_24
; %bb.23:                               ;   in Loop: Header=BB428_7 Depth=1
	flat_load_b128 v[32:35], v[30:31]
	s_mov_b32 s29, 0
	s_wait_loadcnt_dscnt 0x0
	v_mul_f64_e32 v[36:37], s[12:13], v[34:35]
	v_mul_f64_e32 v[34:35], s[10:11], v[34:35]
	s_delay_alu instid0(VALU_DEP_2) | instskip(NEXT) | instid1(VALU_DEP_2)
	v_fma_f64 v[36:37], s[10:11], v[32:33], -v[36:37]
	v_fmac_f64_e32 v[34:35], s[12:13], v[32:33]
	s_delay_alu instid0(VALU_DEP_2) | instskip(NEXT) | instid1(VALU_DEP_2)
	v_add_f64_e32 v[32:33], v[2:3], v[36:37]
	v_add_f64_e32 v[34:35], v[4:5], v[34:35]
	flat_store_b128 v[30:31], v[32:35]
.LBB428_24:                             ;   in Loop: Header=BB428_7 Depth=1
	s_and_not1_b32 vcc_lo, exec_lo, s29
	s_cbranch_vccnz .LBB428_26
; %bb.25:                               ;   in Loop: Header=BB428_7 Depth=1
	flat_store_b128 v[30:31], v[2:5]
.LBB428_26:                             ;   in Loop: Header=BB428_7 Depth=1
	s_wait_xcnt 0x0
	s_or_b32 exec_lo, exec_lo, s28
	v_lshl_add_u64 v[24:25], v[14:15], 4, v[24:25]
	s_and_saveexec_b32 s28, s1
	s_cbranch_execz .LBB428_31
; %bb.27:                               ;   in Loop: Header=BB428_7 Depth=1
	v_mul_f64_e32 v[2:3], s[18:19], v[28:29]
	v_mul_f64_e32 v[4:5], s[16:17], v[28:29]
	s_and_not1_b32 vcc_lo, exec_lo, s26
	s_mov_b32 s29, -1
	s_delay_alu instid0(VALU_DEP_2) | instskip(NEXT) | instid1(VALU_DEP_2)
	v_fma_f64 v[2:3], s[16:17], v[26:27], -v[2:3]
	v_fmac_f64_e32 v[4:5], s[18:19], v[26:27]
	v_lshl_add_u64 v[26:27], v[8:9], 4, v[24:25]
	s_cbranch_vccnz .LBB428_29
; %bb.28:                               ;   in Loop: Header=BB428_7 Depth=1
	flat_load_b128 v[28:31], v[26:27]
	s_mov_b32 s29, 0
	s_wait_loadcnt_dscnt 0x0
	v_mul_f64_e32 v[32:33], s[12:13], v[30:31]
	v_mul_f64_e32 v[30:31], s[10:11], v[30:31]
	s_delay_alu instid0(VALU_DEP_2) | instskip(NEXT) | instid1(VALU_DEP_2)
	v_fma_f64 v[32:33], s[10:11], v[28:29], -v[32:33]
	v_fmac_f64_e32 v[30:31], s[12:13], v[28:29]
	s_delay_alu instid0(VALU_DEP_2) | instskip(NEXT) | instid1(VALU_DEP_2)
	v_add_f64_e32 v[28:29], v[2:3], v[32:33]
	v_add_f64_e32 v[30:31], v[4:5], v[30:31]
	flat_store_b128 v[26:27], v[28:31]
.LBB428_29:                             ;   in Loop: Header=BB428_7 Depth=1
	s_and_not1_b32 vcc_lo, exec_lo, s29
	s_cbranch_vccnz .LBB428_31
; %bb.30:                               ;   in Loop: Header=BB428_7 Depth=1
	flat_store_b128 v[26:27], v[2:5]
.LBB428_31:                             ;   in Loop: Header=BB428_7 Depth=1
	s_wait_xcnt 0x0
	s_or_b32 exec_lo, exec_lo, s28
	s_and_saveexec_b32 s28, s4
	s_cbranch_execz .LBB428_6
; %bb.32:                               ;   in Loop: Header=BB428_7 Depth=1
	s_delay_alu instid0(VALU_DEP_4) | instskip(SKIP_3) | instid1(VALU_DEP_2)
	v_mul_f64_e32 v[2:3], s[18:19], v[22:23]
	v_mul_f64_e32 v[4:5], s[16:17], v[22:23]
	s_and_not1_b32 vcc_lo, exec_lo, s26
	s_mov_b32 s29, -1
	v_fma_f64 v[2:3], s[16:17], v[20:21], -v[2:3]
	s_delay_alu instid0(VALU_DEP_2)
	v_fmac_f64_e32 v[4:5], s[18:19], v[20:21]
	v_lshl_add_u64 v[20:21], v[12:13], 4, v[24:25]
	s_cbranch_vccnz .LBB428_34
; %bb.33:                               ;   in Loop: Header=BB428_7 Depth=1
	flat_load_b128 v[22:25], v[20:21]
	s_mov_b32 s29, 0
	s_wait_loadcnt_dscnt 0x0
	v_mul_f64_e32 v[26:27], s[12:13], v[24:25]
	v_mul_f64_e32 v[24:25], s[10:11], v[24:25]
	s_delay_alu instid0(VALU_DEP_2) | instskip(NEXT) | instid1(VALU_DEP_2)
	v_fma_f64 v[26:27], s[10:11], v[22:23], -v[26:27]
	v_fmac_f64_e32 v[24:25], s[12:13], v[22:23]
	s_delay_alu instid0(VALU_DEP_2) | instskip(NEXT) | instid1(VALU_DEP_2)
	v_add_f64_e32 v[22:23], v[2:3], v[26:27]
	v_add_f64_e32 v[24:25], v[4:5], v[24:25]
	flat_store_b128 v[20:21], v[22:25]
.LBB428_34:                             ;   in Loop: Header=BB428_7 Depth=1
	s_and_not1_b32 vcc_lo, exec_lo, s29
	s_cbranch_vccnz .LBB428_6
; %bb.35:                               ;   in Loop: Header=BB428_7 Depth=1
	flat_store_b128 v[20:21], v[2:5]
	s_branch .LBB428_6
.LBB428_36:
.LBB428_37:
	s_sendmsg sendmsg(MSG_DEALLOC_VGPRS)
	s_endpgm
	.section	.rodata,"a",@progbits
	.p2align	6, 0x0
	.amdhsa_kernel _ZL29rocblas_internal_gemmt_kernelIiLi16ELi32ELi8ELc84ELc67ELc76ELb0ELb1E19rocblas_complex_numIdES1_PKPKS1_PKPS1_EviT_T9_T10_S9_lSB_S9_lSA_T11_S9_li
		.amdhsa_group_segment_fixed_size 8192
		.amdhsa_private_segment_fixed_size 0
		.amdhsa_kernarg_size 116
		.amdhsa_user_sgpr_count 2
		.amdhsa_user_sgpr_dispatch_ptr 0
		.amdhsa_user_sgpr_queue_ptr 0
		.amdhsa_user_sgpr_kernarg_segment_ptr 1
		.amdhsa_user_sgpr_dispatch_id 0
		.amdhsa_user_sgpr_kernarg_preload_length 0
		.amdhsa_user_sgpr_kernarg_preload_offset 0
		.amdhsa_user_sgpr_private_segment_size 0
		.amdhsa_wavefront_size32 1
		.amdhsa_uses_dynamic_stack 0
		.amdhsa_enable_private_segment 0
		.amdhsa_system_sgpr_workgroup_id_x 1
		.amdhsa_system_sgpr_workgroup_id_y 1
		.amdhsa_system_sgpr_workgroup_id_z 1
		.amdhsa_system_sgpr_workgroup_info 0
		.amdhsa_system_vgpr_workitem_id 1
		.amdhsa_next_free_vgpr 132
		.amdhsa_next_free_sgpr 41
		.amdhsa_named_barrier_count 0
		.amdhsa_reserve_vcc 1
		.amdhsa_float_round_mode_32 0
		.amdhsa_float_round_mode_16_64 0
		.amdhsa_float_denorm_mode_32 3
		.amdhsa_float_denorm_mode_16_64 3
		.amdhsa_fp16_overflow 0
		.amdhsa_memory_ordered 1
		.amdhsa_forward_progress 1
		.amdhsa_inst_pref_size 24
		.amdhsa_round_robin_scheduling 0
		.amdhsa_exception_fp_ieee_invalid_op 0
		.amdhsa_exception_fp_denorm_src 0
		.amdhsa_exception_fp_ieee_div_zero 0
		.amdhsa_exception_fp_ieee_overflow 0
		.amdhsa_exception_fp_ieee_underflow 0
		.amdhsa_exception_fp_ieee_inexact 0
		.amdhsa_exception_int_div_zero 0
	.end_amdhsa_kernel
	.section	.text._ZL29rocblas_internal_gemmt_kernelIiLi16ELi32ELi8ELc84ELc67ELc76ELb0ELb1E19rocblas_complex_numIdES1_PKPKS1_PKPS1_EviT_T9_T10_S9_lSB_S9_lSA_T11_S9_li,"axG",@progbits,_ZL29rocblas_internal_gemmt_kernelIiLi16ELi32ELi8ELc84ELc67ELc76ELb0ELb1E19rocblas_complex_numIdES1_PKPKS1_PKPS1_EviT_T9_T10_S9_lSB_S9_lSA_T11_S9_li,comdat
.Lfunc_end428:
	.size	_ZL29rocblas_internal_gemmt_kernelIiLi16ELi32ELi8ELc84ELc67ELc76ELb0ELb1E19rocblas_complex_numIdES1_PKPKS1_PKPS1_EviT_T9_T10_S9_lSB_S9_lSA_T11_S9_li, .Lfunc_end428-_ZL29rocblas_internal_gemmt_kernelIiLi16ELi32ELi8ELc84ELc67ELc76ELb0ELb1E19rocblas_complex_numIdES1_PKPKS1_PKPS1_EviT_T9_T10_S9_lSB_S9_lSA_T11_S9_li
                                        ; -- End function
	.set _ZL29rocblas_internal_gemmt_kernelIiLi16ELi32ELi8ELc84ELc67ELc76ELb0ELb1E19rocblas_complex_numIdES1_PKPKS1_PKPS1_EviT_T9_T10_S9_lSB_S9_lSA_T11_S9_li.num_vgpr, 132
	.set _ZL29rocblas_internal_gemmt_kernelIiLi16ELi32ELi8ELc84ELc67ELc76ELb0ELb1E19rocblas_complex_numIdES1_PKPKS1_PKPS1_EviT_T9_T10_S9_lSB_S9_lSA_T11_S9_li.num_agpr, 0
	.set _ZL29rocblas_internal_gemmt_kernelIiLi16ELi32ELi8ELc84ELc67ELc76ELb0ELb1E19rocblas_complex_numIdES1_PKPKS1_PKPS1_EviT_T9_T10_S9_lSB_S9_lSA_T11_S9_li.numbered_sgpr, 41
	.set _ZL29rocblas_internal_gemmt_kernelIiLi16ELi32ELi8ELc84ELc67ELc76ELb0ELb1E19rocblas_complex_numIdES1_PKPKS1_PKPS1_EviT_T9_T10_S9_lSB_S9_lSA_T11_S9_li.num_named_barrier, 0
	.set _ZL29rocblas_internal_gemmt_kernelIiLi16ELi32ELi8ELc84ELc67ELc76ELb0ELb1E19rocblas_complex_numIdES1_PKPKS1_PKPS1_EviT_T9_T10_S9_lSB_S9_lSA_T11_S9_li.private_seg_size, 0
	.set _ZL29rocblas_internal_gemmt_kernelIiLi16ELi32ELi8ELc84ELc67ELc76ELb0ELb1E19rocblas_complex_numIdES1_PKPKS1_PKPS1_EviT_T9_T10_S9_lSB_S9_lSA_T11_S9_li.uses_vcc, 1
	.set _ZL29rocblas_internal_gemmt_kernelIiLi16ELi32ELi8ELc84ELc67ELc76ELb0ELb1E19rocblas_complex_numIdES1_PKPKS1_PKPS1_EviT_T9_T10_S9_lSB_S9_lSA_T11_S9_li.uses_flat_scratch, 0
	.set _ZL29rocblas_internal_gemmt_kernelIiLi16ELi32ELi8ELc84ELc67ELc76ELb0ELb1E19rocblas_complex_numIdES1_PKPKS1_PKPS1_EviT_T9_T10_S9_lSB_S9_lSA_T11_S9_li.has_dyn_sized_stack, 0
	.set _ZL29rocblas_internal_gemmt_kernelIiLi16ELi32ELi8ELc84ELc67ELc76ELb0ELb1E19rocblas_complex_numIdES1_PKPKS1_PKPS1_EviT_T9_T10_S9_lSB_S9_lSA_T11_S9_li.has_recursion, 0
	.set _ZL29rocblas_internal_gemmt_kernelIiLi16ELi32ELi8ELc84ELc67ELc76ELb0ELb1E19rocblas_complex_numIdES1_PKPKS1_PKPS1_EviT_T9_T10_S9_lSB_S9_lSA_T11_S9_li.has_indirect_call, 0
	.section	.AMDGPU.csdata,"",@progbits
; Kernel info:
; codeLenInByte = 2964
; TotalNumSgprs: 43
; NumVgprs: 132
; ScratchSize: 0
; MemoryBound: 1
; FloatMode: 240
; IeeeMode: 1
; LDSByteSize: 8192 bytes/workgroup (compile time only)
; SGPRBlocks: 0
; VGPRBlocks: 8
; NumSGPRsForWavesPerEU: 43
; NumVGPRsForWavesPerEU: 132
; NamedBarCnt: 0
; Occupancy: 7
; WaveLimiterHint : 1
; COMPUTE_PGM_RSRC2:SCRATCH_EN: 0
; COMPUTE_PGM_RSRC2:USER_SGPR: 2
; COMPUTE_PGM_RSRC2:TRAP_HANDLER: 0
; COMPUTE_PGM_RSRC2:TGID_X_EN: 1
; COMPUTE_PGM_RSRC2:TGID_Y_EN: 1
; COMPUTE_PGM_RSRC2:TGID_Z_EN: 1
; COMPUTE_PGM_RSRC2:TIDIG_COMP_CNT: 1
	.section	.text._ZL29rocblas_internal_gemmt_kernelIiLi16ELi32ELi8ELc67ELc78ELc76ELb1ELb0E19rocblas_complex_numIdES1_PKPKS1_PKPS1_EviT_T9_T10_S9_lSB_S9_lSA_T11_S9_li,"axG",@progbits,_ZL29rocblas_internal_gemmt_kernelIiLi16ELi32ELi8ELc67ELc78ELc76ELb1ELb0E19rocblas_complex_numIdES1_PKPKS1_PKPS1_EviT_T9_T10_S9_lSB_S9_lSA_T11_S9_li,comdat
	.globl	_ZL29rocblas_internal_gemmt_kernelIiLi16ELi32ELi8ELc67ELc78ELc76ELb1ELb0E19rocblas_complex_numIdES1_PKPKS1_PKPS1_EviT_T9_T10_S9_lSB_S9_lSA_T11_S9_li ; -- Begin function _ZL29rocblas_internal_gemmt_kernelIiLi16ELi32ELi8ELc67ELc78ELc76ELb1ELb0E19rocblas_complex_numIdES1_PKPKS1_PKPS1_EviT_T9_T10_S9_lSB_S9_lSA_T11_S9_li
	.p2align	8
	.type	_ZL29rocblas_internal_gemmt_kernelIiLi16ELi32ELi8ELc67ELc78ELc76ELb1ELb0E19rocblas_complex_numIdES1_PKPKS1_PKPS1_EviT_T9_T10_S9_lSB_S9_lSA_T11_S9_li,@function
_ZL29rocblas_internal_gemmt_kernelIiLi16ELi32ELi8ELc67ELc78ELc76ELb1ELb0E19rocblas_complex_numIdES1_PKPKS1_PKPS1_EviT_T9_T10_S9_lSB_S9_lSA_T11_S9_li: ; @_ZL29rocblas_internal_gemmt_kernelIiLi16ELi32ELi8ELc67ELc78ELc76ELb1ELb0E19rocblas_complex_numIdES1_PKPKS1_PKPS1_EviT_T9_T10_S9_lSB_S9_lSA_T11_S9_li
; %bb.0:
	s_clause 0x2
	s_load_b256 s[8:15], s[0:1], 0x40
	s_load_b64 s[24:25], s[0:1], 0x0
	s_load_b128 s[16:19], s[0:1], 0x8
	s_wait_kmcnt 0x0
	v_cmp_eq_f64_e64 s2, s[10:11], 1.0
	v_cmp_eq_f64_e64 s33, s[12:13], 0
	s_and_b32 s2, s2, s33
	s_delay_alu instid0(SALU_CYCLE_1)
	s_and_not1_b32 vcc_lo, exec_lo, s2
	s_mov_b32 s2, -1
	s_cbranch_vccnz .LBB429_3
; %bb.1:
	s_cmp_lg_u32 s25, 0
	s_cbranch_scc0 .LBB429_36
; %bb.2:
	v_cmp_neq_f64_e64 s2, s[16:17], 0
	v_cmp_neq_f64_e64 s3, s[18:19], 0
	s_or_b32 s2, s2, s3
.LBB429_3:
	s_delay_alu instid0(SALU_CYCLE_1)
	s_and_b32 vcc_lo, exec_lo, s2
	s_cbranch_vccz .LBB429_37
; %bb.4:
	s_load_b32 s23, s[0:1], 0x70
	s_bfe_u32 s2, ttmp6, 0x40014
	s_lshr_b32 s3, ttmp7, 16
	s_add_co_i32 s2, s2, 1
	s_bfe_u32 s4, ttmp6, 0x40008
	s_mul_i32 s2, s3, s2
	s_getreg_b32 s34, hwreg(HW_REG_IB_STS2, 6, 4)
	s_add_co_i32 s4, s4, s2
	s_cmp_eq_u32 s34, 0
	s_mov_b32 s27, 0
	s_cselect_b32 s26, s3, s4
	s_wait_kmcnt 0x0
	s_cmp_ge_u32 s26, s23
	s_cbranch_scc1 .LBB429_37
; %bb.5:
	s_clause 0x2
	s_load_b96 s[20:22], s[0:1], 0x18
	s_load_b32 s2, s[0:1], 0x38
	s_load_b32 s30, s[0:1], 0x60
	v_and_b32_e32 v1, 0x3ff, v0
	v_bfe_u32 v6, v0, 10, 10
	s_clause 0x1
	s_load_b128 s[4:7], s[0:1], 0x28
	s_load_b64 s[28:29], s[0:1], 0x68
	s_wait_xcnt 0x0
	s_bfe_u32 s1, ttmp6, 0x4000c
	s_bfe_u32 s3, ttmp6, 0x40010
	s_and_b32 s35, ttmp7, 0xffff
	s_add_co_i32 s1, s1, 1
	s_add_co_i32 s3, s3, 1
	v_lshl_add_u32 v7, v6, 4, v1
	s_and_b32 s0, ttmp6, 15
	s_bfe_u32 s36, ttmp6, 0x40004
	s_mul_i32 s1, ttmp9, s1
	s_mul_i32 s37, s35, s3
	s_add_co_i32 s0, s0, s1
	s_add_co_i32 s36, s36, s37
	v_dual_lshrrev_b32 v9, 3, v7 :: v_dual_bitop2_b32 v8, 31, v7 bitop3:0x40
	s_wait_kmcnt 0x0
	s_ashr_i32 s1, s22, 31
	s_ashr_i32 s3, s2, 31
	;; [unrolled: 1-line block ×3, first 2 shown]
	s_cmp_eq_u32 s34, 0
	v_cmp_neq_f64_e64 s34, s[16:17], 0
	s_cselect_b32 s0, ttmp9, s0
	s_cselect_b32 s35, s35, s36
	s_lshl_b32 s36, s0, 5
	s_lshl_b32 s35, s35, 5
	s_delay_alu instid0(SALU_CYCLE_1)
	v_dual_add_nc_u32 v4, s35, v9 :: v_dual_bitop2_b32 v2, s36, v8 bitop3:0x54
	v_cmp_neq_f64_e64 s37, s[18:19], 0
	v_and_b32_e32 v40, 7, v0
	s_mov_b32 s0, s22
	v_dual_ashrrev_i32 v3, 31, v2 :: v_dual_lshlrev_b32 v41, 4, v1
	v_dual_ashrrev_i32 v5, 31, v4 :: v_dual_add_nc_u32 v18, s35, v6
	v_cmp_neq_f64_e64 s38, s[10:11], 0
	s_delay_alu instid0(VALU_DEP_3) | instskip(SKIP_1) | instid1(VALU_DEP_4)
	v_mul_u64_e32 v[14:15], s[0:1], v[2:3]
	v_dual_lshrrev_b32 v42, 5, v7 :: v_dual_lshlrev_b32 v3, 4, v8
	v_mul_u64_e32 v[20:21], s[2:3], v[4:5]
	v_lshl_add_u32 v43, v6, 7, 0x1000
	v_dual_add_nc_u32 v6, s36, v1 :: v_dual_add_nc_u32 v24, 16, v18
	v_dual_mov_b32 v0, 0 :: v_dual_ashrrev_i32 v19, 31, v18
	v_dual_lshlrev_b32 v16, 4, v40 :: v_dual_lshlrev_b32 v22, 4, v42
	s_delay_alu instid0(VALU_DEP_3) | instskip(SKIP_2) | instid1(VALU_DEP_4)
	v_ashrrev_i32_e32 v25, 31, v24
	v_lshl_or_b32 v44, v42, 9, v3
	v_cmp_gt_i32_e64 s0, s24, v2
	v_lshl_or_b32 v7, v9, 7, v16
	v_mul_u64_e32 v[8:9], s[30:31], v[18:19]
	v_mul_u64_e32 v[10:11], s[30:31], v[24:25]
	v_cmp_le_i32_e64 s1, v18, v6
	v_cmp_gt_i32_e64 s2, s24, v6
	v_dual_mov_b32 v23, v0 :: v_dual_add_nc_u32 v12, 16, v6
	v_add_nc_u32_e32 v45, 0x1000, v7
	v_dual_ashrrev_i32 v7, 31, v6 :: v_dual_mov_b32 v17, v0
	s_or_b32 s34, s34, s37
	s_cmp_gt_i32 s25, 0
	v_cmp_gt_i32_e32 vcc_lo, s24, v4
	s_cselect_b32 s35, -1, 0
	s_lshl_b64 s[30:31], s[4:5], 4
	s_xor_b32 s3, s33, -1
	s_and_b32 s22, s1, s2
	s_or_b32 s5, s38, s3
	v_lshl_add_u64 v[2:3], v[14:15], 4, s[30:31]
	s_lshl_b64 s[30:31], s[8:9], 4
	v_cmp_le_i32_e64 s1, v18, v12
	v_cmp_gt_i32_e64 s3, s24, v12
	v_cmp_le_i32_e64 s4, v24, v6
	v_add_nc_u64_e32 v[14:15], v[2:3], v[22:23]
	v_lshl_add_u64 v[2:3], v[20:21], 4, s[30:31]
	v_ashrrev_i32_e32 v13, 31, v12
	s_and_b32 s8, s1, s3
	v_cmp_le_i32_e64 s1, v24, v12
	s_and_b32 s4, s4, s2
	v_add_nc_u64_e32 v[16:17], v[2:3], v[16:17]
	v_or_b32_e32 v14, 8, v14
	s_and_b32 s9, s34, s35
	s_and_b32 s1, s1, s3
	s_xor_b32 s24, vcc_lo, -1
	s_lshl_b64 s[2:3], s[28:29], 4
	s_branch .LBB429_7
.LBB429_6:                              ;   in Loop: Header=BB429_7 Depth=1
	s_wait_xcnt 0x0
	s_or_b32 exec_lo, exec_lo, s28
	s_add_co_i32 s26, s26, 0x10000
	s_delay_alu instid0(SALU_CYCLE_1)
	s_cmp_lt_u32 s26, s23
	s_cbranch_scc0 .LBB429_37
.LBB429_7:                              ; =>This Loop Header: Depth=1
                                        ;     Child Loop BB429_10 Depth 2
	v_mov_b32_e32 v1, s26
	v_mov_b64_e32 v[36:37], 0
	v_mov_b64_e32 v[38:39], 0
	;; [unrolled: 1-line block ×4, first 2 shown]
	global_load_b64 v[22:23], v1, s[14:15] scale_offset
	v_mov_b64_e32 v[24:25], 0
	v_mov_b64_e32 v[26:27], 0
	;; [unrolled: 1-line block ×4, first 2 shown]
	s_and_not1_b32 vcc_lo, exec_lo, s9
	s_cbranch_vccnz .LBB429_16
; %bb.8:                                ;   in Loop: Header=BB429_7 Depth=1
	s_lshl_b64 s[28:29], s[26:27], 3
	v_mov_b64_e32 v[20:21], 0
	s_add_nc_u64 s[30:31], s[20:21], s[28:29]
	s_add_nc_u64 s[28:29], s[6:7], s[28:29]
	s_clause 0x1
	global_load_b64 v[2:3], v0, s[30:31]
	global_load_b64 v[4:5], v0, s[28:29]
	v_mov_b64_e32 v[18:19], 0
	v_mov_b64_e32 v[26:27], 0
	;; [unrolled: 1-line block ×7, first 2 shown]
	s_wait_xcnt 0x0
	s_mov_b32 s28, 0
	s_wait_loadcnt 0x1
	v_add_nc_u64_e32 v[28:29], v[2:3], v[14:15]
	s_wait_loadcnt 0x0
	v_add_nc_u64_e32 v[30:31], v[4:5], v[16:17]
	s_branch .LBB429_10
.LBB429_9:                              ;   in Loop: Header=BB429_10 Depth=2
	s_wait_xcnt 0x0
	s_or_b32 exec_lo, exec_lo, s29
	s_wait_dscnt 0x0
	s_barrier_signal -1
	s_barrier_wait -1
	ds_load_b128 v[2:5], v43
	ds_load_b128 v[46:49], v41
	ds_load_b128 v[50:53], v41 offset:256
	ds_load_b128 v[54:57], v43 offset:2048
	ds_load_b128 v[58:61], v43 offset:16
	ds_load_b128 v[62:65], v41 offset:512
	ds_load_b128 v[66:69], v41 offset:768
	ds_load_b128 v[70:73], v43 offset:2064
	ds_load_b128 v[74:77], v43 offset:32
	ds_load_b128 v[78:81], v41 offset:1024
	ds_load_b128 v[82:85], v41 offset:1280
	ds_load_b128 v[86:89], v43 offset:2080
	v_add_nc_u64_e32 v[28:29], 0x80, v[28:29]
	v_add_nc_u64_e32 v[30:31], 0x80, v[30:31]
	s_add_co_i32 s28, s28, 8
	s_delay_alu instid0(SALU_CYCLE_1)
	s_cmp_lt_i32 s28, s25
	s_wait_dscnt 0xa
	v_mul_f64_e32 v[90:91], v[4:5], v[48:49]
	v_mul_f64_e32 v[92:93], v[2:3], v[48:49]
	s_wait_dscnt 0x9
	v_mul_f64_e32 v[94:95], v[4:5], v[52:53]
	v_mul_f64_e32 v[96:97], v[2:3], v[52:53]
	s_wait_dscnt 0x8
	v_mul_f64_e32 v[98:99], v[56:57], v[48:49]
	v_mul_f64_e32 v[100:101], v[54:55], v[48:49]
	v_mul_f64_e32 v[48:49], v[56:57], v[52:53]
	v_mul_f64_e32 v[102:103], v[54:55], v[52:53]
	s_wait_dscnt 0x6
	v_mul_f64_e32 v[104:105], v[60:61], v[64:65]
	v_mul_f64_e32 v[106:107], v[58:59], v[64:65]
	s_wait_dscnt 0x5
	v_mul_f64_e32 v[108:109], v[60:61], v[68:69]
	v_mul_f64_e32 v[110:111], v[58:59], v[68:69]
	s_wait_dscnt 0x4
	v_mul_f64_e32 v[112:113], v[72:73], v[64:65]
	v_mul_f64_e32 v[64:65], v[70:71], v[64:65]
	v_mul_f64_e32 v[114:115], v[72:73], v[68:69]
	v_mul_f64_e32 v[68:69], v[70:71], v[68:69]
	s_wait_dscnt 0x2
	v_mul_f64_e32 v[118:119], v[76:77], v[80:81]
	v_mul_f64_e32 v[120:121], v[74:75], v[80:81]
	s_wait_dscnt 0x1
	v_mul_f64_e32 v[122:123], v[76:77], v[84:85]
	v_mul_f64_e32 v[124:125], v[74:75], v[84:85]
	s_wait_dscnt 0x0
	v_mul_f64_e32 v[126:127], v[88:89], v[80:81]
	v_mul_f64_e32 v[80:81], v[86:87], v[80:81]
	v_mul_f64_e32 v[128:129], v[88:89], v[84:85]
	v_mul_f64_e32 v[84:85], v[86:87], v[84:85]
	v_fma_f64 v[90:91], v[2:3], v[46:47], -v[90:91]
	v_fmac_f64_e32 v[92:93], v[4:5], v[46:47]
	v_fma_f64 v[94:95], v[2:3], v[50:51], -v[94:95]
	v_fmac_f64_e32 v[96:97], v[4:5], v[50:51]
	;; [unrolled: 2-line block ×8, first 2 shown]
	ds_load_b128 v[2:5], v43 offset:48
	ds_load_b128 v[46:49], v43 offset:2096
	;; [unrolled: 1-line block ×4, first 2 shown]
	v_fma_f64 v[118:119], v[74:75], v[78:79], -v[118:119]
	v_fmac_f64_e32 v[120:121], v[76:77], v[78:79]
	v_fma_f64 v[74:75], v[74:75], v[82:83], -v[122:123]
	v_fmac_f64_e32 v[124:125], v[76:77], v[82:83]
	;; [unrolled: 2-line block ×4, first 2 shown]
	v_add_f64_e32 v[66:67], v[36:37], v[90:91]
	v_add_f64_e32 v[70:71], v[92:93], v[38:39]
	;; [unrolled: 1-line block ×8, first 2 shown]
	s_wait_dscnt 0x1
	v_mul_f64_e32 v[100:101], v[4:5], v[52:53]
	v_mul_f64_e32 v[102:103], v[2:3], v[52:53]
	s_wait_dscnt 0x0
	v_mul_f64_e32 v[108:109], v[4:5], v[56:57]
	v_mul_f64_e32 v[112:113], v[2:3], v[56:57]
	;; [unrolled: 1-line block ×6, first 2 shown]
	ds_load_b128 v[18:21], v43 offset:64
	ds_load_b128 v[24:27], v41 offset:2048
	;; [unrolled: 1-line block ×4, first 2 shown]
	v_add_f64_e32 v[82:83], v[66:67], v[104:105]
	v_add_f64_e32 v[86:87], v[106:107], v[70:71]
	;; [unrolled: 1-line block ×8, first 2 shown]
	s_wait_dscnt 0x2
	v_mul_f64_e32 v[98:99], v[20:21], v[26:27]
	v_mul_f64_e32 v[104:105], v[18:19], v[26:27]
	s_wait_dscnt 0x1
	v_mul_f64_e32 v[106:107], v[20:21], v[34:35]
	v_mul_f64_e32 v[110:111], v[18:19], v[34:35]
	;; [unrolled: 3-line block ×3, first 2 shown]
	v_mul_f64_e32 v[26:27], v[38:39], v[34:35]
	v_mul_f64_e32 v[128:129], v[36:37], v[34:35]
	v_fma_f64 v[34:35], v[2:3], v[50:51], -v[100:101]
	v_fmac_f64_e32 v[102:103], v[4:5], v[50:51]
	v_fma_f64 v[100:101], v[2:3], v[54:55], -v[108:109]
	v_fmac_f64_e32 v[112:113], v[4:5], v[54:55]
	;; [unrolled: 2-line block ×4, first 2 shown]
	ds_load_b128 v[56:59], v43 offset:80
	ds_load_b128 v[60:63], v43 offset:2128
	;; [unrolled: 1-line block ×4, first 2 shown]
	v_add_f64_e32 v[54:55], v[82:83], v[118:119]
	v_add_f64_e32 v[82:83], v[120:121], v[86:87]
	;; [unrolled: 1-line block ×8, first 2 shown]
	v_fma_f64 v[98:99], v[18:19], v[24:25], -v[98:99]
	v_fmac_f64_e32 v[104:105], v[20:21], v[24:25]
	v_fma_f64 v[106:107], v[18:19], v[32:33], -v[106:107]
	s_wait_dscnt 0x1
	v_mul_f64_e32 v[90:91], v[58:59], v[66:67]
	v_mul_f64_e32 v[92:93], v[56:57], v[66:67]
	s_wait_dscnt 0x0
	v_mul_f64_e32 v[94:95], v[58:59], v[70:71]
	v_mul_f64_e32 v[96:97], v[56:57], v[70:71]
	;; [unrolled: 1-line block ×6, first 2 shown]
	v_fmac_f64_e32 v[110:111], v[20:21], v[32:33]
	v_fma_f64 v[122:123], v[36:37], v[24:25], -v[122:123]
	v_fmac_f64_e32 v[126:127], v[38:39], v[24:25]
	v_fma_f64 v[124:125], v[36:37], v[32:33], -v[26:27]
	v_fmac_f64_e32 v[128:129], v[38:39], v[32:33]
	ds_load_b128 v[2:5], v43 offset:96
	ds_load_b128 v[46:49], v41 offset:3072
	;; [unrolled: 1-line block ×4, first 2 shown]
	v_add_f64_e32 v[54:55], v[54:55], v[34:35]
	v_add_f64_e32 v[82:83], v[102:103], v[82:83]
	v_add_f64_e32 v[86:87], v[86:87], v[100:101]
	v_add_f64_e32 v[88:89], v[112:113], v[88:89]
	v_add_f64_e32 v[76:77], v[76:77], v[108:109]
	v_add_f64_e32 v[80:81], v[116:117], v[80:81]
	v_add_f64_e32 v[78:79], v[78:79], v[114:115]
	v_add_f64_e32 v[84:85], v[130:131], v[84:85]
	ds_load_b128 v[18:21], v43 offset:112
	ds_load_b128 v[24:27], v43 offset:2160
	;; [unrolled: 1-line block ×4, first 2 shown]
	s_wait_dscnt 0x0
	v_mul_f64_e32 v[100:101], v[4:5], v[48:49]
	v_mul_f64_e32 v[102:103], v[2:3], v[48:49]
	;; [unrolled: 1-line block ×8, first 2 shown]
	v_fma_f64 v[90:91], v[56:57], v[64:65], -v[90:91]
	v_fmac_f64_e32 v[92:93], v[58:59], v[64:65]
	v_fma_f64 v[56:57], v[56:57], v[68:69], -v[94:95]
	v_fmac_f64_e32 v[96:97], v[58:59], v[68:69]
	;; [unrolled: 2-line block ×4, first 2 shown]
	s_barrier_signal -1
	s_barrier_wait -1
	v_mul_f64_e32 v[94:95], v[18:19], v[38:39]
	v_add_f64_e32 v[54:55], v[54:55], v[98:99]
	v_add_f64_e32 v[62:63], v[104:105], v[82:83]
	;; [unrolled: 1-line block ×8, first 2 shown]
	v_mul_f64_e32 v[84:85], v[20:21], v[34:35]
	v_mul_f64_e32 v[86:87], v[18:19], v[34:35]
	;; [unrolled: 1-line block ×7, first 2 shown]
	v_fma_f64 v[38:39], v[2:3], v[46:47], -v[100:101]
	v_fmac_f64_e32 v[102:103], v[4:5], v[46:47]
	v_fma_f64 v[2:3], v[2:3], v[50:51], -v[108:109]
	v_fmac_f64_e32 v[112:113], v[4:5], v[50:51]
	;; [unrolled: 2-line block ×4, first 2 shown]
	v_fmac_f64_e32 v[94:95], v[20:21], v[36:37]
	v_add_f64_e32 v[50:51], v[54:55], v[90:91]
	v_add_f64_e32 v[54:55], v[92:93], v[62:63]
	v_add_f64_e32 v[56:57], v[64:65], v[56:57]
	v_add_f64_e32 v[62:63], v[96:97], v[68:69]
	v_add_f64_e32 v[58:59], v[76:77], v[58:59]
	v_add_f64_e32 v[64:65], v[66:67], v[80:81]
	v_add_f64_e32 v[60:61], v[78:79], v[60:61]
	v_add_f64_e32 v[66:67], v[70:71], v[82:83]
	v_fma_f64 v[68:69], v[18:19], v[32:33], -v[84:85]
	v_fmac_f64_e32 v[86:87], v[20:21], v[32:33]
	v_fma_f64 v[18:19], v[18:19], v[36:37], -v[88:89]
	v_fma_f64 v[20:21], v[24:25], v[32:33], -v[98:99]
	v_fmac_f64_e32 v[104:105], v[26:27], v[32:33]
	v_fma_f64 v[70:71], v[24:25], v[36:37], -v[34:35]
	v_fmac_f64_e32 v[106:107], v[26:27], v[36:37]
	v_add_f64_e32 v[24:25], v[50:51], v[38:39]
	v_add_f64_e32 v[26:27], v[102:103], v[54:55]
	;; [unrolled: 1-line block ×16, first 2 shown]
	s_cbranch_scc0 .LBB429_16
.LBB429_10:                             ;   Parent Loop BB429_7 Depth=1
                                        ; =>  This Inner Loop Header: Depth=2
	v_add_nc_u32_e32 v1, s28, v42
	v_mov_b64_e32 v[2:3], 0
	v_mov_b64_e32 v[4:5], 0
	s_delay_alu instid0(VALU_DEP_3) | instskip(SKIP_1) | instid1(SALU_CYCLE_1)
	v_cmp_gt_i32_e32 vcc_lo, s25, v1
	s_and_b32 s30, s0, vcc_lo
	s_and_saveexec_b32 s29, s30
	s_cbranch_execz .LBB429_12
; %bb.11:                               ;   in Loop: Header=BB429_10 Depth=2
	flat_load_b128 v[2:5], v[28:29] offset:-8
	s_wait_loadcnt_dscnt 0x0
	v_xor_b32_e32 v5, 0x80000000, v5
.LBB429_12:                             ;   in Loop: Header=BB429_10 Depth=2
	s_wait_xcnt 0x0
	s_or_b32 exec_lo, exec_lo, s29
	v_add_nc_u32_e32 v1, s28, v40
	ds_store_b128 v44, v[2:5]
	v_cmp_le_i32_e32 vcc_lo, s25, v1
	s_or_b32 s29, vcc_lo, s24
	s_delay_alu instid0(SALU_CYCLE_1) | instskip(NEXT) | instid1(SALU_CYCLE_1)
	s_and_saveexec_b32 s30, s29
	s_xor_b32 s29, exec_lo, s30
; %bb.13:                               ;   in Loop: Header=BB429_10 Depth=2
	v_dual_mov_b32 v1, v0 :: v_dual_mov_b32 v2, v0
	v_mov_b32_e32 v3, v0
	ds_store_b128 v45, v[0:3]
; %bb.14:                               ;   in Loop: Header=BB429_10 Depth=2
	s_and_not1_saveexec_b32 s29, s29
	s_cbranch_execz .LBB429_9
; %bb.15:                               ;   in Loop: Header=BB429_10 Depth=2
	flat_load_b128 v[2:5], v[30:31]
	s_wait_loadcnt_dscnt 0x0
	ds_store_2addr_b64 v45, v[2:3], v[4:5] offset1:1
	s_branch .LBB429_9
.LBB429_16:                             ;   in Loop: Header=BB429_7 Depth=1
	s_wait_loadcnt 0x0
	v_add_nc_u64_e32 v[22:23], s[2:3], v[22:23]
	s_delay_alu instid0(VALU_DEP_1)
	v_lshl_add_u64 v[28:29], v[8:9], 4, v[22:23]
	s_wait_xcnt 0x0
	s_and_saveexec_b32 s28, s22
	s_cbranch_execz .LBB429_21
; %bb.17:                               ;   in Loop: Header=BB429_7 Depth=1
	v_mul_f64_e32 v[2:3], s[18:19], v[38:39]
	v_mul_f64_e32 v[4:5], s[16:17], v[38:39]
	v_lshl_add_u64 v[30:31], v[6:7], 4, v[28:29]
	s_and_b32 vcc_lo, exec_lo, s5
	s_mov_b32 s29, -1
	s_delay_alu instid0(VALU_DEP_3) | instskip(NEXT) | instid1(VALU_DEP_3)
	v_fma_f64 v[2:3], s[16:17], v[36:37], -v[2:3]
	v_fmac_f64_e32 v[4:5], s[18:19], v[36:37]
	s_cbranch_vccz .LBB429_19
; %bb.18:                               ;   in Loop: Header=BB429_7 Depth=1
	flat_load_b128 v[36:39], v[30:31]
	s_mov_b32 s29, 0
	s_wait_loadcnt_dscnt 0x0
	v_mul_f64_e32 v[46:47], s[12:13], v[38:39]
	v_mul_f64_e32 v[38:39], s[10:11], v[38:39]
	s_delay_alu instid0(VALU_DEP_2) | instskip(NEXT) | instid1(VALU_DEP_2)
	v_fma_f64 v[46:47], s[10:11], v[36:37], -v[46:47]
	v_fmac_f64_e32 v[38:39], s[12:13], v[36:37]
	s_delay_alu instid0(VALU_DEP_2) | instskip(NEXT) | instid1(VALU_DEP_2)
	v_add_f64_e32 v[36:37], v[2:3], v[46:47]
	v_add_f64_e32 v[38:39], v[4:5], v[38:39]
	flat_store_b128 v[30:31], v[36:39]
.LBB429_19:                             ;   in Loop: Header=BB429_7 Depth=1
	s_and_not1_b32 vcc_lo, exec_lo, s29
	s_cbranch_vccnz .LBB429_21
; %bb.20:                               ;   in Loop: Header=BB429_7 Depth=1
	flat_store_b128 v[30:31], v[2:5]
.LBB429_21:                             ;   in Loop: Header=BB429_7 Depth=1
	s_wait_xcnt 0x0
	s_or_b32 exec_lo, exec_lo, s28
	s_and_saveexec_b32 s28, s8
	s_cbranch_execz .LBB429_26
; %bb.22:                               ;   in Loop: Header=BB429_7 Depth=1
	v_mul_f64_e32 v[2:3], s[18:19], v[34:35]
	v_mul_f64_e32 v[4:5], s[16:17], v[34:35]
	v_lshl_add_u64 v[28:29], v[12:13], 4, v[28:29]
	s_and_not1_b32 vcc_lo, exec_lo, s5
	s_mov_b32 s29, -1
	s_delay_alu instid0(VALU_DEP_3) | instskip(NEXT) | instid1(VALU_DEP_3)
	v_fma_f64 v[2:3], s[16:17], v[32:33], -v[2:3]
	v_fmac_f64_e32 v[4:5], s[18:19], v[32:33]
	s_cbranch_vccnz .LBB429_24
; %bb.23:                               ;   in Loop: Header=BB429_7 Depth=1
	flat_load_b128 v[30:33], v[28:29]
	s_mov_b32 s29, 0
	s_wait_loadcnt_dscnt 0x0
	v_mul_f64_e32 v[34:35], s[12:13], v[32:33]
	v_mul_f64_e32 v[32:33], s[10:11], v[32:33]
	s_delay_alu instid0(VALU_DEP_2) | instskip(NEXT) | instid1(VALU_DEP_2)
	v_fma_f64 v[34:35], s[10:11], v[30:31], -v[34:35]
	v_fmac_f64_e32 v[32:33], s[12:13], v[30:31]
	s_delay_alu instid0(VALU_DEP_2) | instskip(NEXT) | instid1(VALU_DEP_2)
	v_add_f64_e32 v[30:31], v[2:3], v[34:35]
	v_add_f64_e32 v[32:33], v[4:5], v[32:33]
	flat_store_b128 v[28:29], v[30:33]
.LBB429_24:                             ;   in Loop: Header=BB429_7 Depth=1
	s_and_not1_b32 vcc_lo, exec_lo, s29
	s_cbranch_vccnz .LBB429_26
; %bb.25:                               ;   in Loop: Header=BB429_7 Depth=1
	flat_store_b128 v[28:29], v[2:5]
.LBB429_26:                             ;   in Loop: Header=BB429_7 Depth=1
	s_wait_xcnt 0x0
	s_or_b32 exec_lo, exec_lo, s28
	v_lshl_add_u64 v[22:23], v[10:11], 4, v[22:23]
	s_and_saveexec_b32 s28, s4
	s_cbranch_execz .LBB429_31
; %bb.27:                               ;   in Loop: Header=BB429_7 Depth=1
	v_mul_f64_e32 v[2:3], s[18:19], v[26:27]
	v_mul_f64_e32 v[4:5], s[16:17], v[26:27]
	s_and_not1_b32 vcc_lo, exec_lo, s5
	s_mov_b32 s29, -1
	s_delay_alu instid0(VALU_DEP_2) | instskip(NEXT) | instid1(VALU_DEP_2)
	v_fma_f64 v[2:3], s[16:17], v[24:25], -v[2:3]
	v_fmac_f64_e32 v[4:5], s[18:19], v[24:25]
	v_lshl_add_u64 v[24:25], v[6:7], 4, v[22:23]
	s_cbranch_vccnz .LBB429_29
; %bb.28:                               ;   in Loop: Header=BB429_7 Depth=1
	flat_load_b128 v[26:29], v[24:25]
	s_mov_b32 s29, 0
	s_wait_loadcnt_dscnt 0x0
	v_mul_f64_e32 v[30:31], s[12:13], v[28:29]
	v_mul_f64_e32 v[28:29], s[10:11], v[28:29]
	s_delay_alu instid0(VALU_DEP_2) | instskip(NEXT) | instid1(VALU_DEP_2)
	v_fma_f64 v[30:31], s[10:11], v[26:27], -v[30:31]
	v_fmac_f64_e32 v[28:29], s[12:13], v[26:27]
	s_delay_alu instid0(VALU_DEP_2) | instskip(NEXT) | instid1(VALU_DEP_2)
	v_add_f64_e32 v[26:27], v[2:3], v[30:31]
	v_add_f64_e32 v[28:29], v[4:5], v[28:29]
	flat_store_b128 v[24:25], v[26:29]
.LBB429_29:                             ;   in Loop: Header=BB429_7 Depth=1
	s_and_not1_b32 vcc_lo, exec_lo, s29
	s_cbranch_vccnz .LBB429_31
; %bb.30:                               ;   in Loop: Header=BB429_7 Depth=1
	flat_store_b128 v[24:25], v[2:5]
.LBB429_31:                             ;   in Loop: Header=BB429_7 Depth=1
	s_wait_xcnt 0x0
	s_or_b32 exec_lo, exec_lo, s28
	s_and_saveexec_b32 s28, s1
	s_cbranch_execz .LBB429_6
; %bb.32:                               ;   in Loop: Header=BB429_7 Depth=1
	s_delay_alu instid0(VALU_DEP_4) | instskip(SKIP_3) | instid1(VALU_DEP_2)
	v_mul_f64_e32 v[2:3], s[18:19], v[20:21]
	v_mul_f64_e32 v[4:5], s[16:17], v[20:21]
	s_and_not1_b32 vcc_lo, exec_lo, s5
	s_mov_b32 s29, -1
	v_fma_f64 v[2:3], s[16:17], v[18:19], -v[2:3]
	s_delay_alu instid0(VALU_DEP_2)
	v_fmac_f64_e32 v[4:5], s[18:19], v[18:19]
	v_lshl_add_u64 v[18:19], v[12:13], 4, v[22:23]
	s_cbranch_vccnz .LBB429_34
; %bb.33:                               ;   in Loop: Header=BB429_7 Depth=1
	flat_load_b128 v[20:23], v[18:19]
	s_mov_b32 s29, 0
	s_wait_loadcnt_dscnt 0x0
	v_mul_f64_e32 v[24:25], s[12:13], v[22:23]
	v_mul_f64_e32 v[22:23], s[10:11], v[22:23]
	s_delay_alu instid0(VALU_DEP_2) | instskip(NEXT) | instid1(VALU_DEP_2)
	v_fma_f64 v[24:25], s[10:11], v[20:21], -v[24:25]
	v_fmac_f64_e32 v[22:23], s[12:13], v[20:21]
	s_delay_alu instid0(VALU_DEP_2) | instskip(NEXT) | instid1(VALU_DEP_2)
	v_add_f64_e32 v[20:21], v[2:3], v[24:25]
	v_add_f64_e32 v[22:23], v[4:5], v[22:23]
	flat_store_b128 v[18:19], v[20:23]
.LBB429_34:                             ;   in Loop: Header=BB429_7 Depth=1
	s_and_not1_b32 vcc_lo, exec_lo, s29
	s_cbranch_vccnz .LBB429_6
; %bb.35:                               ;   in Loop: Header=BB429_7 Depth=1
	flat_store_b128 v[18:19], v[2:5]
	s_branch .LBB429_6
.LBB429_36:
.LBB429_37:
	s_sendmsg sendmsg(MSG_DEALLOC_VGPRS)
	s_endpgm
	.section	.rodata,"a",@progbits
	.p2align	6, 0x0
	.amdhsa_kernel _ZL29rocblas_internal_gemmt_kernelIiLi16ELi32ELi8ELc67ELc78ELc76ELb1ELb0E19rocblas_complex_numIdES1_PKPKS1_PKPS1_EviT_T9_T10_S9_lSB_S9_lSA_T11_S9_li
		.amdhsa_group_segment_fixed_size 8192
		.amdhsa_private_segment_fixed_size 0
		.amdhsa_kernarg_size 116
		.amdhsa_user_sgpr_count 2
		.amdhsa_user_sgpr_dispatch_ptr 0
		.amdhsa_user_sgpr_queue_ptr 0
		.amdhsa_user_sgpr_kernarg_segment_ptr 1
		.amdhsa_user_sgpr_dispatch_id 0
		.amdhsa_user_sgpr_kernarg_preload_length 0
		.amdhsa_user_sgpr_kernarg_preload_offset 0
		.amdhsa_user_sgpr_private_segment_size 0
		.amdhsa_wavefront_size32 1
		.amdhsa_uses_dynamic_stack 0
		.amdhsa_enable_private_segment 0
		.amdhsa_system_sgpr_workgroup_id_x 1
		.amdhsa_system_sgpr_workgroup_id_y 1
		.amdhsa_system_sgpr_workgroup_id_z 1
		.amdhsa_system_sgpr_workgroup_info 0
		.amdhsa_system_vgpr_workitem_id 1
		.amdhsa_next_free_vgpr 132
		.amdhsa_next_free_sgpr 39
		.amdhsa_named_barrier_count 0
		.amdhsa_reserve_vcc 1
		.amdhsa_float_round_mode_32 0
		.amdhsa_float_round_mode_16_64 0
		.amdhsa_float_denorm_mode_32 3
		.amdhsa_float_denorm_mode_16_64 3
		.amdhsa_fp16_overflow 0
		.amdhsa_memory_ordered 1
		.amdhsa_forward_progress 1
		.amdhsa_inst_pref_size 24
		.amdhsa_round_robin_scheduling 0
		.amdhsa_exception_fp_ieee_invalid_op 0
		.amdhsa_exception_fp_denorm_src 0
		.amdhsa_exception_fp_ieee_div_zero 0
		.amdhsa_exception_fp_ieee_overflow 0
		.amdhsa_exception_fp_ieee_underflow 0
		.amdhsa_exception_fp_ieee_inexact 0
		.amdhsa_exception_int_div_zero 0
	.end_amdhsa_kernel
	.section	.text._ZL29rocblas_internal_gemmt_kernelIiLi16ELi32ELi8ELc67ELc78ELc76ELb1ELb0E19rocblas_complex_numIdES1_PKPKS1_PKPS1_EviT_T9_T10_S9_lSB_S9_lSA_T11_S9_li,"axG",@progbits,_ZL29rocblas_internal_gemmt_kernelIiLi16ELi32ELi8ELc67ELc78ELc76ELb1ELb0E19rocblas_complex_numIdES1_PKPKS1_PKPS1_EviT_T9_T10_S9_lSB_S9_lSA_T11_S9_li,comdat
.Lfunc_end429:
	.size	_ZL29rocblas_internal_gemmt_kernelIiLi16ELi32ELi8ELc67ELc78ELc76ELb1ELb0E19rocblas_complex_numIdES1_PKPKS1_PKPS1_EviT_T9_T10_S9_lSB_S9_lSA_T11_S9_li, .Lfunc_end429-_ZL29rocblas_internal_gemmt_kernelIiLi16ELi32ELi8ELc67ELc78ELc76ELb1ELb0E19rocblas_complex_numIdES1_PKPKS1_PKPS1_EviT_T9_T10_S9_lSB_S9_lSA_T11_S9_li
                                        ; -- End function
	.set _ZL29rocblas_internal_gemmt_kernelIiLi16ELi32ELi8ELc67ELc78ELc76ELb1ELb0E19rocblas_complex_numIdES1_PKPKS1_PKPS1_EviT_T9_T10_S9_lSB_S9_lSA_T11_S9_li.num_vgpr, 132
	.set _ZL29rocblas_internal_gemmt_kernelIiLi16ELi32ELi8ELc67ELc78ELc76ELb1ELb0E19rocblas_complex_numIdES1_PKPKS1_PKPS1_EviT_T9_T10_S9_lSB_S9_lSA_T11_S9_li.num_agpr, 0
	.set _ZL29rocblas_internal_gemmt_kernelIiLi16ELi32ELi8ELc67ELc78ELc76ELb1ELb0E19rocblas_complex_numIdES1_PKPKS1_PKPS1_EviT_T9_T10_S9_lSB_S9_lSA_T11_S9_li.numbered_sgpr, 39
	.set _ZL29rocblas_internal_gemmt_kernelIiLi16ELi32ELi8ELc67ELc78ELc76ELb1ELb0E19rocblas_complex_numIdES1_PKPKS1_PKPS1_EviT_T9_T10_S9_lSB_S9_lSA_T11_S9_li.num_named_barrier, 0
	.set _ZL29rocblas_internal_gemmt_kernelIiLi16ELi32ELi8ELc67ELc78ELc76ELb1ELb0E19rocblas_complex_numIdES1_PKPKS1_PKPS1_EviT_T9_T10_S9_lSB_S9_lSA_T11_S9_li.private_seg_size, 0
	.set _ZL29rocblas_internal_gemmt_kernelIiLi16ELi32ELi8ELc67ELc78ELc76ELb1ELb0E19rocblas_complex_numIdES1_PKPKS1_PKPS1_EviT_T9_T10_S9_lSB_S9_lSA_T11_S9_li.uses_vcc, 1
	.set _ZL29rocblas_internal_gemmt_kernelIiLi16ELi32ELi8ELc67ELc78ELc76ELb1ELb0E19rocblas_complex_numIdES1_PKPKS1_PKPS1_EviT_T9_T10_S9_lSB_S9_lSA_T11_S9_li.uses_flat_scratch, 0
	.set _ZL29rocblas_internal_gemmt_kernelIiLi16ELi32ELi8ELc67ELc78ELc76ELb1ELb0E19rocblas_complex_numIdES1_PKPKS1_PKPS1_EviT_T9_T10_S9_lSB_S9_lSA_T11_S9_li.has_dyn_sized_stack, 0
	.set _ZL29rocblas_internal_gemmt_kernelIiLi16ELi32ELi8ELc67ELc78ELc76ELb1ELb0E19rocblas_complex_numIdES1_PKPKS1_PKPS1_EviT_T9_T10_S9_lSB_S9_lSA_T11_S9_li.has_recursion, 0
	.set _ZL29rocblas_internal_gemmt_kernelIiLi16ELi32ELi8ELc67ELc78ELc76ELb1ELb0E19rocblas_complex_numIdES1_PKPKS1_PKPS1_EviT_T9_T10_S9_lSB_S9_lSA_T11_S9_li.has_indirect_call, 0
	.section	.AMDGPU.csdata,"",@progbits
; Kernel info:
; codeLenInByte = 2960
; TotalNumSgprs: 41
; NumVgprs: 132
; ScratchSize: 0
; MemoryBound: 1
; FloatMode: 240
; IeeeMode: 1
; LDSByteSize: 8192 bytes/workgroup (compile time only)
; SGPRBlocks: 0
; VGPRBlocks: 8
; NumSGPRsForWavesPerEU: 41
; NumVGPRsForWavesPerEU: 132
; NamedBarCnt: 0
; Occupancy: 7
; WaveLimiterHint : 1
; COMPUTE_PGM_RSRC2:SCRATCH_EN: 0
; COMPUTE_PGM_RSRC2:USER_SGPR: 2
; COMPUTE_PGM_RSRC2:TRAP_HANDLER: 0
; COMPUTE_PGM_RSRC2:TGID_X_EN: 1
; COMPUTE_PGM_RSRC2:TGID_Y_EN: 1
; COMPUTE_PGM_RSRC2:TGID_Z_EN: 1
; COMPUTE_PGM_RSRC2:TIDIG_COMP_CNT: 1
	.section	.text._ZL29rocblas_internal_gemmt_kernelIiLi16ELi32ELi8ELc67ELc84ELc76ELb1ELb0E19rocblas_complex_numIdES1_PKPKS1_PKPS1_EviT_T9_T10_S9_lSB_S9_lSA_T11_S9_li,"axG",@progbits,_ZL29rocblas_internal_gemmt_kernelIiLi16ELi32ELi8ELc67ELc84ELc76ELb1ELb0E19rocblas_complex_numIdES1_PKPKS1_PKPS1_EviT_T9_T10_S9_lSB_S9_lSA_T11_S9_li,comdat
	.globl	_ZL29rocblas_internal_gemmt_kernelIiLi16ELi32ELi8ELc67ELc84ELc76ELb1ELb0E19rocblas_complex_numIdES1_PKPKS1_PKPS1_EviT_T9_T10_S9_lSB_S9_lSA_T11_S9_li ; -- Begin function _ZL29rocblas_internal_gemmt_kernelIiLi16ELi32ELi8ELc67ELc84ELc76ELb1ELb0E19rocblas_complex_numIdES1_PKPKS1_PKPS1_EviT_T9_T10_S9_lSB_S9_lSA_T11_S9_li
	.p2align	8
	.type	_ZL29rocblas_internal_gemmt_kernelIiLi16ELi32ELi8ELc67ELc84ELc76ELb1ELb0E19rocblas_complex_numIdES1_PKPKS1_PKPS1_EviT_T9_T10_S9_lSB_S9_lSA_T11_S9_li,@function
_ZL29rocblas_internal_gemmt_kernelIiLi16ELi32ELi8ELc67ELc84ELc76ELb1ELb0E19rocblas_complex_numIdES1_PKPKS1_PKPS1_EviT_T9_T10_S9_lSB_S9_lSA_T11_S9_li: ; @_ZL29rocblas_internal_gemmt_kernelIiLi16ELi32ELi8ELc67ELc84ELc76ELb1ELb0E19rocblas_complex_numIdES1_PKPKS1_PKPS1_EviT_T9_T10_S9_lSB_S9_lSA_T11_S9_li
; %bb.0:
	s_clause 0x2
	s_load_b256 s[8:15], s[0:1], 0x40
	s_load_b64 s[24:25], s[0:1], 0x0
	s_load_b128 s[16:19], s[0:1], 0x8
	s_wait_kmcnt 0x0
	v_cmp_eq_f64_e64 s2, s[10:11], 1.0
	v_cmp_eq_f64_e64 s33, s[12:13], 0
	s_and_b32 s2, s2, s33
	s_delay_alu instid0(SALU_CYCLE_1)
	s_and_not1_b32 vcc_lo, exec_lo, s2
	s_mov_b32 s2, -1
	s_cbranch_vccnz .LBB430_3
; %bb.1:
	s_cmp_lg_u32 s25, 0
	s_cbranch_scc0 .LBB430_36
; %bb.2:
	v_cmp_neq_f64_e64 s2, s[16:17], 0
	v_cmp_neq_f64_e64 s3, s[18:19], 0
	s_or_b32 s2, s2, s3
.LBB430_3:
	s_delay_alu instid0(SALU_CYCLE_1)
	s_and_b32 vcc_lo, exec_lo, s2
	s_cbranch_vccz .LBB430_37
; %bb.4:
	s_load_b32 s23, s[0:1], 0x70
	s_bfe_u32 s2, ttmp6, 0x40014
	s_lshr_b32 s3, ttmp7, 16
	s_add_co_i32 s2, s2, 1
	s_bfe_u32 s4, ttmp6, 0x40008
	s_mul_i32 s2, s3, s2
	s_getreg_b32 s34, hwreg(HW_REG_IB_STS2, 6, 4)
	s_add_co_i32 s4, s4, s2
	s_cmp_eq_u32 s34, 0
	s_mov_b32 s27, 0
	s_cselect_b32 s26, s3, s4
	s_wait_kmcnt 0x0
	s_cmp_ge_u32 s26, s23
	s_cbranch_scc1 .LBB430_37
; %bb.5:
	s_clause 0x2
	s_load_b96 s[20:22], s[0:1], 0x18
	s_load_b32 s28, s[0:1], 0x38
	s_load_b32 s2, s[0:1], 0x60
	v_and_b32_e32 v1, 0x3ff, v0
	v_bfe_u32 v9, v0, 10, 10
	s_clause 0x1
	s_load_b128 s[4:7], s[0:1], 0x28
	s_load_b64 s[30:31], s[0:1], 0x68
	s_wait_xcnt 0x0
	s_bfe_u32 s1, ttmp6, 0x4000c
	s_bfe_u32 s3, ttmp6, 0x40010
	s_and_b32 s37, ttmp7, 0xffff
	s_add_co_i32 s1, s1, 1
	s_add_co_i32 s3, s3, 1
	v_lshl_add_u32 v4, v9, 4, v1
	s_and_b32 s0, ttmp6, 15
	s_mul_i32 s38, ttmp9, s1
	s_mul_i32 s39, s37, s3
	s_bfe_u32 s40, ttmp6, 0x40004
	s_add_co_i32 s0, s0, s38
	s_add_co_i32 s40, s40, s39
	v_and_b32_e32 v8, 31, v4
	v_cmp_neq_f64_e64 s35, s[16:17], 0
	s_wait_kmcnt 0x0
	s_ashr_i32 s1, s22, 31
	s_ashr_i32 s29, s28, 31
	s_ashr_i32 s3, s2, 31
	s_cmp_eq_u32 s34, 0
	v_cmp_neq_f64_e64 s36, s[18:19], 0
	s_cselect_b32 s0, ttmp9, s0
	s_cselect_b32 s34, s37, s40
	s_lshl_b32 s37, s0, 5
	v_dual_lshrrev_b32 v42, 5, v4 :: v_dual_lshrrev_b32 v10, 3, v4
	v_or_b32_e32 v2, s37, v8
	s_mov_b32 s0, s22
	s_lshl_b32 s22, s34, 5
	s_delay_alu instid0(VALU_DEP_2) | instid1(SALU_CYCLE_1)
	v_dual_add_nc_u32 v18, s22, v10 :: v_dual_bitop2_b32 v6, 7, v0 bitop3:0x40
	s_delay_alu instid0(VALU_DEP_2) | instskip(NEXT) | instid1(VALU_DEP_2)
	v_dual_mov_b32 v0, 0 :: v_dual_ashrrev_i32 v3, 31, v2
	v_dual_add_nc_u32 v16, s22, v9 :: v_dual_lshlrev_b32 v11, 4, v6
	s_delay_alu instid0(VALU_DEP_2) | instskip(NEXT) | instid1(VALU_DEP_3)
	v_dual_mov_b32 v7, v0 :: v_dual_lshlrev_b32 v8, 4, v8
	v_mul_u64_e32 v[4:5], s[0:1], v[2:3]
	v_cmp_gt_i32_e64 s0, s24, v2
	s_delay_alu instid0(VALU_DEP_4) | instskip(NEXT) | instid1(VALU_DEP_4)
	v_dual_add_nc_u32 v20, 16, v16 :: v_dual_ashrrev_i32 v17, 31, v16
	v_mul_u64_e32 v[2:3], s[28:29], v[6:7]
	v_cmp_neq_f64_e64 s38, s[10:11], 0
	v_lshl_or_b32 v7, v42, 9, v8
	v_lshl_or_b32 v10, v10, 7, v11
	v_dual_add_nc_u32 v8, s37, v1 :: v_dual_ashrrev_i32 v21, 31, v20
	v_dual_mov_b32 v23, v0 :: v_dual_lshlrev_b32 v22, 4, v42
	s_delay_alu instid0(VALU_DEP_3) | instskip(SKIP_1) | instid1(VALU_DEP_4)
	v_add_nc_u32_e32 v43, 0x1000, v10
	v_mul_u64_e32 v[10:11], s[2:3], v[16:17]
	v_mul_u64_e32 v[12:13], s[2:3], v[20:21]
	s_or_b32 s34, s35, s36
	s_cmp_gt_i32 s25, 0
	v_cmp_le_i32_e64 s1, v16, v8
	s_cselect_b32 s35, -1, 0
	s_lshl_b64 s[4:5], s[4:5], 4
	v_cmp_gt_i32_e64 s2, s24, v8
	v_add_nc_u32_e32 v14, 16, v8
	s_xor_b32 s3, s33, -1
	v_lshl_add_u32 v45, v9, 7, 0x1000
	v_ashrrev_i32_e32 v9, 31, v8
	s_and_b32 s33, s1, s2
	v_cmp_le_i32_e64 s1, v16, v14
	s_lshl_b64 s[8:9], s[8:9], 4
	v_dual_ashrrev_i32 v19, 31, v18 :: v_dual_lshlrev_b32 v44, 4, v1
	v_cmp_gt_i32_e32 vcc_lo, s24, v18
	v_lshl_add_u64 v[4:5], v[4:5], 4, s[4:5]
	v_cmp_le_i32_e64 s4, v20, v8
	v_cmp_le_i32_e64 s5, v20, v14
	v_lshl_add_u64 v[2:3], v[2:3], 4, s[8:9]
	s_delay_alu instid0(VALU_DEP_4)
	v_add_nc_u64_e32 v[16:17], v[4:5], v[22:23]
	s_or_b32 s22, s38, s3
	v_cmp_gt_i32_e64 s3, s24, v14
	v_ashrrev_i32_e32 v15, 31, v14
	v_lshl_add_u64 v[18:19], v[18:19], 4, v[2:3]
	s_and_b32 s8, s4, s2
	s_and_b32 s24, s34, s35
	v_or_b32_e32 v16, 8, v16
	s_and_b32 s1, s1, s3
	s_and_b32 s9, s5, s3
	s_lshl_b64 s[2:3], s[28:29], 7
	s_xor_b32 s28, vcc_lo, -1
	s_lshl_b64 s[4:5], s[30:31], 4
	s_branch .LBB430_7
.LBB430_6:                              ;   in Loop: Header=BB430_7 Depth=1
	s_wait_xcnt 0x0
	s_or_b32 exec_lo, exec_lo, s29
	s_add_co_i32 s26, s26, 0x10000
	s_delay_alu instid0(SALU_CYCLE_1)
	s_cmp_lt_u32 s26, s23
	s_cbranch_scc0 .LBB430_37
.LBB430_7:                              ; =>This Loop Header: Depth=1
                                        ;     Child Loop BB430_10 Depth 2
	v_mov_b32_e32 v1, s26
	v_mov_b64_e32 v[38:39], 0
	v_mov_b64_e32 v[40:41], 0
	;; [unrolled: 1-line block ×4, first 2 shown]
	global_load_b64 v[24:25], v1, s[14:15] scale_offset
	v_mov_b64_e32 v[26:27], 0
	v_mov_b64_e32 v[28:29], 0
	;; [unrolled: 1-line block ×4, first 2 shown]
	s_and_not1_b32 vcc_lo, exec_lo, s24
	s_cbranch_vccnz .LBB430_16
; %bb.8:                                ;   in Loop: Header=BB430_7 Depth=1
	s_lshl_b64 s[30:31], s[26:27], 3
	v_mov_b64_e32 v[22:23], 0
	s_add_nc_u64 s[34:35], s[20:21], s[30:31]
	s_add_nc_u64 s[30:31], s[6:7], s[30:31]
	s_clause 0x1
	global_load_b64 v[2:3], v0, s[34:35]
	global_load_b64 v[4:5], v0, s[30:31]
	v_mov_b64_e32 v[20:21], 0
	v_mov_b64_e32 v[28:29], 0
	;; [unrolled: 1-line block ×7, first 2 shown]
	s_mov_b32 s29, 0
	s_wait_loadcnt 0x1
	v_add_nc_u64_e32 v[30:31], v[2:3], v[16:17]
	s_wait_loadcnt 0x0
	v_add_nc_u64_e32 v[32:33], v[4:5], v[18:19]
	s_branch .LBB430_10
.LBB430_9:                              ;   in Loop: Header=BB430_10 Depth=2
	s_wait_xcnt 0x0
	s_or_b32 exec_lo, exec_lo, s30
	s_wait_dscnt 0x0
	s_barrier_signal -1
	s_barrier_wait -1
	ds_load_b128 v[2:5], v45
	ds_load_b128 v[46:49], v44
	ds_load_b128 v[50:53], v44 offset:256
	ds_load_b128 v[54:57], v45 offset:2048
	;; [unrolled: 1-line block ×10, first 2 shown]
	v_add_nc_u64_e32 v[30:31], 0x80, v[30:31]
	v_add_nc_u64_e32 v[32:33], s[2:3], v[32:33]
	s_add_co_i32 s29, s29, 8
	s_delay_alu instid0(SALU_CYCLE_1)
	s_cmp_lt_i32 s29, s25
	s_wait_dscnt 0xa
	v_mul_f64_e32 v[90:91], v[4:5], v[48:49]
	v_mul_f64_e32 v[92:93], v[2:3], v[48:49]
	s_wait_dscnt 0x9
	v_mul_f64_e32 v[94:95], v[4:5], v[52:53]
	v_mul_f64_e32 v[96:97], v[2:3], v[52:53]
	s_wait_dscnt 0x8
	v_mul_f64_e32 v[98:99], v[56:57], v[48:49]
	v_mul_f64_e32 v[100:101], v[54:55], v[48:49]
	v_mul_f64_e32 v[48:49], v[56:57], v[52:53]
	v_mul_f64_e32 v[102:103], v[54:55], v[52:53]
	s_wait_dscnt 0x6
	v_mul_f64_e32 v[104:105], v[60:61], v[64:65]
	v_mul_f64_e32 v[106:107], v[58:59], v[64:65]
	s_wait_dscnt 0x5
	v_mul_f64_e32 v[108:109], v[60:61], v[68:69]
	v_mul_f64_e32 v[110:111], v[58:59], v[68:69]
	s_wait_dscnt 0x4
	v_mul_f64_e32 v[112:113], v[72:73], v[64:65]
	v_mul_f64_e32 v[64:65], v[70:71], v[64:65]
	v_mul_f64_e32 v[114:115], v[72:73], v[68:69]
	v_mul_f64_e32 v[68:69], v[70:71], v[68:69]
	;; [unrolled: 11-line block ×3, first 2 shown]
	v_fma_f64 v[90:91], v[2:3], v[46:47], -v[90:91]
	v_fmac_f64_e32 v[92:93], v[4:5], v[46:47]
	v_fma_f64 v[94:95], v[2:3], v[50:51], -v[94:95]
	v_fmac_f64_e32 v[96:97], v[4:5], v[50:51]
	;; [unrolled: 2-line block ×8, first 2 shown]
	ds_load_b128 v[2:5], v45 offset:48
	ds_load_b128 v[46:49], v45 offset:2096
	;; [unrolled: 1-line block ×4, first 2 shown]
	v_fma_f64 v[118:119], v[74:75], v[78:79], -v[118:119]
	v_fmac_f64_e32 v[120:121], v[76:77], v[78:79]
	v_fma_f64 v[74:75], v[74:75], v[82:83], -v[122:123]
	v_fmac_f64_e32 v[124:125], v[76:77], v[82:83]
	;; [unrolled: 2-line block ×4, first 2 shown]
	v_add_f64_e32 v[66:67], v[38:39], v[90:91]
	v_add_f64_e32 v[70:71], v[92:93], v[40:41]
	;; [unrolled: 1-line block ×8, first 2 shown]
	s_wait_dscnt 0x1
	v_mul_f64_e32 v[100:101], v[4:5], v[52:53]
	v_mul_f64_e32 v[102:103], v[2:3], v[52:53]
	s_wait_dscnt 0x0
	v_mul_f64_e32 v[108:109], v[4:5], v[56:57]
	v_mul_f64_e32 v[112:113], v[2:3], v[56:57]
	;; [unrolled: 1-line block ×6, first 2 shown]
	ds_load_b128 v[20:23], v45 offset:64
	ds_load_b128 v[26:29], v44 offset:2048
	;; [unrolled: 1-line block ×4, first 2 shown]
	v_add_f64_e32 v[82:83], v[66:67], v[104:105]
	v_add_f64_e32 v[86:87], v[106:107], v[70:71]
	;; [unrolled: 1-line block ×8, first 2 shown]
	s_wait_dscnt 0x2
	v_mul_f64_e32 v[98:99], v[22:23], v[28:29]
	v_mul_f64_e32 v[104:105], v[20:21], v[28:29]
	s_wait_dscnt 0x1
	v_mul_f64_e32 v[106:107], v[22:23], v[36:37]
	v_mul_f64_e32 v[110:111], v[20:21], v[36:37]
	;; [unrolled: 3-line block ×3, first 2 shown]
	v_mul_f64_e32 v[28:29], v[40:41], v[36:37]
	v_mul_f64_e32 v[128:129], v[38:39], v[36:37]
	v_fma_f64 v[36:37], v[2:3], v[50:51], -v[100:101]
	v_fmac_f64_e32 v[102:103], v[4:5], v[50:51]
	v_fma_f64 v[100:101], v[2:3], v[54:55], -v[108:109]
	v_fmac_f64_e32 v[112:113], v[4:5], v[54:55]
	;; [unrolled: 2-line block ×4, first 2 shown]
	ds_load_b128 v[56:59], v45 offset:80
	ds_load_b128 v[60:63], v45 offset:2128
	;; [unrolled: 1-line block ×4, first 2 shown]
	v_add_f64_e32 v[54:55], v[82:83], v[118:119]
	v_add_f64_e32 v[82:83], v[120:121], v[86:87]
	;; [unrolled: 1-line block ×8, first 2 shown]
	v_fma_f64 v[98:99], v[20:21], v[26:27], -v[98:99]
	v_fmac_f64_e32 v[104:105], v[22:23], v[26:27]
	v_fma_f64 v[106:107], v[20:21], v[34:35], -v[106:107]
	s_wait_dscnt 0x1
	v_mul_f64_e32 v[90:91], v[58:59], v[66:67]
	v_mul_f64_e32 v[92:93], v[56:57], v[66:67]
	s_wait_dscnt 0x0
	v_mul_f64_e32 v[94:95], v[58:59], v[70:71]
	v_mul_f64_e32 v[96:97], v[56:57], v[70:71]
	;; [unrolled: 1-line block ×6, first 2 shown]
	v_fmac_f64_e32 v[110:111], v[22:23], v[34:35]
	v_fma_f64 v[122:123], v[38:39], v[26:27], -v[122:123]
	v_fmac_f64_e32 v[126:127], v[40:41], v[26:27]
	v_fma_f64 v[124:125], v[38:39], v[34:35], -v[28:29]
	v_fmac_f64_e32 v[128:129], v[40:41], v[34:35]
	ds_load_b128 v[2:5], v45 offset:96
	ds_load_b128 v[46:49], v44 offset:3072
	;; [unrolled: 1-line block ×4, first 2 shown]
	v_add_f64_e32 v[54:55], v[54:55], v[36:37]
	v_add_f64_e32 v[82:83], v[102:103], v[82:83]
	;; [unrolled: 1-line block ×8, first 2 shown]
	ds_load_b128 v[20:23], v45 offset:112
	ds_load_b128 v[26:29], v45 offset:2160
	;; [unrolled: 1-line block ×4, first 2 shown]
	s_wait_dscnt 0x0
	v_mul_f64_e32 v[100:101], v[4:5], v[48:49]
	v_mul_f64_e32 v[102:103], v[2:3], v[48:49]
	;; [unrolled: 1-line block ×8, first 2 shown]
	v_fma_f64 v[90:91], v[56:57], v[64:65], -v[90:91]
	v_fmac_f64_e32 v[92:93], v[58:59], v[64:65]
	v_fma_f64 v[56:57], v[56:57], v[68:69], -v[94:95]
	v_fmac_f64_e32 v[96:97], v[58:59], v[68:69]
	;; [unrolled: 2-line block ×4, first 2 shown]
	s_barrier_signal -1
	s_barrier_wait -1
	v_mul_f64_e32 v[94:95], v[20:21], v[40:41]
	v_add_f64_e32 v[54:55], v[54:55], v[98:99]
	v_add_f64_e32 v[62:63], v[104:105], v[82:83]
	;; [unrolled: 1-line block ×8, first 2 shown]
	v_mul_f64_e32 v[84:85], v[22:23], v[36:37]
	v_mul_f64_e32 v[86:87], v[20:21], v[36:37]
	;; [unrolled: 1-line block ×7, first 2 shown]
	v_fma_f64 v[40:41], v[2:3], v[46:47], -v[100:101]
	v_fmac_f64_e32 v[102:103], v[4:5], v[46:47]
	v_fma_f64 v[2:3], v[2:3], v[50:51], -v[108:109]
	v_fmac_f64_e32 v[112:113], v[4:5], v[50:51]
	;; [unrolled: 2-line block ×4, first 2 shown]
	v_fmac_f64_e32 v[94:95], v[22:23], v[38:39]
	v_add_f64_e32 v[50:51], v[54:55], v[90:91]
	v_add_f64_e32 v[54:55], v[92:93], v[62:63]
	;; [unrolled: 1-line block ×8, first 2 shown]
	v_fma_f64 v[68:69], v[20:21], v[34:35], -v[84:85]
	v_fmac_f64_e32 v[86:87], v[22:23], v[34:35]
	v_fma_f64 v[20:21], v[20:21], v[38:39], -v[88:89]
	v_fma_f64 v[22:23], v[26:27], v[34:35], -v[98:99]
	v_fmac_f64_e32 v[104:105], v[28:29], v[34:35]
	v_fma_f64 v[70:71], v[26:27], v[38:39], -v[36:37]
	v_fmac_f64_e32 v[106:107], v[28:29], v[38:39]
	v_add_f64_e32 v[26:27], v[50:51], v[40:41]
	v_add_f64_e32 v[28:29], v[102:103], v[54:55]
	;; [unrolled: 1-line block ×16, first 2 shown]
	s_cbranch_scc0 .LBB430_16
.LBB430_10:                             ;   Parent Loop BB430_7 Depth=1
                                        ; =>  This Inner Loop Header: Depth=2
	s_wait_xcnt 0x2
	v_add_nc_u32_e32 v1, s29, v42
	v_mov_b64_e32 v[2:3], 0
	v_mov_b64_e32 v[4:5], 0
	s_delay_alu instid0(VALU_DEP_3) | instskip(SKIP_2) | instid1(SALU_CYCLE_1)
	v_cmp_gt_i32_e32 vcc_lo, s25, v1
	s_wait_xcnt 0x0
	s_and_b32 s31, s0, vcc_lo
	s_and_saveexec_b32 s30, s31
	s_cbranch_execz .LBB430_12
; %bb.11:                               ;   in Loop: Header=BB430_10 Depth=2
	flat_load_b128 v[2:5], v[30:31] offset:-8
	s_wait_loadcnt_dscnt 0x0
	v_xor_b32_e32 v5, 0x80000000, v5
.LBB430_12:                             ;   in Loop: Header=BB430_10 Depth=2
	s_wait_xcnt 0x0
	s_or_b32 exec_lo, exec_lo, s30
	v_add_nc_u32_e32 v1, s29, v6
	ds_store_b128 v7, v[2:5]
	v_cmp_le_i32_e32 vcc_lo, s25, v1
	s_or_b32 s30, vcc_lo, s28
	s_delay_alu instid0(SALU_CYCLE_1) | instskip(NEXT) | instid1(SALU_CYCLE_1)
	s_and_saveexec_b32 s31, s30
	s_xor_b32 s30, exec_lo, s31
; %bb.13:                               ;   in Loop: Header=BB430_10 Depth=2
	v_dual_mov_b32 v1, v0 :: v_dual_mov_b32 v2, v0
	v_mov_b32_e32 v3, v0
	ds_store_b128 v43, v[0:3]
; %bb.14:                               ;   in Loop: Header=BB430_10 Depth=2
	s_and_not1_saveexec_b32 s30, s30
	s_cbranch_execz .LBB430_9
; %bb.15:                               ;   in Loop: Header=BB430_10 Depth=2
	flat_load_b128 v[2:5], v[32:33]
	s_wait_loadcnt_dscnt 0x0
	ds_store_2addr_b64 v43, v[2:3], v[4:5] offset1:1
	s_branch .LBB430_9
.LBB430_16:                             ;   in Loop: Header=BB430_7 Depth=1
	s_wait_loadcnt 0x0
	v_add_nc_u64_e32 v[24:25], s[4:5], v[24:25]
	s_delay_alu instid0(VALU_DEP_1)
	v_lshl_add_u64 v[30:31], v[10:11], 4, v[24:25]
	s_wait_xcnt 0x0
	s_and_saveexec_b32 s29, s33
	s_cbranch_execz .LBB430_21
; %bb.17:                               ;   in Loop: Header=BB430_7 Depth=1
	v_mul_f64_e32 v[2:3], s[18:19], v[40:41]
	v_mul_f64_e32 v[4:5], s[16:17], v[40:41]
	v_lshl_add_u64 v[32:33], v[8:9], 4, v[30:31]
	s_and_b32 vcc_lo, exec_lo, s22
	s_mov_b32 s30, -1
	s_delay_alu instid0(VALU_DEP_3) | instskip(NEXT) | instid1(VALU_DEP_3)
	v_fma_f64 v[2:3], s[16:17], v[38:39], -v[2:3]
	v_fmac_f64_e32 v[4:5], s[18:19], v[38:39]
	s_cbranch_vccz .LBB430_19
; %bb.18:                               ;   in Loop: Header=BB430_7 Depth=1
	flat_load_b128 v[38:41], v[32:33]
	s_mov_b32 s30, 0
	s_wait_loadcnt_dscnt 0x0
	v_mul_f64_e32 v[46:47], s[12:13], v[40:41]
	v_mul_f64_e32 v[40:41], s[10:11], v[40:41]
	s_delay_alu instid0(VALU_DEP_2) | instskip(NEXT) | instid1(VALU_DEP_2)
	v_fma_f64 v[46:47], s[10:11], v[38:39], -v[46:47]
	v_fmac_f64_e32 v[40:41], s[12:13], v[38:39]
	s_delay_alu instid0(VALU_DEP_2) | instskip(NEXT) | instid1(VALU_DEP_2)
	v_add_f64_e32 v[38:39], v[2:3], v[46:47]
	v_add_f64_e32 v[40:41], v[4:5], v[40:41]
	flat_store_b128 v[32:33], v[38:41]
.LBB430_19:                             ;   in Loop: Header=BB430_7 Depth=1
	s_and_not1_b32 vcc_lo, exec_lo, s30
	s_cbranch_vccnz .LBB430_21
; %bb.20:                               ;   in Loop: Header=BB430_7 Depth=1
	flat_store_b128 v[32:33], v[2:5]
.LBB430_21:                             ;   in Loop: Header=BB430_7 Depth=1
	s_wait_xcnt 0x0
	s_or_b32 exec_lo, exec_lo, s29
	s_and_saveexec_b32 s29, s1
	s_cbranch_execz .LBB430_26
; %bb.22:                               ;   in Loop: Header=BB430_7 Depth=1
	v_mul_f64_e32 v[2:3], s[18:19], v[36:37]
	v_mul_f64_e32 v[4:5], s[16:17], v[36:37]
	v_lshl_add_u64 v[30:31], v[14:15], 4, v[30:31]
	s_and_not1_b32 vcc_lo, exec_lo, s22
	s_mov_b32 s30, -1
	s_delay_alu instid0(VALU_DEP_3) | instskip(NEXT) | instid1(VALU_DEP_3)
	v_fma_f64 v[2:3], s[16:17], v[34:35], -v[2:3]
	v_fmac_f64_e32 v[4:5], s[18:19], v[34:35]
	s_cbranch_vccnz .LBB430_24
; %bb.23:                               ;   in Loop: Header=BB430_7 Depth=1
	flat_load_b128 v[32:35], v[30:31]
	s_mov_b32 s30, 0
	s_wait_loadcnt_dscnt 0x0
	v_mul_f64_e32 v[36:37], s[12:13], v[34:35]
	v_mul_f64_e32 v[34:35], s[10:11], v[34:35]
	s_delay_alu instid0(VALU_DEP_2) | instskip(NEXT) | instid1(VALU_DEP_2)
	v_fma_f64 v[36:37], s[10:11], v[32:33], -v[36:37]
	v_fmac_f64_e32 v[34:35], s[12:13], v[32:33]
	s_delay_alu instid0(VALU_DEP_2) | instskip(NEXT) | instid1(VALU_DEP_2)
	v_add_f64_e32 v[32:33], v[2:3], v[36:37]
	v_add_f64_e32 v[34:35], v[4:5], v[34:35]
	flat_store_b128 v[30:31], v[32:35]
.LBB430_24:                             ;   in Loop: Header=BB430_7 Depth=1
	s_and_not1_b32 vcc_lo, exec_lo, s30
	s_cbranch_vccnz .LBB430_26
; %bb.25:                               ;   in Loop: Header=BB430_7 Depth=1
	flat_store_b128 v[30:31], v[2:5]
.LBB430_26:                             ;   in Loop: Header=BB430_7 Depth=1
	s_wait_xcnt 0x0
	s_or_b32 exec_lo, exec_lo, s29
	v_lshl_add_u64 v[24:25], v[12:13], 4, v[24:25]
	s_and_saveexec_b32 s29, s8
	s_cbranch_execz .LBB430_31
; %bb.27:                               ;   in Loop: Header=BB430_7 Depth=1
	v_mul_f64_e32 v[2:3], s[18:19], v[28:29]
	v_mul_f64_e32 v[4:5], s[16:17], v[28:29]
	s_and_not1_b32 vcc_lo, exec_lo, s22
	s_mov_b32 s30, -1
	s_delay_alu instid0(VALU_DEP_2) | instskip(NEXT) | instid1(VALU_DEP_2)
	v_fma_f64 v[2:3], s[16:17], v[26:27], -v[2:3]
	v_fmac_f64_e32 v[4:5], s[18:19], v[26:27]
	v_lshl_add_u64 v[26:27], v[8:9], 4, v[24:25]
	s_cbranch_vccnz .LBB430_29
; %bb.28:                               ;   in Loop: Header=BB430_7 Depth=1
	flat_load_b128 v[28:31], v[26:27]
	s_mov_b32 s30, 0
	s_wait_loadcnt_dscnt 0x0
	v_mul_f64_e32 v[32:33], s[12:13], v[30:31]
	v_mul_f64_e32 v[30:31], s[10:11], v[30:31]
	s_delay_alu instid0(VALU_DEP_2) | instskip(NEXT) | instid1(VALU_DEP_2)
	v_fma_f64 v[32:33], s[10:11], v[28:29], -v[32:33]
	v_fmac_f64_e32 v[30:31], s[12:13], v[28:29]
	s_delay_alu instid0(VALU_DEP_2) | instskip(NEXT) | instid1(VALU_DEP_2)
	v_add_f64_e32 v[28:29], v[2:3], v[32:33]
	v_add_f64_e32 v[30:31], v[4:5], v[30:31]
	flat_store_b128 v[26:27], v[28:31]
.LBB430_29:                             ;   in Loop: Header=BB430_7 Depth=1
	s_and_not1_b32 vcc_lo, exec_lo, s30
	s_cbranch_vccnz .LBB430_31
; %bb.30:                               ;   in Loop: Header=BB430_7 Depth=1
	flat_store_b128 v[26:27], v[2:5]
.LBB430_31:                             ;   in Loop: Header=BB430_7 Depth=1
	s_wait_xcnt 0x0
	s_or_b32 exec_lo, exec_lo, s29
	s_and_saveexec_b32 s29, s9
	s_cbranch_execz .LBB430_6
; %bb.32:                               ;   in Loop: Header=BB430_7 Depth=1
	s_delay_alu instid0(VALU_DEP_4) | instskip(SKIP_3) | instid1(VALU_DEP_2)
	v_mul_f64_e32 v[2:3], s[18:19], v[22:23]
	v_mul_f64_e32 v[4:5], s[16:17], v[22:23]
	s_and_not1_b32 vcc_lo, exec_lo, s22
	s_mov_b32 s30, -1
	v_fma_f64 v[2:3], s[16:17], v[20:21], -v[2:3]
	s_delay_alu instid0(VALU_DEP_2)
	v_fmac_f64_e32 v[4:5], s[18:19], v[20:21]
	v_lshl_add_u64 v[20:21], v[14:15], 4, v[24:25]
	s_cbranch_vccnz .LBB430_34
; %bb.33:                               ;   in Loop: Header=BB430_7 Depth=1
	flat_load_b128 v[22:25], v[20:21]
	s_mov_b32 s30, 0
	s_wait_loadcnt_dscnt 0x0
	v_mul_f64_e32 v[26:27], s[12:13], v[24:25]
	v_mul_f64_e32 v[24:25], s[10:11], v[24:25]
	s_delay_alu instid0(VALU_DEP_2) | instskip(NEXT) | instid1(VALU_DEP_2)
	v_fma_f64 v[26:27], s[10:11], v[22:23], -v[26:27]
	v_fmac_f64_e32 v[24:25], s[12:13], v[22:23]
	s_delay_alu instid0(VALU_DEP_2) | instskip(NEXT) | instid1(VALU_DEP_2)
	v_add_f64_e32 v[22:23], v[2:3], v[26:27]
	v_add_f64_e32 v[24:25], v[4:5], v[24:25]
	flat_store_b128 v[20:21], v[22:25]
.LBB430_34:                             ;   in Loop: Header=BB430_7 Depth=1
	s_and_not1_b32 vcc_lo, exec_lo, s30
	s_cbranch_vccnz .LBB430_6
; %bb.35:                               ;   in Loop: Header=BB430_7 Depth=1
	flat_store_b128 v[20:21], v[2:5]
	s_branch .LBB430_6
.LBB430_36:
.LBB430_37:
	s_sendmsg sendmsg(MSG_DEALLOC_VGPRS)
	s_endpgm
	.section	.rodata,"a",@progbits
	.p2align	6, 0x0
	.amdhsa_kernel _ZL29rocblas_internal_gemmt_kernelIiLi16ELi32ELi8ELc67ELc84ELc76ELb1ELb0E19rocblas_complex_numIdES1_PKPKS1_PKPS1_EviT_T9_T10_S9_lSB_S9_lSA_T11_S9_li
		.amdhsa_group_segment_fixed_size 8192
		.amdhsa_private_segment_fixed_size 0
		.amdhsa_kernarg_size 116
		.amdhsa_user_sgpr_count 2
		.amdhsa_user_sgpr_dispatch_ptr 0
		.amdhsa_user_sgpr_queue_ptr 0
		.amdhsa_user_sgpr_kernarg_segment_ptr 1
		.amdhsa_user_sgpr_dispatch_id 0
		.amdhsa_user_sgpr_kernarg_preload_length 0
		.amdhsa_user_sgpr_kernarg_preload_offset 0
		.amdhsa_user_sgpr_private_segment_size 0
		.amdhsa_wavefront_size32 1
		.amdhsa_uses_dynamic_stack 0
		.amdhsa_enable_private_segment 0
		.amdhsa_system_sgpr_workgroup_id_x 1
		.amdhsa_system_sgpr_workgroup_id_y 1
		.amdhsa_system_sgpr_workgroup_id_z 1
		.amdhsa_system_sgpr_workgroup_info 0
		.amdhsa_system_vgpr_workitem_id 1
		.amdhsa_next_free_vgpr 132
		.amdhsa_next_free_sgpr 41
		.amdhsa_named_barrier_count 0
		.amdhsa_reserve_vcc 1
		.amdhsa_float_round_mode_32 0
		.amdhsa_float_round_mode_16_64 0
		.amdhsa_float_denorm_mode_32 3
		.amdhsa_float_denorm_mode_16_64 3
		.amdhsa_fp16_overflow 0
		.amdhsa_memory_ordered 1
		.amdhsa_forward_progress 1
		.amdhsa_inst_pref_size 24
		.amdhsa_round_robin_scheduling 0
		.amdhsa_exception_fp_ieee_invalid_op 0
		.amdhsa_exception_fp_denorm_src 0
		.amdhsa_exception_fp_ieee_div_zero 0
		.amdhsa_exception_fp_ieee_overflow 0
		.amdhsa_exception_fp_ieee_underflow 0
		.amdhsa_exception_fp_ieee_inexact 0
		.amdhsa_exception_int_div_zero 0
	.end_amdhsa_kernel
	.section	.text._ZL29rocblas_internal_gemmt_kernelIiLi16ELi32ELi8ELc67ELc84ELc76ELb1ELb0E19rocblas_complex_numIdES1_PKPKS1_PKPS1_EviT_T9_T10_S9_lSB_S9_lSA_T11_S9_li,"axG",@progbits,_ZL29rocblas_internal_gemmt_kernelIiLi16ELi32ELi8ELc67ELc84ELc76ELb1ELb0E19rocblas_complex_numIdES1_PKPKS1_PKPS1_EviT_T9_T10_S9_lSB_S9_lSA_T11_S9_li,comdat
.Lfunc_end430:
	.size	_ZL29rocblas_internal_gemmt_kernelIiLi16ELi32ELi8ELc67ELc84ELc76ELb1ELb0E19rocblas_complex_numIdES1_PKPKS1_PKPS1_EviT_T9_T10_S9_lSB_S9_lSA_T11_S9_li, .Lfunc_end430-_ZL29rocblas_internal_gemmt_kernelIiLi16ELi32ELi8ELc67ELc84ELc76ELb1ELb0E19rocblas_complex_numIdES1_PKPKS1_PKPS1_EviT_T9_T10_S9_lSB_S9_lSA_T11_S9_li
                                        ; -- End function
	.set _ZL29rocblas_internal_gemmt_kernelIiLi16ELi32ELi8ELc67ELc84ELc76ELb1ELb0E19rocblas_complex_numIdES1_PKPKS1_PKPS1_EviT_T9_T10_S9_lSB_S9_lSA_T11_S9_li.num_vgpr, 132
	.set _ZL29rocblas_internal_gemmt_kernelIiLi16ELi32ELi8ELc67ELc84ELc76ELb1ELb0E19rocblas_complex_numIdES1_PKPKS1_PKPS1_EviT_T9_T10_S9_lSB_S9_lSA_T11_S9_li.num_agpr, 0
	.set _ZL29rocblas_internal_gemmt_kernelIiLi16ELi32ELi8ELc67ELc84ELc76ELb1ELb0E19rocblas_complex_numIdES1_PKPKS1_PKPS1_EviT_T9_T10_S9_lSB_S9_lSA_T11_S9_li.numbered_sgpr, 41
	.set _ZL29rocblas_internal_gemmt_kernelIiLi16ELi32ELi8ELc67ELc84ELc76ELb1ELb0E19rocblas_complex_numIdES1_PKPKS1_PKPS1_EviT_T9_T10_S9_lSB_S9_lSA_T11_S9_li.num_named_barrier, 0
	.set _ZL29rocblas_internal_gemmt_kernelIiLi16ELi32ELi8ELc67ELc84ELc76ELb1ELb0E19rocblas_complex_numIdES1_PKPKS1_PKPS1_EviT_T9_T10_S9_lSB_S9_lSA_T11_S9_li.private_seg_size, 0
	.set _ZL29rocblas_internal_gemmt_kernelIiLi16ELi32ELi8ELc67ELc84ELc76ELb1ELb0E19rocblas_complex_numIdES1_PKPKS1_PKPS1_EviT_T9_T10_S9_lSB_S9_lSA_T11_S9_li.uses_vcc, 1
	.set _ZL29rocblas_internal_gemmt_kernelIiLi16ELi32ELi8ELc67ELc84ELc76ELb1ELb0E19rocblas_complex_numIdES1_PKPKS1_PKPS1_EviT_T9_T10_S9_lSB_S9_lSA_T11_S9_li.uses_flat_scratch, 0
	.set _ZL29rocblas_internal_gemmt_kernelIiLi16ELi32ELi8ELc67ELc84ELc76ELb1ELb0E19rocblas_complex_numIdES1_PKPKS1_PKPS1_EviT_T9_T10_S9_lSB_S9_lSA_T11_S9_li.has_dyn_sized_stack, 0
	.set _ZL29rocblas_internal_gemmt_kernelIiLi16ELi32ELi8ELc67ELc84ELc76ELb1ELb0E19rocblas_complex_numIdES1_PKPKS1_PKPS1_EviT_T9_T10_S9_lSB_S9_lSA_T11_S9_li.has_recursion, 0
	.set _ZL29rocblas_internal_gemmt_kernelIiLi16ELi32ELi8ELc67ELc84ELc76ELb1ELb0E19rocblas_complex_numIdES1_PKPKS1_PKPS1_EviT_T9_T10_S9_lSB_S9_lSA_T11_S9_li.has_indirect_call, 0
	.section	.AMDGPU.csdata,"",@progbits
; Kernel info:
; codeLenInByte = 2972
; TotalNumSgprs: 43
; NumVgprs: 132
; ScratchSize: 0
; MemoryBound: 1
; FloatMode: 240
; IeeeMode: 1
; LDSByteSize: 8192 bytes/workgroup (compile time only)
; SGPRBlocks: 0
; VGPRBlocks: 8
; NumSGPRsForWavesPerEU: 43
; NumVGPRsForWavesPerEU: 132
; NamedBarCnt: 0
; Occupancy: 7
; WaveLimiterHint : 1
; COMPUTE_PGM_RSRC2:SCRATCH_EN: 0
; COMPUTE_PGM_RSRC2:USER_SGPR: 2
; COMPUTE_PGM_RSRC2:TRAP_HANDLER: 0
; COMPUTE_PGM_RSRC2:TGID_X_EN: 1
; COMPUTE_PGM_RSRC2:TGID_Y_EN: 1
; COMPUTE_PGM_RSRC2:TGID_Z_EN: 1
; COMPUTE_PGM_RSRC2:TIDIG_COMP_CNT: 1
	.section	.text._ZL29rocblas_internal_gemmt_kernelIiLi16ELi32ELi8ELc67ELc67ELc76ELb1ELb1E19rocblas_complex_numIdES1_PKPKS1_PKPS1_EviT_T9_T10_S9_lSB_S9_lSA_T11_S9_li,"axG",@progbits,_ZL29rocblas_internal_gemmt_kernelIiLi16ELi32ELi8ELc67ELc67ELc76ELb1ELb1E19rocblas_complex_numIdES1_PKPKS1_PKPS1_EviT_T9_T10_S9_lSB_S9_lSA_T11_S9_li,comdat
	.globl	_ZL29rocblas_internal_gemmt_kernelIiLi16ELi32ELi8ELc67ELc67ELc76ELb1ELb1E19rocblas_complex_numIdES1_PKPKS1_PKPS1_EviT_T9_T10_S9_lSB_S9_lSA_T11_S9_li ; -- Begin function _ZL29rocblas_internal_gemmt_kernelIiLi16ELi32ELi8ELc67ELc67ELc76ELb1ELb1E19rocblas_complex_numIdES1_PKPKS1_PKPS1_EviT_T9_T10_S9_lSB_S9_lSA_T11_S9_li
	.p2align	8
	.type	_ZL29rocblas_internal_gemmt_kernelIiLi16ELi32ELi8ELc67ELc67ELc76ELb1ELb1E19rocblas_complex_numIdES1_PKPKS1_PKPS1_EviT_T9_T10_S9_lSB_S9_lSA_T11_S9_li,@function
_ZL29rocblas_internal_gemmt_kernelIiLi16ELi32ELi8ELc67ELc67ELc76ELb1ELb1E19rocblas_complex_numIdES1_PKPKS1_PKPS1_EviT_T9_T10_S9_lSB_S9_lSA_T11_S9_li: ; @_ZL29rocblas_internal_gemmt_kernelIiLi16ELi32ELi8ELc67ELc67ELc76ELb1ELb1E19rocblas_complex_numIdES1_PKPKS1_PKPS1_EviT_T9_T10_S9_lSB_S9_lSA_T11_S9_li
; %bb.0:
	s_clause 0x2
	s_load_b256 s[4:11], s[0:1], 0x40
	s_load_b64 s[24:25], s[0:1], 0x0
	s_load_b128 s[12:15], s[0:1], 0x8
	s_wait_kmcnt 0x0
	v_cmp_eq_f64_e64 s2, s[6:7], 1.0
	v_cmp_eq_f64_e64 s33, s[8:9], 0
	s_and_b32 s2, s2, s33
	s_delay_alu instid0(SALU_CYCLE_1)
	s_and_not1_b32 vcc_lo, exec_lo, s2
	s_mov_b32 s2, -1
	s_cbranch_vccnz .LBB431_3
; %bb.1:
	s_cmp_lg_u32 s25, 0
	s_cbranch_scc0 .LBB431_34
; %bb.2:
	v_cmp_neq_f64_e64 s2, s[12:13], 0
	v_cmp_neq_f64_e64 s3, s[14:15], 0
	s_or_b32 s2, s2, s3
.LBB431_3:
	s_delay_alu instid0(SALU_CYCLE_1)
	s_and_b32 vcc_lo, exec_lo, s2
	s_cbranch_vccz .LBB431_35
; %bb.4:
	s_load_b32 s23, s[0:1], 0x70
	s_bfe_u32 s2, ttmp6, 0x40014
	s_lshr_b32 s3, ttmp7, 16
	s_add_co_i32 s2, s2, 1
	s_bfe_u32 s16, ttmp6, 0x40008
	s_mul_i32 s2, s3, s2
	s_getreg_b32 s34, hwreg(HW_REG_IB_STS2, 6, 4)
	s_add_co_i32 s16, s16, s2
	s_cmp_eq_u32 s34, 0
	s_mov_b32 s27, 0
	s_cselect_b32 s26, s3, s16
	s_wait_kmcnt 0x0
	s_cmp_ge_u32 s26, s23
	s_cbranch_scc1 .LBB431_35
; %bb.5:
	s_clause 0x2
	s_load_b96 s[20:22], s[0:1], 0x18
	s_load_b32 s28, s[0:1], 0x38
	s_load_b32 s2, s[0:1], 0x60
	v_and_b32_e32 v10, 0x3ff, v0
	v_bfe_u32 v13, v0, 10, 10
	s_clause 0x1
	s_load_b128 s[16:19], s[0:1], 0x28
	s_load_b64 s[30:31], s[0:1], 0x68
	s_wait_xcnt 0x0
	s_bfe_u32 s1, ttmp6, 0x4000c
	s_bfe_u32 s3, ttmp6, 0x40010
	s_and_b32 s35, ttmp7, 0xffff
	s_add_co_i32 s1, s1, 1
	s_add_co_i32 s3, s3, 1
	v_lshl_add_u32 v4, v13, 4, v10
	s_and_b32 s0, ttmp6, 15
	s_mul_i32 s38, ttmp9, s1
	s_mul_i32 s39, s35, s3
	s_bfe_u32 s40, ttmp6, 0x40004
	s_add_co_i32 s0, s0, s38
	s_add_co_i32 s40, s40, s39
	v_dual_mov_b32 v11, 0 :: v_dual_bitop2_b32 v5, 31, v4 bitop3:0x40
	s_wait_kmcnt 0x0
	s_ashr_i32 s1, s22, 31
	s_ashr_i32 s29, s28, 31
	;; [unrolled: 1-line block ×3, first 2 shown]
	s_cmp_eq_u32 s34, 0
	v_cmp_neq_f64_e64 s36, s[12:13], 0
	s_cselect_b32 s0, ttmp9, s0
	s_cselect_b32 s34, s35, s40
	s_lshl_b32 s35, s0, 5
	v_cmp_neq_f64_e64 s37, s[14:15], 0
	v_dual_lshrrev_b32 v12, 3, v4 :: v_dual_bitop2_b32 v2, s35, v5 bitop3:0x54
	v_dual_mov_b32 v9, v11 :: v_dual_bitop2_b32 v8, 7, v0 bitop3:0x40
	s_delay_alu instid0(VALU_DEP_2) | instskip(SKIP_2) | instid1(VALU_DEP_2)
	v_dual_lshrrev_b32 v46, 5, v4 :: v_dual_ashrrev_i32 v3, 31, v2
	s_mov_b32 s0, s22
	s_lshl_b32 s34, s34, 5
	v_mul_u64_e32 v[6:7], s[28:29], v[8:9]
	v_dual_add_nc_u32 v4, s34, v12 :: v_dual_add_nc_u32 v20, s34, v13
	v_mul_u64_e32 v[0:1], s[0:1], v[2:3]
	v_cmp_neq_f64_e64 s22, s[6:7], 0
	v_dual_lshlrev_b32 v3, 4, v8 :: v_dual_lshlrev_b32 v5, 4, v5
	v_cmp_gt_i32_e64 s0, s24, v2
	v_dual_add_nc_u32 v2, 16, v20 :: v_dual_ashrrev_i32 v21, 31, v20
	s_delay_alu instid0(VALU_DEP_3) | instskip(NEXT) | instid1(VALU_DEP_4)
	v_lshl_or_b32 v12, v12, 7, v3
	v_lshl_or_b32 v9, v46, 9, v5
	s_delay_alu instid0(VALU_DEP_3) | instskip(NEXT) | instid1(VALU_DEP_4)
	v_dual_ashrrev_i32 v5, 31, v4 :: v_dual_ashrrev_i32 v3, 31, v2
	v_mul_u64_e32 v[14:15], s[2:3], v[20:21]
	s_delay_alu instid0(VALU_DEP_4) | instskip(SKIP_1) | instid1(VALU_DEP_4)
	v_add_nc_u32_e32 v47, 0x1000, v12
	v_dual_add_nc_u32 v12, s35, v10 :: v_dual_lshlrev_b32 v48, 4, v10
	v_mul_u64_e32 v[16:17], s[2:3], v[2:3]
	v_lshlrev_b32_e32 v10, 4, v46
	v_cmp_gt_i32_e64 s1, s24, v4
	s_delay_alu instid0(VALU_DEP_4)
	v_cmp_le_i32_e32 vcc_lo, v20, v12
	v_cmp_gt_i32_e64 s2, s24, v12
	s_or_b32 s36, s36, s37
	s_cmp_gt_i32 s25, 0
	v_add_nc_u32_e32 v18, 16, v12
	s_cselect_b32 s34, -1, 0
	s_lshl_b64 s[16:17], s[16:17], 4
	s_lshl_b64 s[4:5], s[4:5], 4
	s_xor_b32 s3, s33, -1
	s_and_b32 s33, vcc_lo, s2
	v_cmp_le_i32_e32 vcc_lo, v20, v18
	v_lshl_add_u64 v[6:7], v[6:7], 4, s[4:5]
	v_cmp_le_i32_e64 s4, v2, v12
	v_lshl_add_u32 v49, v13, 7, 0x1000
	v_lshl_add_u64 v[0:1], v[0:1], 4, s[16:17]
	s_or_b32 s22, s22, s3
	v_cmp_gt_i32_e64 s3, s24, v18
	v_lshl_add_u64 v[22:23], v[4:5], 4, v[6:7]
	v_dual_ashrrev_i32 v13, 31, v12 :: v_dual_ashrrev_i32 v19, 31, v18
	v_add_nc_u64_e32 v[20:21], v[0:1], v[10:11]
	s_and_b32 s16, vcc_lo, s3
	v_cmp_le_i32_e32 vcc_lo, v2, v18
	v_or_b32_e32 v22, 8, v22
	s_and_b32 s17, s4, s2
	s_and_b32 s24, s36, s34
	s_lshl_b64 s[4:5], s[30:31], 4
	v_or_b32_e32 v20, 8, v20
	s_and_b32 s34, vcc_lo, s3
	s_lshl_b64 s[2:3], s[28:29], 7
	s_branch .LBB431_7
.LBB431_6:                              ;   in Loop: Header=BB431_7 Depth=1
	s_wait_xcnt 0x0
	s_or_b32 exec_lo, exec_lo, s28
	s_add_co_i32 s26, s26, 0x10000
	s_delay_alu instid0(SALU_CYCLE_1)
	s_cmp_lt_u32 s26, s23
	s_cbranch_scc0 .LBB431_35
.LBB431_7:                              ; =>This Loop Header: Depth=1
                                        ;     Child Loop BB431_10 Depth 2
	v_mov_b32_e32 v0, s26
	v_mov_b64_e32 v[42:43], 0
	v_mov_b64_e32 v[44:45], 0
	;; [unrolled: 1-line block ×4, first 2 shown]
	global_load_b64 v[28:29], v0, s[10:11] scale_offset
	v_mov_b64_e32 v[30:31], 0
	v_mov_b64_e32 v[32:33], 0
	;; [unrolled: 1-line block ×4, first 2 shown]
	s_and_not1_b32 vcc_lo, exec_lo, s24
	s_cbranch_vccnz .LBB431_14
; %bb.8:                                ;   in Loop: Header=BB431_7 Depth=1
	s_lshl_b64 s[28:29], s[26:27], 3
	v_mov_b64_e32 v[26:27], 0
	s_add_nc_u64 s[30:31], s[20:21], s[28:29]
	s_add_nc_u64 s[28:29], s[18:19], s[28:29]
	s_clause 0x1
	global_load_b64 v[0:1], v11, s[30:31]
	global_load_b64 v[2:3], v11, s[28:29]
	v_mov_b64_e32 v[24:25], 0
	v_mov_b64_e32 v[32:33], 0
	;; [unrolled: 1-line block ×7, first 2 shown]
	s_wait_xcnt 0x0
	s_mov_b32 s28, 0
	s_wait_loadcnt 0x1
	v_add_nc_u64_e32 v[34:35], v[0:1], v[20:21]
	s_wait_loadcnt 0x0
	v_add_nc_u64_e32 v[36:37], v[2:3], v[22:23]
	s_branch .LBB431_10
.LBB431_9:                              ;   in Loop: Header=BB431_10 Depth=2
	s_wait_xcnt 0x0
	s_or_b32 exec_lo, exec_lo, s29
	ds_store_b128 v47, v[4:7]
	s_wait_dscnt 0x0
	s_barrier_signal -1
	s_barrier_wait -1
	ds_load_b128 v[0:3], v49
	ds_load_b128 v[4:7], v48
	ds_load_b128 v[50:53], v48 offset:256
	ds_load_b128 v[54:57], v49 offset:2048
	;; [unrolled: 1-line block ×10, first 2 shown]
	v_add_nc_u64_e32 v[34:35], 0x80, v[34:35]
	v_add_nc_u64_e32 v[36:37], s[2:3], v[36:37]
	s_add_co_i32 s28, s28, 8
	s_delay_alu instid0(SALU_CYCLE_1)
	s_cmp_lt_i32 s28, s25
	s_wait_dscnt 0xa
	v_mul_f64_e32 v[90:91], v[2:3], v[6:7]
	v_mul_f64_e32 v[92:93], v[0:1], v[6:7]
	s_wait_dscnt 0x9
	v_mul_f64_e32 v[94:95], v[2:3], v[52:53]
	v_mul_f64_e32 v[96:97], v[0:1], v[52:53]
	s_wait_dscnt 0x8
	v_mul_f64_e32 v[98:99], v[56:57], v[6:7]
	v_mul_f64_e32 v[100:101], v[54:55], v[6:7]
	v_mul_f64_e32 v[6:7], v[56:57], v[52:53]
	v_mul_f64_e32 v[102:103], v[54:55], v[52:53]
	s_wait_dscnt 0x6
	v_mul_f64_e32 v[104:105], v[60:61], v[64:65]
	v_mul_f64_e32 v[106:107], v[58:59], v[64:65]
	s_wait_dscnt 0x5
	v_mul_f64_e32 v[108:109], v[60:61], v[68:69]
	v_mul_f64_e32 v[110:111], v[58:59], v[68:69]
	s_wait_dscnt 0x4
	v_mul_f64_e32 v[112:113], v[72:73], v[64:65]
	v_mul_f64_e32 v[64:65], v[70:71], v[64:65]
	v_mul_f64_e32 v[114:115], v[72:73], v[68:69]
	v_mul_f64_e32 v[68:69], v[70:71], v[68:69]
	;; [unrolled: 11-line block ×3, first 2 shown]
	v_fma_f64 v[90:91], v[0:1], v[4:5], -v[90:91]
	v_fmac_f64_e32 v[92:93], v[2:3], v[4:5]
	v_fma_f64 v[94:95], v[0:1], v[50:51], -v[94:95]
	v_fmac_f64_e32 v[96:97], v[2:3], v[50:51]
	;; [unrolled: 2-line block ×8, first 2 shown]
	ds_load_b128 v[0:3], v49 offset:48
	ds_load_b128 v[4:7], v49 offset:2096
	;; [unrolled: 1-line block ×4, first 2 shown]
	v_fma_f64 v[118:119], v[74:75], v[78:79], -v[118:119]
	v_fmac_f64_e32 v[120:121], v[76:77], v[78:79]
	v_fma_f64 v[74:75], v[74:75], v[82:83], -v[122:123]
	v_fmac_f64_e32 v[124:125], v[76:77], v[82:83]
	;; [unrolled: 2-line block ×4, first 2 shown]
	v_add_f64_e32 v[66:67], v[42:43], v[90:91]
	v_add_f64_e32 v[70:71], v[92:93], v[44:45]
	;; [unrolled: 1-line block ×8, first 2 shown]
	s_wait_dscnt 0x1
	v_mul_f64_e32 v[100:101], v[2:3], v[52:53]
	v_mul_f64_e32 v[102:103], v[0:1], v[52:53]
	s_wait_dscnt 0x0
	v_mul_f64_e32 v[108:109], v[2:3], v[56:57]
	v_mul_f64_e32 v[112:113], v[0:1], v[56:57]
	;; [unrolled: 1-line block ×6, first 2 shown]
	ds_load_b128 v[24:27], v49 offset:64
	ds_load_b128 v[30:33], v48 offset:2048
	;; [unrolled: 1-line block ×4, first 2 shown]
	v_add_f64_e32 v[82:83], v[66:67], v[104:105]
	v_add_f64_e32 v[86:87], v[106:107], v[70:71]
	;; [unrolled: 1-line block ×8, first 2 shown]
	s_wait_dscnt 0x2
	v_mul_f64_e32 v[98:99], v[26:27], v[32:33]
	v_mul_f64_e32 v[104:105], v[24:25], v[32:33]
	s_wait_dscnt 0x1
	v_mul_f64_e32 v[106:107], v[26:27], v[40:41]
	v_mul_f64_e32 v[110:111], v[24:25], v[40:41]
	;; [unrolled: 3-line block ×3, first 2 shown]
	v_mul_f64_e32 v[32:33], v[44:45], v[40:41]
	v_mul_f64_e32 v[128:129], v[42:43], v[40:41]
	v_fma_f64 v[40:41], v[0:1], v[50:51], -v[100:101]
	v_fmac_f64_e32 v[102:103], v[2:3], v[50:51]
	v_fma_f64 v[100:101], v[0:1], v[54:55], -v[108:109]
	v_fmac_f64_e32 v[112:113], v[2:3], v[54:55]
	v_fma_f64 v[108:109], v[4:5], v[50:51], -v[114:115]
	v_fmac_f64_e32 v[116:117], v[6:7], v[50:51]
	v_fma_f64 v[114:115], v[4:5], v[54:55], -v[52:53]
	v_fmac_f64_e32 v[130:131], v[6:7], v[54:55]
	ds_load_b128 v[56:59], v49 offset:80
	ds_load_b128 v[60:63], v49 offset:2128
	;; [unrolled: 1-line block ×4, first 2 shown]
	v_add_f64_e32 v[54:55], v[82:83], v[118:119]
	v_add_f64_e32 v[82:83], v[120:121], v[86:87]
	;; [unrolled: 1-line block ×8, first 2 shown]
	v_fma_f64 v[98:99], v[24:25], v[30:31], -v[98:99]
	v_fmac_f64_e32 v[104:105], v[26:27], v[30:31]
	v_fma_f64 v[106:107], v[24:25], v[38:39], -v[106:107]
	s_wait_dscnt 0x1
	v_mul_f64_e32 v[90:91], v[58:59], v[66:67]
	v_mul_f64_e32 v[92:93], v[56:57], v[66:67]
	s_wait_dscnt 0x0
	v_mul_f64_e32 v[94:95], v[58:59], v[70:71]
	v_mul_f64_e32 v[96:97], v[56:57], v[70:71]
	v_mul_f64_e32 v[118:119], v[62:63], v[66:67]
	v_mul_f64_e32 v[66:67], v[60:61], v[66:67]
	v_mul_f64_e32 v[120:121], v[62:63], v[70:71]
	v_mul_f64_e32 v[70:71], v[60:61], v[70:71]
	v_fmac_f64_e32 v[110:111], v[26:27], v[38:39]
	v_fma_f64 v[122:123], v[42:43], v[30:31], -v[122:123]
	v_fmac_f64_e32 v[126:127], v[44:45], v[30:31]
	v_fma_f64 v[124:125], v[42:43], v[38:39], -v[32:33]
	v_fmac_f64_e32 v[128:129], v[44:45], v[38:39]
	ds_load_b128 v[0:3], v49 offset:96
	ds_load_b128 v[4:7], v48 offset:3072
	;; [unrolled: 1-line block ×4, first 2 shown]
	v_add_f64_e32 v[54:55], v[54:55], v[40:41]
	v_add_f64_e32 v[82:83], v[102:103], v[82:83]
	;; [unrolled: 1-line block ×8, first 2 shown]
	ds_load_b128 v[24:27], v49 offset:112
	ds_load_b128 v[30:33], v49 offset:2160
	;; [unrolled: 1-line block ×4, first 2 shown]
	s_wait_dscnt 0x0
	v_mul_f64_e32 v[100:101], v[2:3], v[6:7]
	v_mul_f64_e32 v[102:103], v[0:1], v[6:7]
	;; [unrolled: 1-line block ×8, first 2 shown]
	v_fma_f64 v[90:91], v[56:57], v[64:65], -v[90:91]
	v_fmac_f64_e32 v[92:93], v[58:59], v[64:65]
	v_fma_f64 v[56:57], v[56:57], v[68:69], -v[94:95]
	v_fmac_f64_e32 v[96:97], v[58:59], v[68:69]
	;; [unrolled: 2-line block ×4, first 2 shown]
	s_barrier_signal -1
	s_barrier_wait -1
	v_mul_f64_e32 v[94:95], v[24:25], v[44:45]
	v_add_f64_e32 v[54:55], v[54:55], v[98:99]
	v_add_f64_e32 v[62:63], v[104:105], v[82:83]
	;; [unrolled: 1-line block ×8, first 2 shown]
	v_mul_f64_e32 v[84:85], v[26:27], v[40:41]
	v_mul_f64_e32 v[86:87], v[24:25], v[40:41]
	;; [unrolled: 1-line block ×7, first 2 shown]
	v_fma_f64 v[44:45], v[0:1], v[4:5], -v[100:101]
	v_fmac_f64_e32 v[102:103], v[2:3], v[4:5]
	v_fma_f64 v[0:1], v[0:1], v[50:51], -v[108:109]
	v_fmac_f64_e32 v[112:113], v[2:3], v[50:51]
	;; [unrolled: 2-line block ×4, first 2 shown]
	v_fmac_f64_e32 v[94:95], v[26:27], v[42:43]
	v_add_f64_e32 v[50:51], v[54:55], v[90:91]
	v_add_f64_e32 v[54:55], v[92:93], v[62:63]
	;; [unrolled: 1-line block ×8, first 2 shown]
	v_fma_f64 v[68:69], v[24:25], v[38:39], -v[84:85]
	v_fmac_f64_e32 v[86:87], v[26:27], v[38:39]
	v_fma_f64 v[24:25], v[24:25], v[42:43], -v[88:89]
	v_fma_f64 v[26:27], v[30:31], v[38:39], -v[98:99]
	v_fmac_f64_e32 v[104:105], v[32:33], v[38:39]
	v_fma_f64 v[70:71], v[30:31], v[42:43], -v[40:41]
	v_fmac_f64_e32 v[106:107], v[32:33], v[42:43]
	v_add_f64_e32 v[30:31], v[50:51], v[44:45]
	v_add_f64_e32 v[32:33], v[102:103], v[54:55]
	;; [unrolled: 1-line block ×16, first 2 shown]
	s_cbranch_scc0 .LBB431_14
.LBB431_10:                             ;   Parent Loop BB431_7 Depth=1
                                        ; =>  This Inner Loop Header: Depth=2
	v_add_nc_u32_e32 v2, s28, v46
	v_mov_b64_e32 v[0:1], 0
	s_delay_alu instid0(VALU_DEP_2) | instskip(SKIP_2) | instid1(SALU_CYCLE_1)
	v_cmp_gt_i32_e32 vcc_lo, s25, v2
	v_mov_b64_e32 v[2:3], 0
	s_and_b32 s30, s0, vcc_lo
	s_and_saveexec_b32 s29, s30
	s_cbranch_execz .LBB431_12
; %bb.11:                               ;   in Loop: Header=BB431_10 Depth=2
	flat_load_b128 v[0:3], v[34:35] offset:-8
	s_wait_loadcnt_dscnt 0x0
	v_xor_b32_e32 v3, 0x80000000, v3
.LBB431_12:                             ;   in Loop: Header=BB431_10 Depth=2
	s_wait_xcnt 0x0
	s_or_b32 exec_lo, exec_lo, s29
	v_add_nc_u32_e32 v6, s28, v8
	v_mov_b64_e32 v[4:5], 0
	ds_store_b128 v9, v[0:3]
	v_cmp_gt_i32_e32 vcc_lo, s25, v6
	v_mov_b64_e32 v[6:7], 0
	s_and_b32 s30, vcc_lo, s1
	s_delay_alu instid0(SALU_CYCLE_1)
	s_and_saveexec_b32 s29, s30
	s_cbranch_execz .LBB431_9
; %bb.13:                               ;   in Loop: Header=BB431_10 Depth=2
	flat_load_b128 v[4:7], v[36:37] offset:-8
	s_wait_loadcnt_dscnt 0x0
	v_xor_b32_e32 v7, 0x80000000, v7
	s_branch .LBB431_9
.LBB431_14:                             ;   in Loop: Header=BB431_7 Depth=1
	s_wait_loadcnt 0x0
	v_add_nc_u64_e32 v[4:5], s[4:5], v[28:29]
	s_delay_alu instid0(VALU_DEP_1)
	v_lshl_add_u64 v[6:7], v[14:15], 4, v[4:5]
	s_wait_xcnt 0x0
	s_and_saveexec_b32 s28, s33
	s_cbranch_execz .LBB431_19
; %bb.15:                               ;   in Loop: Header=BB431_7 Depth=1
	v_mul_f64_e32 v[0:1], s[14:15], v[44:45]
	v_mul_f64_e32 v[2:3], s[12:13], v[44:45]
	v_lshl_add_u64 v[28:29], v[12:13], 4, v[6:7]
	s_and_b32 vcc_lo, exec_lo, s22
	s_mov_b32 s29, -1
	s_delay_alu instid0(VALU_DEP_3) | instskip(NEXT) | instid1(VALU_DEP_3)
	v_fma_f64 v[0:1], s[12:13], v[42:43], -v[0:1]
	v_fmac_f64_e32 v[2:3], s[14:15], v[42:43]
	s_cbranch_vccz .LBB431_17
; %bb.16:                               ;   in Loop: Header=BB431_7 Depth=1
	flat_load_b128 v[34:37], v[28:29]
	s_mov_b32 s29, 0
	s_wait_loadcnt_dscnt 0x0
	v_mul_f64_e32 v[42:43], s[8:9], v[36:37]
	v_mul_f64_e32 v[36:37], s[6:7], v[36:37]
	s_delay_alu instid0(VALU_DEP_2) | instskip(NEXT) | instid1(VALU_DEP_2)
	v_fma_f64 v[42:43], s[6:7], v[34:35], -v[42:43]
	v_fmac_f64_e32 v[36:37], s[8:9], v[34:35]
	s_delay_alu instid0(VALU_DEP_2) | instskip(NEXT) | instid1(VALU_DEP_2)
	v_add_f64_e32 v[34:35], v[0:1], v[42:43]
	v_add_f64_e32 v[36:37], v[2:3], v[36:37]
	flat_store_b128 v[28:29], v[34:37]
.LBB431_17:                             ;   in Loop: Header=BB431_7 Depth=1
	s_and_not1_b32 vcc_lo, exec_lo, s29
	s_cbranch_vccnz .LBB431_19
; %bb.18:                               ;   in Loop: Header=BB431_7 Depth=1
	flat_store_b128 v[28:29], v[0:3]
.LBB431_19:                             ;   in Loop: Header=BB431_7 Depth=1
	s_wait_xcnt 0x0
	s_or_b32 exec_lo, exec_lo, s28
	s_and_saveexec_b32 s28, s16
	s_cbranch_execz .LBB431_24
; %bb.20:                               ;   in Loop: Header=BB431_7 Depth=1
	v_mul_f64_e32 v[0:1], s[14:15], v[40:41]
	v_mul_f64_e32 v[2:3], s[12:13], v[40:41]
	v_lshl_add_u64 v[6:7], v[18:19], 4, v[6:7]
	s_and_not1_b32 vcc_lo, exec_lo, s22
	s_mov_b32 s29, -1
	s_delay_alu instid0(VALU_DEP_3) | instskip(NEXT) | instid1(VALU_DEP_3)
	v_fma_f64 v[0:1], s[12:13], v[38:39], -v[0:1]
	v_fmac_f64_e32 v[2:3], s[14:15], v[38:39]
	s_cbranch_vccnz .LBB431_22
; %bb.21:                               ;   in Loop: Header=BB431_7 Depth=1
	flat_load_b128 v[34:37], v[6:7]
	s_mov_b32 s29, 0
	s_wait_loadcnt_dscnt 0x0
	v_mul_f64_e32 v[28:29], s[8:9], v[36:37]
	v_mul_f64_e32 v[36:37], s[6:7], v[36:37]
	s_delay_alu instid0(VALU_DEP_2) | instskip(NEXT) | instid1(VALU_DEP_2)
	v_fma_f64 v[28:29], s[6:7], v[34:35], -v[28:29]
	v_fmac_f64_e32 v[36:37], s[8:9], v[34:35]
	s_delay_alu instid0(VALU_DEP_2) | instskip(NEXT) | instid1(VALU_DEP_2)
	v_add_f64_e32 v[34:35], v[0:1], v[28:29]
	v_add_f64_e32 v[36:37], v[2:3], v[36:37]
	flat_store_b128 v[6:7], v[34:37]
.LBB431_22:                             ;   in Loop: Header=BB431_7 Depth=1
	s_and_not1_b32 vcc_lo, exec_lo, s29
	s_cbranch_vccnz .LBB431_24
; %bb.23:                               ;   in Loop: Header=BB431_7 Depth=1
	flat_store_b128 v[6:7], v[0:3]
.LBB431_24:                             ;   in Loop: Header=BB431_7 Depth=1
	s_wait_xcnt 0x0
	s_or_b32 exec_lo, exec_lo, s28
	v_lshl_add_u64 v[4:5], v[16:17], 4, v[4:5]
	s_and_saveexec_b32 s28, s17
	s_cbranch_execz .LBB431_29
; %bb.25:                               ;   in Loop: Header=BB431_7 Depth=1
	v_mul_f64_e32 v[0:1], s[14:15], v[32:33]
	v_mul_f64_e32 v[2:3], s[12:13], v[32:33]
	v_lshl_add_u64 v[6:7], v[12:13], 4, v[4:5]
	s_and_not1_b32 vcc_lo, exec_lo, s22
	s_mov_b32 s29, -1
	s_delay_alu instid0(VALU_DEP_3) | instskip(NEXT) | instid1(VALU_DEP_3)
	v_fma_f64 v[0:1], s[12:13], v[30:31], -v[0:1]
	v_fmac_f64_e32 v[2:3], s[14:15], v[30:31]
	s_cbranch_vccnz .LBB431_27
; %bb.26:                               ;   in Loop: Header=BB431_7 Depth=1
	flat_load_b128 v[28:31], v[6:7]
	s_mov_b32 s29, 0
	s_wait_loadcnt_dscnt 0x0
	v_mul_f64_e32 v[32:33], s[8:9], v[30:31]
	v_mul_f64_e32 v[30:31], s[6:7], v[30:31]
	s_delay_alu instid0(VALU_DEP_2) | instskip(NEXT) | instid1(VALU_DEP_2)
	v_fma_f64 v[32:33], s[6:7], v[28:29], -v[32:33]
	v_fmac_f64_e32 v[30:31], s[8:9], v[28:29]
	s_delay_alu instid0(VALU_DEP_2) | instskip(NEXT) | instid1(VALU_DEP_2)
	v_add_f64_e32 v[28:29], v[0:1], v[32:33]
	v_add_f64_e32 v[30:31], v[2:3], v[30:31]
	flat_store_b128 v[6:7], v[28:31]
.LBB431_27:                             ;   in Loop: Header=BB431_7 Depth=1
	s_and_not1_b32 vcc_lo, exec_lo, s29
	s_cbranch_vccnz .LBB431_29
; %bb.28:                               ;   in Loop: Header=BB431_7 Depth=1
	flat_store_b128 v[6:7], v[0:3]
.LBB431_29:                             ;   in Loop: Header=BB431_7 Depth=1
	s_wait_xcnt 0x0
	s_or_b32 exec_lo, exec_lo, s28
	s_and_saveexec_b32 s28, s34
	s_cbranch_execz .LBB431_6
; %bb.30:                               ;   in Loop: Header=BB431_7 Depth=1
	s_delay_alu instid0(VALU_DEP_4) | instskip(SKIP_4) | instid1(VALU_DEP_3)
	v_mul_f64_e32 v[0:1], s[14:15], v[26:27]
	v_mul_f64_e32 v[2:3], s[12:13], v[26:27]
	v_lshl_add_u64 v[4:5], v[18:19], 4, v[4:5]
	s_and_not1_b32 vcc_lo, exec_lo, s22
	s_mov_b32 s29, -1
	v_fma_f64 v[0:1], s[12:13], v[24:25], -v[0:1]
	s_delay_alu instid0(VALU_DEP_3)
	v_fmac_f64_e32 v[2:3], s[14:15], v[24:25]
	s_cbranch_vccnz .LBB431_32
; %bb.31:                               ;   in Loop: Header=BB431_7 Depth=1
	flat_load_b128 v[24:27], v[4:5]
	s_mov_b32 s29, 0
	s_wait_loadcnt_dscnt 0x0
	v_mul_f64_e32 v[6:7], s[8:9], v[26:27]
	v_mul_f64_e32 v[26:27], s[6:7], v[26:27]
	s_delay_alu instid0(VALU_DEP_2) | instskip(NEXT) | instid1(VALU_DEP_2)
	v_fma_f64 v[6:7], s[6:7], v[24:25], -v[6:7]
	v_fmac_f64_e32 v[26:27], s[8:9], v[24:25]
	s_delay_alu instid0(VALU_DEP_2) | instskip(NEXT) | instid1(VALU_DEP_2)
	v_add_f64_e32 v[24:25], v[0:1], v[6:7]
	v_add_f64_e32 v[26:27], v[2:3], v[26:27]
	flat_store_b128 v[4:5], v[24:27]
.LBB431_32:                             ;   in Loop: Header=BB431_7 Depth=1
	s_and_not1_b32 vcc_lo, exec_lo, s29
	s_cbranch_vccnz .LBB431_6
; %bb.33:                               ;   in Loop: Header=BB431_7 Depth=1
	flat_store_b128 v[4:5], v[0:3]
	s_branch .LBB431_6
.LBB431_34:
.LBB431_35:
	s_sendmsg sendmsg(MSG_DEALLOC_VGPRS)
	s_endpgm
	.section	.rodata,"a",@progbits
	.p2align	6, 0x0
	.amdhsa_kernel _ZL29rocblas_internal_gemmt_kernelIiLi16ELi32ELi8ELc67ELc67ELc76ELb1ELb1E19rocblas_complex_numIdES1_PKPKS1_PKPS1_EviT_T9_T10_S9_lSB_S9_lSA_T11_S9_li
		.amdhsa_group_segment_fixed_size 8192
		.amdhsa_private_segment_fixed_size 0
		.amdhsa_kernarg_size 116
		.amdhsa_user_sgpr_count 2
		.amdhsa_user_sgpr_dispatch_ptr 0
		.amdhsa_user_sgpr_queue_ptr 0
		.amdhsa_user_sgpr_kernarg_segment_ptr 1
		.amdhsa_user_sgpr_dispatch_id 0
		.amdhsa_user_sgpr_kernarg_preload_length 0
		.amdhsa_user_sgpr_kernarg_preload_offset 0
		.amdhsa_user_sgpr_private_segment_size 0
		.amdhsa_wavefront_size32 1
		.amdhsa_uses_dynamic_stack 0
		.amdhsa_enable_private_segment 0
		.amdhsa_system_sgpr_workgroup_id_x 1
		.amdhsa_system_sgpr_workgroup_id_y 1
		.amdhsa_system_sgpr_workgroup_id_z 1
		.amdhsa_system_sgpr_workgroup_info 0
		.amdhsa_system_vgpr_workitem_id 1
		.amdhsa_next_free_vgpr 132
		.amdhsa_next_free_sgpr 41
		.amdhsa_named_barrier_count 0
		.amdhsa_reserve_vcc 1
		.amdhsa_float_round_mode_32 0
		.amdhsa_float_round_mode_16_64 0
		.amdhsa_float_denorm_mode_32 3
		.amdhsa_float_denorm_mode_16_64 3
		.amdhsa_fp16_overflow 0
		.amdhsa_memory_ordered 1
		.amdhsa_forward_progress 1
		.amdhsa_inst_pref_size 24
		.amdhsa_round_robin_scheduling 0
		.amdhsa_exception_fp_ieee_invalid_op 0
		.amdhsa_exception_fp_denorm_src 0
		.amdhsa_exception_fp_ieee_div_zero 0
		.amdhsa_exception_fp_ieee_overflow 0
		.amdhsa_exception_fp_ieee_underflow 0
		.amdhsa_exception_fp_ieee_inexact 0
		.amdhsa_exception_int_div_zero 0
	.end_amdhsa_kernel
	.section	.text._ZL29rocblas_internal_gemmt_kernelIiLi16ELi32ELi8ELc67ELc67ELc76ELb1ELb1E19rocblas_complex_numIdES1_PKPKS1_PKPS1_EviT_T9_T10_S9_lSB_S9_lSA_T11_S9_li,"axG",@progbits,_ZL29rocblas_internal_gemmt_kernelIiLi16ELi32ELi8ELc67ELc67ELc76ELb1ELb1E19rocblas_complex_numIdES1_PKPKS1_PKPS1_EviT_T9_T10_S9_lSB_S9_lSA_T11_S9_li,comdat
.Lfunc_end431:
	.size	_ZL29rocblas_internal_gemmt_kernelIiLi16ELi32ELi8ELc67ELc67ELc76ELb1ELb1E19rocblas_complex_numIdES1_PKPKS1_PKPS1_EviT_T9_T10_S9_lSB_S9_lSA_T11_S9_li, .Lfunc_end431-_ZL29rocblas_internal_gemmt_kernelIiLi16ELi32ELi8ELc67ELc67ELc76ELb1ELb1E19rocblas_complex_numIdES1_PKPKS1_PKPS1_EviT_T9_T10_S9_lSB_S9_lSA_T11_S9_li
                                        ; -- End function
	.set _ZL29rocblas_internal_gemmt_kernelIiLi16ELi32ELi8ELc67ELc67ELc76ELb1ELb1E19rocblas_complex_numIdES1_PKPKS1_PKPS1_EviT_T9_T10_S9_lSB_S9_lSA_T11_S9_li.num_vgpr, 132
	.set _ZL29rocblas_internal_gemmt_kernelIiLi16ELi32ELi8ELc67ELc67ELc76ELb1ELb1E19rocblas_complex_numIdES1_PKPKS1_PKPS1_EviT_T9_T10_S9_lSB_S9_lSA_T11_S9_li.num_agpr, 0
	.set _ZL29rocblas_internal_gemmt_kernelIiLi16ELi32ELi8ELc67ELc67ELc76ELb1ELb1E19rocblas_complex_numIdES1_PKPKS1_PKPS1_EviT_T9_T10_S9_lSB_S9_lSA_T11_S9_li.numbered_sgpr, 41
	.set _ZL29rocblas_internal_gemmt_kernelIiLi16ELi32ELi8ELc67ELc67ELc76ELb1ELb1E19rocblas_complex_numIdES1_PKPKS1_PKPS1_EviT_T9_T10_S9_lSB_S9_lSA_T11_S9_li.num_named_barrier, 0
	.set _ZL29rocblas_internal_gemmt_kernelIiLi16ELi32ELi8ELc67ELc67ELc76ELb1ELb1E19rocblas_complex_numIdES1_PKPKS1_PKPS1_EviT_T9_T10_S9_lSB_S9_lSA_T11_S9_li.private_seg_size, 0
	.set _ZL29rocblas_internal_gemmt_kernelIiLi16ELi32ELi8ELc67ELc67ELc76ELb1ELb1E19rocblas_complex_numIdES1_PKPKS1_PKPS1_EviT_T9_T10_S9_lSB_S9_lSA_T11_S9_li.uses_vcc, 1
	.set _ZL29rocblas_internal_gemmt_kernelIiLi16ELi32ELi8ELc67ELc67ELc76ELb1ELb1E19rocblas_complex_numIdES1_PKPKS1_PKPS1_EviT_T9_T10_S9_lSB_S9_lSA_T11_S9_li.uses_flat_scratch, 0
	.set _ZL29rocblas_internal_gemmt_kernelIiLi16ELi32ELi8ELc67ELc67ELc76ELb1ELb1E19rocblas_complex_numIdES1_PKPKS1_PKPS1_EviT_T9_T10_S9_lSB_S9_lSA_T11_S9_li.has_dyn_sized_stack, 0
	.set _ZL29rocblas_internal_gemmt_kernelIiLi16ELi32ELi8ELc67ELc67ELc76ELb1ELb1E19rocblas_complex_numIdES1_PKPKS1_PKPS1_EviT_T9_T10_S9_lSB_S9_lSA_T11_S9_li.has_recursion, 0
	.set _ZL29rocblas_internal_gemmt_kernelIiLi16ELi32ELi8ELc67ELc67ELc76ELb1ELb1E19rocblas_complex_numIdES1_PKPKS1_PKPS1_EviT_T9_T10_S9_lSB_S9_lSA_T11_S9_li.has_indirect_call, 0
	.section	.AMDGPU.csdata,"",@progbits
; Kernel info:
; codeLenInByte = 2956
; TotalNumSgprs: 43
; NumVgprs: 132
; ScratchSize: 0
; MemoryBound: 1
; FloatMode: 240
; IeeeMode: 1
; LDSByteSize: 8192 bytes/workgroup (compile time only)
; SGPRBlocks: 0
; VGPRBlocks: 8
; NumSGPRsForWavesPerEU: 43
; NumVGPRsForWavesPerEU: 132
; NamedBarCnt: 0
; Occupancy: 7
; WaveLimiterHint : 1
; COMPUTE_PGM_RSRC2:SCRATCH_EN: 0
; COMPUTE_PGM_RSRC2:USER_SGPR: 2
; COMPUTE_PGM_RSRC2:TRAP_HANDLER: 0
; COMPUTE_PGM_RSRC2:TGID_X_EN: 1
; COMPUTE_PGM_RSRC2:TGID_Y_EN: 1
; COMPUTE_PGM_RSRC2:TGID_Z_EN: 1
; COMPUTE_PGM_RSRC2:TIDIG_COMP_CNT: 1
	.section	.text._ZL29rocblas_internal_gemmt_kernelIlLi16ELi32ELi8ELc78ELc78ELc85ELb0ELb0EfPKfPKS1_PKPfEviT_T9_T10_S7_lS9_S7_lS8_T11_S7_li,"axG",@progbits,_ZL29rocblas_internal_gemmt_kernelIlLi16ELi32ELi8ELc78ELc78ELc85ELb0ELb0EfPKfPKS1_PKPfEviT_T9_T10_S7_lS9_S7_lS8_T11_S7_li,comdat
	.globl	_ZL29rocblas_internal_gemmt_kernelIlLi16ELi32ELi8ELc78ELc78ELc85ELb0ELb0EfPKfPKS1_PKPfEviT_T9_T10_S7_lS9_S7_lS8_T11_S7_li ; -- Begin function _ZL29rocblas_internal_gemmt_kernelIlLi16ELi32ELi8ELc78ELc78ELc85ELb0ELb0EfPKfPKS1_PKPfEviT_T9_T10_S7_lS9_S7_lS8_T11_S7_li
	.p2align	8
	.type	_ZL29rocblas_internal_gemmt_kernelIlLi16ELi32ELi8ELc78ELc78ELc85ELb0ELb0EfPKfPKS1_PKPfEviT_T9_T10_S7_lS9_S7_lS8_T11_S7_li,@function
_ZL29rocblas_internal_gemmt_kernelIlLi16ELi32ELi8ELc78ELc78ELc85ELb0ELb0EfPKfPKS1_PKPfEviT_T9_T10_S7_lS9_S7_lS8_T11_S7_li: ; @_ZL29rocblas_internal_gemmt_kernelIlLi16ELi32ELi8ELc78ELc78ELc85ELb0ELb0EfPKfPKS1_PKPfEviT_T9_T10_S7_lS9_S7_lS8_T11_S7_li
; %bb.0:
	s_clause 0x1
	s_load_b256 s[24:31], s[0:1], 0x48
	s_load_b512 s[8:23], s[0:1], 0x8
	s_wait_kmcnt 0x0
	s_load_b32 s33, s[24:25], 0x0
	s_load_b32 s34, s[10:11], 0x0
	s_wait_kmcnt 0x0
	s_cmp_neq_f32 s33, 1.0
	s_cselect_b32 s2, -1, 0
	s_delay_alu instid0(SALU_CYCLE_1)
	s_and_b32 vcc_lo, exec_lo, s2
	s_cbranch_vccnz .LBB432_2
; %bb.1:
	s_cmp_lg_u64 s[8:9], 0
	s_cselect_b32 s2, -1, 0
	s_cmp_neq_f32 s34, 0
	s_cselect_b32 s3, -1, 0
	s_delay_alu instid0(SALU_CYCLE_1)
	s_and_b32 s2, s2, s3
.LBB432_2:
	s_delay_alu instid0(SALU_CYCLE_1)
	s_and_not1_b32 vcc_lo, exec_lo, s2
	s_cbranch_vccnz .LBB432_35
; %bb.3:
	s_load_b32 s24, s[0:1], 0x68
	s_bfe_u32 s2, ttmp6, 0x40014
	s_lshr_b32 s3, ttmp7, 16
	s_add_co_i32 s2, s2, 1
	s_bfe_u32 s5, ttmp6, 0x40008
	s_mul_i32 s4, s3, s2
	s_getreg_b32 s2, hwreg(HW_REG_IB_STS2, 6, 4)
	s_add_co_i32 s5, s5, s4
	s_cmp_eq_u32 s2, 0
	s_mov_b32 s7, 0
	s_cselect_b32 s6, s3, s5
	s_wait_kmcnt 0x0
	s_cmp_ge_u32 s6, s24
	s_cbranch_scc1 .LBB432_35
; %bb.4:
	s_load_b32 s3, s[0:1], 0x0
	s_wait_xcnt 0x0
	s_bfe_u32 s1, ttmp6, 0x4000c
	s_bfe_u32 s5, ttmp6, 0x40010
	s_and_b32 s4, ttmp7, 0xffff
	s_add_co_i32 s1, s1, 1
	s_add_co_i32 s5, s5, 1
	v_and_b32_e32 v13, 0x3ff, v0
	v_bfe_u32 v20, v0, 10, 10
	s_and_b32 s0, ttmp6, 15
	s_mul_i32 s1, ttmp9, s1
	s_mul_i32 s5, s4, s5
	s_bfe_u32 s10, ttmp6, 0x40004
	s_add_co_i32 s0, s0, s1
	s_add_co_i32 s10, s10, s5
	s_cmp_eq_u32 s2, 0
	v_lshl_add_u32 v1, v20, 4, v13
	s_cselect_b32 s1, s4, s10
	s_cselect_b32 s0, ttmp9, s0
	s_lshl_b32 s1, s1, 5
	s_delay_alu instid0(VALU_DEP_1)
	v_dual_lshrrev_b32 v2, 5, v1 :: v_dual_bitop2_b32 v0, 7, v0 bitop3:0x40
	v_dual_lshrrev_b32 v3, 3, v1 :: v_dual_bitop2_b32 v1, 31, v1 bitop3:0x40
	v_add_nc_u32_e32 v16, s1, v20
	s_lshl_b32 s2, s0, 5
	s_delay_alu instid0(VALU_DEP_3) | instid1(SALU_CYCLE_1)
	v_dual_lshlrev_b32 v5, 2, v0 :: v_dual_add_nc_u32 v12, s2, v13
	s_delay_alu instid0(VALU_DEP_3) | instskip(NEXT) | instid1(VALU_DEP_3)
	v_dual_add_nc_u32 v14, s1, v3 :: v_dual_bitop2_b32 v4, s2, v1 bitop3:0x54
	v_dual_add_nc_u32 v18, 16, v16 :: v_dual_ashrrev_i32 v17, 31, v16
	s_delay_alu instid0(VALU_DEP_2) | instskip(SKIP_1) | instid1(VALU_DEP_2)
	v_dual_lshlrev_b32 v1, 2, v1 :: v_dual_ashrrev_i32 v15, 31, v14
	s_cmp_neq_f32 s34, 0
	v_ashrrev_i32_e32 v19, 31, v18
	s_delay_alu instid0(VALU_DEP_3)
	v_mul_u64_e32 v[8:9], s[28:29], v[16:17]
	s_wait_kmcnt 0x0
	v_cmp_gt_i32_e64 s1, s3, v14
	v_mul_u64_e32 v[6:7], s[20:21], v[14:15]
	v_cmp_gt_i32_e32 vcc_lo, s3, v16
	v_mul_u64_e32 v[10:11], s[28:29], v[18:19]
	v_cmp_le_i32_e64 s2, v12, v16
	v_add_nc_u32_e32 v14, 16, v12
	s_cselect_b32 s10, -1, 0
	s_cmp_neq_f32 s33, 0
	v_lshl_or_b32 v3, v3, 5, v5
	v_cmp_gt_i64_e64 s11, s[8:9], 0
	v_cmp_gt_i32_e64 s0, s3, v4
	v_dual_ashrrev_i32 v5, 31, v4 :: v_dual_lshlrev_b32 v28, 2, v13
	s_cselect_b32 s20, -1, 0
	s_and_b32 s21, vcc_lo, s2
	v_cmp_gt_i32_e64 s3, s3, v18
	v_cmp_le_i32_e64 s4, v12, v18
	v_ashrrev_i32_e32 v13, 31, v12
	v_cmp_le_i32_e64 s2, v14, v16
	v_cmp_le_i32_e64 s5, v14, v18
	v_lshl_or_b32 v1, v2, 7, v1
	v_add_nc_u32_e32 v3, 0x400, v3
	v_lshl_add_u32 v29, v20, 5, 0x400
	v_dual_ashrrev_i32 v15, 31, v14 :: v_dual_mov_b32 v17, 0
	s_and_b32 s25, vcc_lo, s2
	s_and_b32 s28, s3, s4
	s_and_b32 s29, s3, s5
	;; [unrolled: 1-line block ×3, first 2 shown]
	s_lshl_b64 s[2:3], s[22:23], 2
	s_lshl_b64 s[4:5], s[16:17], 2
	;; [unrolled: 1-line block ×3, first 2 shown]
	s_branch .LBB432_6
.LBB432_5:                              ;   in Loop: Header=BB432_6 Depth=1
	s_wait_xcnt 0x0
	s_or_b32 exec_lo, exec_lo, s16
	s_add_co_i32 s6, s6, 0x10000
	s_delay_alu instid0(SALU_CYCLE_1)
	s_cmp_lt_u32 s6, s24
	s_cbranch_scc0 .LBB432_35
.LBB432_6:                              ; =>This Loop Header: Depth=1
                                        ;     Child Loop BB432_9 Depth 2
	v_dual_mov_b32 v16, s6 :: v_dual_mov_b32 v23, v17
	v_dual_mov_b32 v22, v17 :: v_dual_mov_b32 v19, v17
	v_mov_b32_e32 v18, v17
	global_load_b64 v[20:21], v16, s[26:27] scale_offset
	s_and_not1_b32 vcc_lo, exec_lo, s35
	s_cbranch_vccnz .LBB432_15
; %bb.7:                                ;   in Loop: Header=BB432_6 Depth=1
	s_lshl_b64 s[16:17], s[6:7], 3
	v_mov_b32_e32 v18, 0
	s_add_nc_u64 s[22:23], s[12:13], s[16:17]
	s_add_nc_u64 s[16:17], s[18:19], s[16:17]
	s_clause 0x1
	global_load_b64 v[22:23], v17, s[22:23]
	global_load_b64 v[24:25], v17, s[16:17]
	s_wait_xcnt 0x0
	s_mov_b64 s[16:17], 0
	v_mov_b32_e32 v19, v18
	s_wait_loadcnt 0x1
	v_add_nc_u64_e32 v[26:27], s[4:5], v[22:23]
	s_wait_loadcnt 0x0
	v_add_nc_u64_e32 v[30:31], s[2:3], v[24:25]
	v_dual_mov_b32 v22, v18 :: v_dual_mov_b32 v23, v18
	s_delay_alu instid0(VALU_DEP_3) | instskip(NEXT) | instid1(VALU_DEP_3)
	v_lshl_add_u64 v[24:25], v[4:5], 2, v[26:27]
	v_lshl_add_u64 v[26:27], v[6:7], 2, v[30:31]
	s_branch .LBB432_9
.LBB432_8:                              ;   in Loop: Header=BB432_9 Depth=2
	s_wait_xcnt 0x0
	s_or_b32 exec_lo, exec_lo, s22
	s_wait_loadcnt_dscnt 0x0
	ds_store_b32 v3, v31
	s_wait_dscnt 0x0
	s_barrier_signal -1
	s_barrier_wait -1
	ds_load_b128 v[30:33], v29
	ds_load_2addr_b32 v[46:47], v28 offset1:16
	ds_load_b128 v[34:37], v29 offset:512
	ds_load_2addr_b32 v[48:49], v28 offset0:32 offset1:48
	ds_load_2addr_b32 v[50:51], v28 offset0:64 offset1:80
	;; [unrolled: 1-line block ×3, first 2 shown]
	ds_load_b128 v[38:41], v29 offset:16
	ds_load_2addr_b32 v[54:55], v28 offset0:128 offset1:144
	ds_load_b128 v[42:45], v29 offset:528
	s_add_nc_u64 s[16:17], s[16:17], 8
	s_delay_alu instid0(SALU_CYCLE_1)
	v_cmp_gt_i64_e64 s22, s[8:9], s[16:17]
	s_and_b32 vcc_lo, exec_lo, s22
	s_wait_dscnt 0x8
	v_mov_b32_e32 v16, v33
	s_wait_dscnt 0x7
	v_pk_fma_f32 v[22:23], v[46:47], v[30:31], v[22:23] op_sel_hi:[1,0,1]
	s_wait_dscnt 0x6
	v_pk_fma_f32 v[18:19], v[46:47], v[34:35], v[18:19] op_sel_hi:[1,0,1]
	ds_load_2addr_b32 v[46:47], v28 offset0:160 offset1:176
	s_wait_dscnt 0x6
	v_pk_fma_f32 v[22:23], v[48:49], v[30:31], v[22:23] op_sel:[0,1,0]
	v_pk_fma_f32 v[18:19], v[48:49], v[34:35], v[18:19] op_sel:[0,1,0]
	ds_load_2addr_b32 v[30:31], v28 offset0:192 offset1:208
	v_mov_b32_e32 v34, v37
	s_wait_dscnt 0x6
	v_pk_fma_f32 v[22:23], v[50:51], v[32:33], v[22:23] op_sel_hi:[1,0,1]
	v_pk_fma_f32 v[18:19], v[50:51], v[36:37], v[18:19] op_sel_hi:[1,0,1]
	ds_load_2addr_b32 v[32:33], v28 offset0:224 offset1:240
	s_wait_dscnt 0x0
	s_barrier_signal -1
	v_pk_fma_f32 v[22:23], v[52:53], v[16:17], v[22:23] op_sel_hi:[1,0,1]
	v_pk_fma_f32 v[18:19], v[52:53], v[34:35], v[18:19] op_sel_hi:[1,0,1]
	v_dual_mov_b32 v16, v41 :: v_dual_mov_b32 v34, v45
	s_barrier_wait -1
	s_delay_alu instid0(VALU_DEP_3) | instskip(NEXT) | instid1(VALU_DEP_3)
	v_pk_fma_f32 v[22:23], v[54:55], v[38:39], v[22:23] op_sel_hi:[1,0,1]
	v_pk_fma_f32 v[18:19], v[54:55], v[42:43], v[18:19] op_sel_hi:[1,0,1]
	s_delay_alu instid0(VALU_DEP_2) | instskip(NEXT) | instid1(VALU_DEP_2)
	v_pk_fma_f32 v[22:23], v[46:47], v[38:39], v[22:23] op_sel:[0,1,0]
	v_pk_fma_f32 v[18:19], v[46:47], v[42:43], v[18:19] op_sel:[0,1,0]
	s_delay_alu instid0(VALU_DEP_2) | instskip(NEXT) | instid1(VALU_DEP_2)
	v_pk_fma_f32 v[22:23], v[30:31], v[40:41], v[22:23] op_sel_hi:[1,0,1]
	v_pk_fma_f32 v[18:19], v[30:31], v[44:45], v[18:19] op_sel_hi:[1,0,1]
	s_delay_alu instid0(VALU_DEP_2) | instskip(NEXT) | instid1(VALU_DEP_2)
	v_pk_fma_f32 v[22:23], v[32:33], v[16:17], v[22:23] op_sel_hi:[1,0,1]
	v_pk_fma_f32 v[18:19], v[32:33], v[34:35], v[18:19] op_sel_hi:[1,0,1]
	s_cbranch_vccz .LBB432_15
.LBB432_9:                              ;   Parent Loop BB432_6 Depth=1
                                        ; =>  This Inner Loop Header: Depth=2
	v_mov_b32_e32 v30, 0
	s_and_saveexec_b32 s22, s0
	s_cbranch_execz .LBB432_13
; %bb.10:                               ;   in Loop: Header=BB432_9 Depth=2
	v_dual_add_nc_u32 v16, s16, v2 :: v_dual_mov_b32 v30, 0
	s_mov_b32 s23, exec_lo
	s_delay_alu instid0(VALU_DEP_1)
	v_cmpx_gt_u64_e64 s[8:9], v[16:17]
	s_cbranch_execz .LBB432_12
; %bb.11:                               ;   in Loop: Header=BB432_9 Depth=2
	v_mul_u64_e32 v[30:31], s[14:15], v[16:17]
	s_delay_alu instid0(VALU_DEP_1)
	v_lshl_add_u64 v[30:31], v[30:31], 2, v[24:25]
	flat_load_b32 v30, v[30:31]
.LBB432_12:                             ;   in Loop: Header=BB432_9 Depth=2
	s_wait_xcnt 0x0
	s_or_b32 exec_lo, exec_lo, s23
.LBB432_13:                             ;   in Loop: Header=BB432_9 Depth=2
	s_delay_alu instid0(SALU_CYCLE_1)
	s_or_b32 exec_lo, exec_lo, s22
	v_dual_mov_b32 v31, 0 :: v_dual_add_nc_u32 v16, s16, v0
	s_wait_loadcnt_dscnt 0x0
	ds_store_b32 v1, v30
	v_cmp_gt_u64_e32 vcc_lo, s[8:9], v[16:17]
	s_and_b32 s23, vcc_lo, s1
	s_delay_alu instid0(SALU_CYCLE_1)
	s_and_saveexec_b32 s22, s23
	s_cbranch_execz .LBB432_8
; %bb.14:                               ;   in Loop: Header=BB432_9 Depth=2
	v_lshl_add_u64 v[30:31], v[16:17], 2, v[26:27]
	flat_load_b32 v31, v[30:31]
	s_branch .LBB432_8
.LBB432_15:                             ;   in Loop: Header=BB432_6 Depth=1
	s_wait_loadcnt 0x0
	v_add_nc_u64_e32 v[20:21], s[10:11], v[20:21]
	s_delay_alu instid0(VALU_DEP_1)
	v_lshl_add_u64 v[24:25], v[8:9], 2, v[20:21]
	s_wait_xcnt 0x0
	s_and_saveexec_b32 s16, s21
	s_cbranch_execz .LBB432_19
; %bb.16:                               ;   in Loop: Header=BB432_6 Depth=1
	v_mul_f32_e32 v16, s34, v22
	v_lshl_add_u64 v[26:27], v[12:13], 2, v[24:25]
	s_and_b32 vcc_lo, exec_lo, s20
	s_cbranch_vccz .LBB432_30
; %bb.17:                               ;   in Loop: Header=BB432_6 Depth=1
	flat_load_b32 v22, v[26:27]
	s_wait_loadcnt_dscnt 0x0
	v_fma_f32 v22, s33, v22, v16
	flat_store_b32 v[26:27], v22
	s_cbranch_execnz .LBB432_19
.LBB432_18:                             ;   in Loop: Header=BB432_6 Depth=1
	flat_store_b32 v[26:27], v16
.LBB432_19:                             ;   in Loop: Header=BB432_6 Depth=1
	s_wait_xcnt 0x0
	s_or_b32 exec_lo, exec_lo, s16
	s_and_saveexec_b32 s16, s25
	s_cbranch_execz .LBB432_23
; %bb.20:                               ;   in Loop: Header=BB432_6 Depth=1
	v_mul_f32_e32 v16, s34, v23
	v_lshl_add_u64 v[22:23], v[14:15], 2, v[24:25]
	s_and_not1_b32 vcc_lo, exec_lo, s20
	s_cbranch_vccnz .LBB432_31
; %bb.21:                               ;   in Loop: Header=BB432_6 Depth=1
	flat_load_b32 v24, v[22:23]
	s_wait_loadcnt_dscnt 0x0
	v_fma_f32 v24, s33, v24, v16
	flat_store_b32 v[22:23], v24
	s_cbranch_execnz .LBB432_23
.LBB432_22:                             ;   in Loop: Header=BB432_6 Depth=1
	flat_store_b32 v[22:23], v16
.LBB432_23:                             ;   in Loop: Header=BB432_6 Depth=1
	s_wait_xcnt 0x0
	s_or_b32 exec_lo, exec_lo, s16
	v_lshl_add_u64 v[20:21], v[10:11], 2, v[20:21]
	s_and_saveexec_b32 s16, s28
	s_cbranch_execz .LBB432_27
; %bb.24:                               ;   in Loop: Header=BB432_6 Depth=1
	v_mul_f32_e32 v16, s34, v18
	s_delay_alu instid0(VALU_DEP_2)
	v_lshl_add_u64 v[22:23], v[12:13], 2, v[20:21]
	s_and_not1_b32 vcc_lo, exec_lo, s20
	s_cbranch_vccnz .LBB432_32
; %bb.25:                               ;   in Loop: Header=BB432_6 Depth=1
	flat_load_b32 v18, v[22:23]
	s_wait_loadcnt_dscnt 0x0
	v_fma_f32 v18, s33, v18, v16
	flat_store_b32 v[22:23], v18
	s_cbranch_execnz .LBB432_27
.LBB432_26:                             ;   in Loop: Header=BB432_6 Depth=1
	flat_store_b32 v[22:23], v16
.LBB432_27:                             ;   in Loop: Header=BB432_6 Depth=1
	s_wait_xcnt 0x0
	s_or_b32 exec_lo, exec_lo, s16
	s_and_saveexec_b32 s16, s29
	s_cbranch_execz .LBB432_5
; %bb.28:                               ;   in Loop: Header=BB432_6 Depth=1
	v_mul_f32_e32 v16, s34, v19
	v_lshl_add_u64 v[18:19], v[14:15], 2, v[20:21]
	s_and_not1_b32 vcc_lo, exec_lo, s20
	s_cbranch_vccnz .LBB432_33
; %bb.29:                               ;   in Loop: Header=BB432_6 Depth=1
	flat_load_b32 v20, v[18:19]
	s_wait_loadcnt_dscnt 0x0
	v_fma_f32 v20, s33, v20, v16
	flat_store_b32 v[18:19], v20
	s_cbranch_execnz .LBB432_5
	s_branch .LBB432_34
.LBB432_30:                             ;   in Loop: Header=BB432_6 Depth=1
	s_branch .LBB432_18
.LBB432_31:                             ;   in Loop: Header=BB432_6 Depth=1
	s_branch .LBB432_22
.LBB432_32:                             ;   in Loop: Header=BB432_6 Depth=1
	s_branch .LBB432_26
.LBB432_33:                             ;   in Loop: Header=BB432_6 Depth=1
.LBB432_34:                             ;   in Loop: Header=BB432_6 Depth=1
	flat_store_b32 v[18:19], v16
	s_branch .LBB432_5
.LBB432_35:
	s_endpgm
	.section	.rodata,"a",@progbits
	.p2align	6, 0x0
	.amdhsa_kernel _ZL29rocblas_internal_gemmt_kernelIlLi16ELi32ELi8ELc78ELc78ELc85ELb0ELb0EfPKfPKS1_PKPfEviT_T9_T10_S7_lS9_S7_lS8_T11_S7_li
		.amdhsa_group_segment_fixed_size 2048
		.amdhsa_private_segment_fixed_size 0
		.amdhsa_kernarg_size 108
		.amdhsa_user_sgpr_count 2
		.amdhsa_user_sgpr_dispatch_ptr 0
		.amdhsa_user_sgpr_queue_ptr 0
		.amdhsa_user_sgpr_kernarg_segment_ptr 1
		.amdhsa_user_sgpr_dispatch_id 0
		.amdhsa_user_sgpr_kernarg_preload_length 0
		.amdhsa_user_sgpr_kernarg_preload_offset 0
		.amdhsa_user_sgpr_private_segment_size 0
		.amdhsa_wavefront_size32 1
		.amdhsa_uses_dynamic_stack 0
		.amdhsa_enable_private_segment 0
		.amdhsa_system_sgpr_workgroup_id_x 1
		.amdhsa_system_sgpr_workgroup_id_y 1
		.amdhsa_system_sgpr_workgroup_id_z 1
		.amdhsa_system_sgpr_workgroup_info 0
		.amdhsa_system_vgpr_workitem_id 1
		.amdhsa_next_free_vgpr 56
		.amdhsa_next_free_sgpr 36
		.amdhsa_named_barrier_count 0
		.amdhsa_reserve_vcc 1
		.amdhsa_float_round_mode_32 0
		.amdhsa_float_round_mode_16_64 0
		.amdhsa_float_denorm_mode_32 3
		.amdhsa_float_denorm_mode_16_64 3
		.amdhsa_fp16_overflow 0
		.amdhsa_memory_ordered 1
		.amdhsa_forward_progress 1
		.amdhsa_inst_pref_size 13
		.amdhsa_round_robin_scheduling 0
		.amdhsa_exception_fp_ieee_invalid_op 0
		.amdhsa_exception_fp_denorm_src 0
		.amdhsa_exception_fp_ieee_div_zero 0
		.amdhsa_exception_fp_ieee_overflow 0
		.amdhsa_exception_fp_ieee_underflow 0
		.amdhsa_exception_fp_ieee_inexact 0
		.amdhsa_exception_int_div_zero 0
	.end_amdhsa_kernel
	.section	.text._ZL29rocblas_internal_gemmt_kernelIlLi16ELi32ELi8ELc78ELc78ELc85ELb0ELb0EfPKfPKS1_PKPfEviT_T9_T10_S7_lS9_S7_lS8_T11_S7_li,"axG",@progbits,_ZL29rocblas_internal_gemmt_kernelIlLi16ELi32ELi8ELc78ELc78ELc85ELb0ELb0EfPKfPKS1_PKPfEviT_T9_T10_S7_lS9_S7_lS8_T11_S7_li,comdat
.Lfunc_end432:
	.size	_ZL29rocblas_internal_gemmt_kernelIlLi16ELi32ELi8ELc78ELc78ELc85ELb0ELb0EfPKfPKS1_PKPfEviT_T9_T10_S7_lS9_S7_lS8_T11_S7_li, .Lfunc_end432-_ZL29rocblas_internal_gemmt_kernelIlLi16ELi32ELi8ELc78ELc78ELc85ELb0ELb0EfPKfPKS1_PKPfEviT_T9_T10_S7_lS9_S7_lS8_T11_S7_li
                                        ; -- End function
	.set _ZL29rocblas_internal_gemmt_kernelIlLi16ELi32ELi8ELc78ELc78ELc85ELb0ELb0EfPKfPKS1_PKPfEviT_T9_T10_S7_lS9_S7_lS8_T11_S7_li.num_vgpr, 56
	.set _ZL29rocblas_internal_gemmt_kernelIlLi16ELi32ELi8ELc78ELc78ELc85ELb0ELb0EfPKfPKS1_PKPfEviT_T9_T10_S7_lS9_S7_lS8_T11_S7_li.num_agpr, 0
	.set _ZL29rocblas_internal_gemmt_kernelIlLi16ELi32ELi8ELc78ELc78ELc85ELb0ELb0EfPKfPKS1_PKPfEviT_T9_T10_S7_lS9_S7_lS8_T11_S7_li.numbered_sgpr, 36
	.set _ZL29rocblas_internal_gemmt_kernelIlLi16ELi32ELi8ELc78ELc78ELc85ELb0ELb0EfPKfPKS1_PKPfEviT_T9_T10_S7_lS9_S7_lS8_T11_S7_li.num_named_barrier, 0
	.set _ZL29rocblas_internal_gemmt_kernelIlLi16ELi32ELi8ELc78ELc78ELc85ELb0ELb0EfPKfPKS1_PKPfEviT_T9_T10_S7_lS9_S7_lS8_T11_S7_li.private_seg_size, 0
	.set _ZL29rocblas_internal_gemmt_kernelIlLi16ELi32ELi8ELc78ELc78ELc85ELb0ELb0EfPKfPKS1_PKPfEviT_T9_T10_S7_lS9_S7_lS8_T11_S7_li.uses_vcc, 1
	.set _ZL29rocblas_internal_gemmt_kernelIlLi16ELi32ELi8ELc78ELc78ELc85ELb0ELb0EfPKfPKS1_PKPfEviT_T9_T10_S7_lS9_S7_lS8_T11_S7_li.uses_flat_scratch, 0
	.set _ZL29rocblas_internal_gemmt_kernelIlLi16ELi32ELi8ELc78ELc78ELc85ELb0ELb0EfPKfPKS1_PKPfEviT_T9_T10_S7_lS9_S7_lS8_T11_S7_li.has_dyn_sized_stack, 0
	.set _ZL29rocblas_internal_gemmt_kernelIlLi16ELi32ELi8ELc78ELc78ELc85ELb0ELb0EfPKfPKS1_PKPfEviT_T9_T10_S7_lS9_S7_lS8_T11_S7_li.has_recursion, 0
	.set _ZL29rocblas_internal_gemmt_kernelIlLi16ELi32ELi8ELc78ELc78ELc85ELb0ELb0EfPKfPKS1_PKPfEviT_T9_T10_S7_lS9_S7_lS8_T11_S7_li.has_indirect_call, 0
	.section	.AMDGPU.csdata,"",@progbits
; Kernel info:
; codeLenInByte = 1664
; TotalNumSgprs: 38
; NumVgprs: 56
; ScratchSize: 0
; MemoryBound: 0
; FloatMode: 240
; IeeeMode: 1
; LDSByteSize: 2048 bytes/workgroup (compile time only)
; SGPRBlocks: 0
; VGPRBlocks: 3
; NumSGPRsForWavesPerEU: 38
; NumVGPRsForWavesPerEU: 56
; NamedBarCnt: 0
; Occupancy: 16
; WaveLimiterHint : 1
; COMPUTE_PGM_RSRC2:SCRATCH_EN: 0
; COMPUTE_PGM_RSRC2:USER_SGPR: 2
; COMPUTE_PGM_RSRC2:TRAP_HANDLER: 0
; COMPUTE_PGM_RSRC2:TGID_X_EN: 1
; COMPUTE_PGM_RSRC2:TGID_Y_EN: 1
; COMPUTE_PGM_RSRC2:TGID_Z_EN: 1
; COMPUTE_PGM_RSRC2:TIDIG_COMP_CNT: 1
	.section	.text._ZL29rocblas_internal_gemmt_kernelIlLi16ELi32ELi8ELc78ELc84ELc85ELb0ELb0EfPKfPKS1_PKPfEviT_T9_T10_S7_lS9_S7_lS8_T11_S7_li,"axG",@progbits,_ZL29rocblas_internal_gemmt_kernelIlLi16ELi32ELi8ELc78ELc84ELc85ELb0ELb0EfPKfPKS1_PKPfEviT_T9_T10_S7_lS9_S7_lS8_T11_S7_li,comdat
	.globl	_ZL29rocblas_internal_gemmt_kernelIlLi16ELi32ELi8ELc78ELc84ELc85ELb0ELb0EfPKfPKS1_PKPfEviT_T9_T10_S7_lS9_S7_lS8_T11_S7_li ; -- Begin function _ZL29rocblas_internal_gemmt_kernelIlLi16ELi32ELi8ELc78ELc84ELc85ELb0ELb0EfPKfPKS1_PKPfEviT_T9_T10_S7_lS9_S7_lS8_T11_S7_li
	.p2align	8
	.type	_ZL29rocblas_internal_gemmt_kernelIlLi16ELi32ELi8ELc78ELc84ELc85ELb0ELb0EfPKfPKS1_PKPfEviT_T9_T10_S7_lS9_S7_lS8_T11_S7_li,@function
_ZL29rocblas_internal_gemmt_kernelIlLi16ELi32ELi8ELc78ELc84ELc85ELb0ELb0EfPKfPKS1_PKPfEviT_T9_T10_S7_lS9_S7_lS8_T11_S7_li: ; @_ZL29rocblas_internal_gemmt_kernelIlLi16ELi32ELi8ELc78ELc84ELc85ELb0ELb0EfPKfPKS1_PKPfEviT_T9_T10_S7_lS9_S7_lS8_T11_S7_li
; %bb.0:
	s_clause 0x1
	s_load_b256 s[24:31], s[0:1], 0x48
	s_load_b512 s[8:23], s[0:1], 0x8
	s_wait_kmcnt 0x0
	s_load_b32 s33, s[24:25], 0x0
	s_load_b32 s34, s[10:11], 0x0
	s_wait_kmcnt 0x0
	s_cmp_neq_f32 s33, 1.0
	s_cselect_b32 s2, -1, 0
	s_delay_alu instid0(SALU_CYCLE_1)
	s_and_b32 vcc_lo, exec_lo, s2
	s_cbranch_vccnz .LBB433_2
; %bb.1:
	s_cmp_lg_u64 s[8:9], 0
	s_cselect_b32 s2, -1, 0
	s_cmp_neq_f32 s34, 0
	s_cselect_b32 s3, -1, 0
	s_delay_alu instid0(SALU_CYCLE_1)
	s_and_b32 s2, s2, s3
.LBB433_2:
	s_delay_alu instid0(SALU_CYCLE_1)
	s_and_not1_b32 vcc_lo, exec_lo, s2
	s_cbranch_vccnz .LBB433_35
; %bb.3:
	s_load_b32 s24, s[0:1], 0x68
	s_bfe_u32 s2, ttmp6, 0x40014
	s_lshr_b32 s3, ttmp7, 16
	s_add_co_i32 s2, s2, 1
	s_bfe_u32 s5, ttmp6, 0x40008
	s_mul_i32 s4, s3, s2
	s_getreg_b32 s2, hwreg(HW_REG_IB_STS2, 6, 4)
	s_add_co_i32 s5, s5, s4
	s_cmp_eq_u32 s2, 0
	s_mov_b32 s7, 0
	s_cselect_b32 s6, s3, s5
	s_wait_kmcnt 0x0
	s_cmp_ge_u32 s6, s24
	s_cbranch_scc1 .LBB433_35
; %bb.4:
	s_load_b32 s3, s[0:1], 0x0
	s_wait_xcnt 0x0
	s_bfe_u32 s1, ttmp6, 0x4000c
	s_bfe_u32 s5, ttmp6, 0x40010
	s_and_b32 s4, ttmp7, 0xffff
	s_add_co_i32 s1, s1, 1
	s_add_co_i32 s5, s5, 1
	v_and_b32_e32 v13, 0x3ff, v0
	v_bfe_u32 v15, v0, 10, 10
	s_and_b32 s0, ttmp6, 15
	s_mul_i32 s1, ttmp9, s1
	s_mul_i32 s5, s4, s5
	s_bfe_u32 s10, ttmp6, 0x40004
	s_add_co_i32 s0, s0, s1
	s_add_co_i32 s10, s10, s5
	s_cmp_eq_u32 s2, 0
	v_lshl_add_u32 v1, v15, 4, v13
	s_cselect_b32 s1, s4, s10
	s_cselect_b32 s0, ttmp9, s0
	s_lshl_b32 s1, s1, 5
	s_lshl_b32 s2, s0, 5
	v_dual_add_nc_u32 v16, s1, v15 :: v_dual_bitop2_b32 v3, 31, v1 bitop3:0x40
	v_dual_lshrrev_b32 v2, 5, v1 :: v_dual_bitop2_b32 v0, 7, v0 bitop3:0x40
	s_delay_alu instid0(VALU_DEP_2) | instskip(NEXT) | instid1(VALU_DEP_3)
	v_dual_lshrrev_b32 v1, 3, v1 :: v_dual_bitop2_b32 v4, s2, v3 bitop3:0x54
	v_dual_add_nc_u32 v18, 16, v16 :: v_dual_lshlrev_b32 v3, 2, v3
	s_delay_alu instid0(VALU_DEP_2) | instskip(NEXT) | instid1(VALU_DEP_2)
	v_dual_lshlrev_b32 v5, 2, v0 :: v_dual_add_nc_u32 v6, s1, v1
	v_dual_ashrrev_i32 v17, 31, v16 :: v_dual_ashrrev_i32 v19, 31, v18
	v_add_nc_u32_e32 v12, s2, v13
	s_delay_alu instid0(VALU_DEP_3) | instskip(SKIP_1) | instid1(VALU_DEP_4)
	v_lshl_or_b32 v7, v1, 5, v5
	v_ashrrev_i32_e32 v5, 31, v4
	v_mul_u64_e32 v[8:9], s[28:29], v[16:17]
	v_mul_u64_e32 v[10:11], s[28:29], v[18:19]
	s_cmp_neq_f32 s34, 0
	v_lshl_or_b32 v1, v2, 7, v3
	v_add_nc_u32_e32 v3, 0x400, v7
	v_dual_ashrrev_i32 v7, 31, v6 :: v_dual_add_nc_u32 v14, 16, v12
	s_wait_kmcnt 0x0
	v_cmp_gt_i32_e32 vcc_lo, s3, v16
	v_cmp_le_i32_e64 s2, v12, v16
	s_cselect_b32 s10, -1, 0
	s_cmp_neq_f32 s33, 0
	v_cmp_gt_i64_e64 s11, s[8:9], 0
	v_cmp_gt_i32_e64 s0, s3, v4
	v_cmp_gt_i32_e64 s1, s3, v6
	s_cselect_b32 s25, -1, 0
	s_and_b32 s28, vcc_lo, s2
	v_cmp_le_i32_e64 s2, v14, v16
	v_cmp_gt_i32_e64 s3, s3, v18
	v_cmp_le_i32_e64 s4, v12, v18
	v_cmp_le_i32_e64 s5, v14, v18
	v_dual_lshlrev_b32 v28, 2, v13 :: v_dual_ashrrev_i32 v13, 31, v12
	v_lshl_add_u32 v29, v15, 5, 0x400
	v_dual_ashrrev_i32 v15, 31, v14 :: v_dual_mov_b32 v17, 0
	s_and_b32 s29, vcc_lo, s2
	s_and_b32 s35, s3, s4
	s_and_b32 s36, s3, s5
	;; [unrolled: 1-line block ×3, first 2 shown]
	s_lshl_b64 s[2:3], s[22:23], 2
	s_lshl_b64 s[4:5], s[16:17], 2
	;; [unrolled: 1-line block ×3, first 2 shown]
	s_branch .LBB433_6
.LBB433_5:                              ;   in Loop: Header=BB433_6 Depth=1
	s_wait_xcnt 0x0
	s_or_b32 exec_lo, exec_lo, s16
	s_add_co_i32 s6, s6, 0x10000
	s_delay_alu instid0(SALU_CYCLE_1)
	s_cmp_lt_u32 s6, s24
	s_cbranch_scc0 .LBB433_35
.LBB433_6:                              ; =>This Loop Header: Depth=1
                                        ;     Child Loop BB433_9 Depth 2
	v_dual_mov_b32 v16, s6 :: v_dual_mov_b32 v23, v17
	v_dual_mov_b32 v22, v17 :: v_dual_mov_b32 v19, v17
	v_mov_b32_e32 v18, v17
	global_load_b64 v[20:21], v16, s[26:27] scale_offset
	s_and_not1_b32 vcc_lo, exec_lo, s37
	s_cbranch_vccnz .LBB433_15
; %bb.7:                                ;   in Loop: Header=BB433_6 Depth=1
	s_lshl_b64 s[16:17], s[6:7], 3
	v_mov_b32_e32 v18, 0
	s_add_nc_u64 s[22:23], s[12:13], s[16:17]
	s_add_nc_u64 s[16:17], s[18:19], s[16:17]
	s_clause 0x1
	global_load_b64 v[22:23], v17, s[22:23]
	global_load_b64 v[24:25], v17, s[16:17]
	s_wait_xcnt 0x0
	s_mov_b64 s[16:17], 0
	v_mov_b32_e32 v19, v18
	s_wait_loadcnt 0x1
	v_add_nc_u64_e32 v[26:27], s[4:5], v[22:23]
	s_wait_loadcnt 0x0
	v_add_nc_u64_e32 v[30:31], s[2:3], v[24:25]
	v_dual_mov_b32 v22, v18 :: v_dual_mov_b32 v23, v18
	s_delay_alu instid0(VALU_DEP_3) | instskip(NEXT) | instid1(VALU_DEP_3)
	v_lshl_add_u64 v[24:25], v[4:5], 2, v[26:27]
	v_lshl_add_u64 v[26:27], v[6:7], 2, v[30:31]
	s_branch .LBB433_9
.LBB433_8:                              ;   in Loop: Header=BB433_9 Depth=2
	s_wait_xcnt 0x0
	s_or_b32 exec_lo, exec_lo, s22
	s_wait_loadcnt_dscnt 0x0
	ds_store_b32 v3, v31
	s_wait_dscnt 0x0
	s_barrier_signal -1
	s_barrier_wait -1
	ds_load_b128 v[30:33], v29
	ds_load_2addr_b32 v[46:47], v28 offset1:16
	ds_load_b128 v[34:37], v29 offset:512
	ds_load_2addr_b32 v[48:49], v28 offset0:32 offset1:48
	ds_load_2addr_b32 v[50:51], v28 offset0:64 offset1:80
	;; [unrolled: 1-line block ×3, first 2 shown]
	ds_load_b128 v[38:41], v29 offset:16
	ds_load_2addr_b32 v[54:55], v28 offset0:128 offset1:144
	ds_load_b128 v[42:45], v29 offset:528
	s_add_nc_u64 s[16:17], s[16:17], 8
	s_delay_alu instid0(SALU_CYCLE_1)
	v_cmp_gt_i64_e64 s22, s[8:9], s[16:17]
	s_and_b32 vcc_lo, exec_lo, s22
	s_wait_dscnt 0x8
	v_mov_b32_e32 v16, v33
	s_wait_dscnt 0x7
	v_pk_fma_f32 v[22:23], v[46:47], v[30:31], v[22:23] op_sel_hi:[1,0,1]
	s_wait_dscnt 0x6
	v_pk_fma_f32 v[18:19], v[46:47], v[34:35], v[18:19] op_sel_hi:[1,0,1]
	ds_load_2addr_b32 v[46:47], v28 offset0:160 offset1:176
	s_wait_dscnt 0x6
	v_pk_fma_f32 v[22:23], v[48:49], v[30:31], v[22:23] op_sel:[0,1,0]
	v_pk_fma_f32 v[18:19], v[48:49], v[34:35], v[18:19] op_sel:[0,1,0]
	ds_load_2addr_b32 v[30:31], v28 offset0:192 offset1:208
	v_mov_b32_e32 v34, v37
	s_wait_dscnt 0x6
	v_pk_fma_f32 v[22:23], v[50:51], v[32:33], v[22:23] op_sel_hi:[1,0,1]
	v_pk_fma_f32 v[18:19], v[50:51], v[36:37], v[18:19] op_sel_hi:[1,0,1]
	ds_load_2addr_b32 v[32:33], v28 offset0:224 offset1:240
	s_wait_dscnt 0x0
	s_barrier_signal -1
	v_pk_fma_f32 v[22:23], v[52:53], v[16:17], v[22:23] op_sel_hi:[1,0,1]
	v_pk_fma_f32 v[18:19], v[52:53], v[34:35], v[18:19] op_sel_hi:[1,0,1]
	v_dual_mov_b32 v16, v41 :: v_dual_mov_b32 v34, v45
	s_barrier_wait -1
	s_delay_alu instid0(VALU_DEP_3) | instskip(NEXT) | instid1(VALU_DEP_3)
	v_pk_fma_f32 v[22:23], v[54:55], v[38:39], v[22:23] op_sel_hi:[1,0,1]
	v_pk_fma_f32 v[18:19], v[54:55], v[42:43], v[18:19] op_sel_hi:[1,0,1]
	s_delay_alu instid0(VALU_DEP_2) | instskip(NEXT) | instid1(VALU_DEP_2)
	v_pk_fma_f32 v[22:23], v[46:47], v[38:39], v[22:23] op_sel:[0,1,0]
	v_pk_fma_f32 v[18:19], v[46:47], v[42:43], v[18:19] op_sel:[0,1,0]
	s_delay_alu instid0(VALU_DEP_2) | instskip(NEXT) | instid1(VALU_DEP_2)
	v_pk_fma_f32 v[22:23], v[30:31], v[40:41], v[22:23] op_sel_hi:[1,0,1]
	v_pk_fma_f32 v[18:19], v[30:31], v[44:45], v[18:19] op_sel_hi:[1,0,1]
	s_delay_alu instid0(VALU_DEP_2) | instskip(NEXT) | instid1(VALU_DEP_2)
	v_pk_fma_f32 v[22:23], v[32:33], v[16:17], v[22:23] op_sel_hi:[1,0,1]
	v_pk_fma_f32 v[18:19], v[32:33], v[34:35], v[18:19] op_sel_hi:[1,0,1]
	s_cbranch_vccz .LBB433_15
.LBB433_9:                              ;   Parent Loop BB433_6 Depth=1
                                        ; =>  This Inner Loop Header: Depth=2
	v_mov_b32_e32 v30, 0
	s_and_saveexec_b32 s22, s0
	s_cbranch_execz .LBB433_13
; %bb.10:                               ;   in Loop: Header=BB433_9 Depth=2
	v_dual_add_nc_u32 v16, s16, v2 :: v_dual_mov_b32 v30, 0
	s_mov_b32 s23, exec_lo
	s_delay_alu instid0(VALU_DEP_1)
	v_cmpx_gt_u64_e64 s[8:9], v[16:17]
	s_cbranch_execz .LBB433_12
; %bb.11:                               ;   in Loop: Header=BB433_9 Depth=2
	v_mul_u64_e32 v[30:31], s[14:15], v[16:17]
	s_delay_alu instid0(VALU_DEP_1)
	v_lshl_add_u64 v[30:31], v[30:31], 2, v[24:25]
	flat_load_b32 v30, v[30:31]
.LBB433_12:                             ;   in Loop: Header=BB433_9 Depth=2
	s_wait_xcnt 0x0
	s_or_b32 exec_lo, exec_lo, s23
.LBB433_13:                             ;   in Loop: Header=BB433_9 Depth=2
	s_delay_alu instid0(SALU_CYCLE_1)
	s_or_b32 exec_lo, exec_lo, s22
	v_dual_mov_b32 v31, 0 :: v_dual_add_nc_u32 v16, s16, v0
	s_wait_loadcnt_dscnt 0x0
	ds_store_b32 v1, v30
	v_cmp_gt_u64_e32 vcc_lo, s[8:9], v[16:17]
	s_and_b32 s23, vcc_lo, s1
	s_delay_alu instid0(SALU_CYCLE_1)
	s_and_saveexec_b32 s22, s23
	s_cbranch_execz .LBB433_8
; %bb.14:                               ;   in Loop: Header=BB433_9 Depth=2
	v_mul_u64_e32 v[30:31], s[20:21], v[16:17]
	s_delay_alu instid0(VALU_DEP_1)
	v_lshl_add_u64 v[30:31], v[30:31], 2, v[26:27]
	flat_load_b32 v31, v[30:31]
	s_branch .LBB433_8
.LBB433_15:                             ;   in Loop: Header=BB433_6 Depth=1
	s_wait_loadcnt 0x0
	v_add_nc_u64_e32 v[20:21], s[10:11], v[20:21]
	s_delay_alu instid0(VALU_DEP_1)
	v_lshl_add_u64 v[24:25], v[8:9], 2, v[20:21]
	s_wait_xcnt 0x0
	s_and_saveexec_b32 s16, s28
	s_cbranch_execz .LBB433_19
; %bb.16:                               ;   in Loop: Header=BB433_6 Depth=1
	v_mul_f32_e32 v16, s34, v22
	v_lshl_add_u64 v[26:27], v[12:13], 2, v[24:25]
	s_and_b32 vcc_lo, exec_lo, s25
	s_cbranch_vccz .LBB433_30
; %bb.17:                               ;   in Loop: Header=BB433_6 Depth=1
	flat_load_b32 v22, v[26:27]
	s_wait_loadcnt_dscnt 0x0
	v_fma_f32 v22, s33, v22, v16
	flat_store_b32 v[26:27], v22
	s_cbranch_execnz .LBB433_19
.LBB433_18:                             ;   in Loop: Header=BB433_6 Depth=1
	flat_store_b32 v[26:27], v16
.LBB433_19:                             ;   in Loop: Header=BB433_6 Depth=1
	s_wait_xcnt 0x0
	s_or_b32 exec_lo, exec_lo, s16
	s_and_saveexec_b32 s16, s29
	s_cbranch_execz .LBB433_23
; %bb.20:                               ;   in Loop: Header=BB433_6 Depth=1
	v_mul_f32_e32 v16, s34, v23
	v_lshl_add_u64 v[22:23], v[14:15], 2, v[24:25]
	s_and_not1_b32 vcc_lo, exec_lo, s25
	s_cbranch_vccnz .LBB433_31
; %bb.21:                               ;   in Loop: Header=BB433_6 Depth=1
	flat_load_b32 v24, v[22:23]
	s_wait_loadcnt_dscnt 0x0
	v_fma_f32 v24, s33, v24, v16
	flat_store_b32 v[22:23], v24
	s_cbranch_execnz .LBB433_23
.LBB433_22:                             ;   in Loop: Header=BB433_6 Depth=1
	flat_store_b32 v[22:23], v16
.LBB433_23:                             ;   in Loop: Header=BB433_6 Depth=1
	s_wait_xcnt 0x0
	s_or_b32 exec_lo, exec_lo, s16
	v_lshl_add_u64 v[20:21], v[10:11], 2, v[20:21]
	s_and_saveexec_b32 s16, s35
	s_cbranch_execz .LBB433_27
; %bb.24:                               ;   in Loop: Header=BB433_6 Depth=1
	v_mul_f32_e32 v16, s34, v18
	s_delay_alu instid0(VALU_DEP_2)
	v_lshl_add_u64 v[22:23], v[12:13], 2, v[20:21]
	s_and_not1_b32 vcc_lo, exec_lo, s25
	s_cbranch_vccnz .LBB433_32
; %bb.25:                               ;   in Loop: Header=BB433_6 Depth=1
	flat_load_b32 v18, v[22:23]
	s_wait_loadcnt_dscnt 0x0
	v_fma_f32 v18, s33, v18, v16
	flat_store_b32 v[22:23], v18
	s_cbranch_execnz .LBB433_27
.LBB433_26:                             ;   in Loop: Header=BB433_6 Depth=1
	flat_store_b32 v[22:23], v16
.LBB433_27:                             ;   in Loop: Header=BB433_6 Depth=1
	s_wait_xcnt 0x0
	s_or_b32 exec_lo, exec_lo, s16
	s_and_saveexec_b32 s16, s36
	s_cbranch_execz .LBB433_5
; %bb.28:                               ;   in Loop: Header=BB433_6 Depth=1
	v_mul_f32_e32 v16, s34, v19
	v_lshl_add_u64 v[18:19], v[14:15], 2, v[20:21]
	s_and_not1_b32 vcc_lo, exec_lo, s25
	s_cbranch_vccnz .LBB433_33
; %bb.29:                               ;   in Loop: Header=BB433_6 Depth=1
	flat_load_b32 v20, v[18:19]
	s_wait_loadcnt_dscnt 0x0
	v_fma_f32 v20, s33, v20, v16
	flat_store_b32 v[18:19], v20
	s_cbranch_execnz .LBB433_5
	s_branch .LBB433_34
.LBB433_30:                             ;   in Loop: Header=BB433_6 Depth=1
	s_branch .LBB433_18
.LBB433_31:                             ;   in Loop: Header=BB433_6 Depth=1
	s_branch .LBB433_22
.LBB433_32:                             ;   in Loop: Header=BB433_6 Depth=1
	s_branch .LBB433_26
.LBB433_33:                             ;   in Loop: Header=BB433_6 Depth=1
.LBB433_34:                             ;   in Loop: Header=BB433_6 Depth=1
	flat_store_b32 v[18:19], v16
	s_branch .LBB433_5
.LBB433_35:
	s_endpgm
	.section	.rodata,"a",@progbits
	.p2align	6, 0x0
	.amdhsa_kernel _ZL29rocblas_internal_gemmt_kernelIlLi16ELi32ELi8ELc78ELc84ELc85ELb0ELb0EfPKfPKS1_PKPfEviT_T9_T10_S7_lS9_S7_lS8_T11_S7_li
		.amdhsa_group_segment_fixed_size 2048
		.amdhsa_private_segment_fixed_size 0
		.amdhsa_kernarg_size 108
		.amdhsa_user_sgpr_count 2
		.amdhsa_user_sgpr_dispatch_ptr 0
		.amdhsa_user_sgpr_queue_ptr 0
		.amdhsa_user_sgpr_kernarg_segment_ptr 1
		.amdhsa_user_sgpr_dispatch_id 0
		.amdhsa_user_sgpr_kernarg_preload_length 0
		.amdhsa_user_sgpr_kernarg_preload_offset 0
		.amdhsa_user_sgpr_private_segment_size 0
		.amdhsa_wavefront_size32 1
		.amdhsa_uses_dynamic_stack 0
		.amdhsa_enable_private_segment 0
		.amdhsa_system_sgpr_workgroup_id_x 1
		.amdhsa_system_sgpr_workgroup_id_y 1
		.amdhsa_system_sgpr_workgroup_id_z 1
		.amdhsa_system_sgpr_workgroup_info 0
		.amdhsa_system_vgpr_workitem_id 1
		.amdhsa_next_free_vgpr 56
		.amdhsa_next_free_sgpr 38
		.amdhsa_named_barrier_count 0
		.amdhsa_reserve_vcc 1
		.amdhsa_float_round_mode_32 0
		.amdhsa_float_round_mode_16_64 0
		.amdhsa_float_denorm_mode_32 3
		.amdhsa_float_denorm_mode_16_64 3
		.amdhsa_fp16_overflow 0
		.amdhsa_memory_ordered 1
		.amdhsa_forward_progress 1
		.amdhsa_inst_pref_size 13
		.amdhsa_round_robin_scheduling 0
		.amdhsa_exception_fp_ieee_invalid_op 0
		.amdhsa_exception_fp_denorm_src 0
		.amdhsa_exception_fp_ieee_div_zero 0
		.amdhsa_exception_fp_ieee_overflow 0
		.amdhsa_exception_fp_ieee_underflow 0
		.amdhsa_exception_fp_ieee_inexact 0
		.amdhsa_exception_int_div_zero 0
	.end_amdhsa_kernel
	.section	.text._ZL29rocblas_internal_gemmt_kernelIlLi16ELi32ELi8ELc78ELc84ELc85ELb0ELb0EfPKfPKS1_PKPfEviT_T9_T10_S7_lS9_S7_lS8_T11_S7_li,"axG",@progbits,_ZL29rocblas_internal_gemmt_kernelIlLi16ELi32ELi8ELc78ELc84ELc85ELb0ELb0EfPKfPKS1_PKPfEviT_T9_T10_S7_lS9_S7_lS8_T11_S7_li,comdat
.Lfunc_end433:
	.size	_ZL29rocblas_internal_gemmt_kernelIlLi16ELi32ELi8ELc78ELc84ELc85ELb0ELb0EfPKfPKS1_PKPfEviT_T9_T10_S7_lS9_S7_lS8_T11_S7_li, .Lfunc_end433-_ZL29rocblas_internal_gemmt_kernelIlLi16ELi32ELi8ELc78ELc84ELc85ELb0ELb0EfPKfPKS1_PKPfEviT_T9_T10_S7_lS9_S7_lS8_T11_S7_li
                                        ; -- End function
	.set _ZL29rocblas_internal_gemmt_kernelIlLi16ELi32ELi8ELc78ELc84ELc85ELb0ELb0EfPKfPKS1_PKPfEviT_T9_T10_S7_lS9_S7_lS8_T11_S7_li.num_vgpr, 56
	.set _ZL29rocblas_internal_gemmt_kernelIlLi16ELi32ELi8ELc78ELc84ELc85ELb0ELb0EfPKfPKS1_PKPfEviT_T9_T10_S7_lS9_S7_lS8_T11_S7_li.num_agpr, 0
	.set _ZL29rocblas_internal_gemmt_kernelIlLi16ELi32ELi8ELc78ELc84ELc85ELb0ELb0EfPKfPKS1_PKPfEviT_T9_T10_S7_lS9_S7_lS8_T11_S7_li.numbered_sgpr, 38
	.set _ZL29rocblas_internal_gemmt_kernelIlLi16ELi32ELi8ELc78ELc84ELc85ELb0ELb0EfPKfPKS1_PKPfEviT_T9_T10_S7_lS9_S7_lS8_T11_S7_li.num_named_barrier, 0
	.set _ZL29rocblas_internal_gemmt_kernelIlLi16ELi32ELi8ELc78ELc84ELc85ELb0ELb0EfPKfPKS1_PKPfEviT_T9_T10_S7_lS9_S7_lS8_T11_S7_li.private_seg_size, 0
	.set _ZL29rocblas_internal_gemmt_kernelIlLi16ELi32ELi8ELc78ELc84ELc85ELb0ELb0EfPKfPKS1_PKPfEviT_T9_T10_S7_lS9_S7_lS8_T11_S7_li.uses_vcc, 1
	.set _ZL29rocblas_internal_gemmt_kernelIlLi16ELi32ELi8ELc78ELc84ELc85ELb0ELb0EfPKfPKS1_PKPfEviT_T9_T10_S7_lS9_S7_lS8_T11_S7_li.uses_flat_scratch, 0
	.set _ZL29rocblas_internal_gemmt_kernelIlLi16ELi32ELi8ELc78ELc84ELc85ELb0ELb0EfPKfPKS1_PKPfEviT_T9_T10_S7_lS9_S7_lS8_T11_S7_li.has_dyn_sized_stack, 0
	.set _ZL29rocblas_internal_gemmt_kernelIlLi16ELi32ELi8ELc78ELc84ELc85ELb0ELb0EfPKfPKS1_PKPfEviT_T9_T10_S7_lS9_S7_lS8_T11_S7_li.has_recursion, 0
	.set _ZL29rocblas_internal_gemmt_kernelIlLi16ELi32ELi8ELc78ELc84ELc85ELb0ELb0EfPKfPKS1_PKPfEviT_T9_T10_S7_lS9_S7_lS8_T11_S7_li.has_indirect_call, 0
	.section	.AMDGPU.csdata,"",@progbits
; Kernel info:
; codeLenInByte = 1664
; TotalNumSgprs: 40
; NumVgprs: 56
; ScratchSize: 0
; MemoryBound: 0
; FloatMode: 240
; IeeeMode: 1
; LDSByteSize: 2048 bytes/workgroup (compile time only)
; SGPRBlocks: 0
; VGPRBlocks: 3
; NumSGPRsForWavesPerEU: 40
; NumVGPRsForWavesPerEU: 56
; NamedBarCnt: 0
; Occupancy: 16
; WaveLimiterHint : 1
; COMPUTE_PGM_RSRC2:SCRATCH_EN: 0
; COMPUTE_PGM_RSRC2:USER_SGPR: 2
; COMPUTE_PGM_RSRC2:TRAP_HANDLER: 0
; COMPUTE_PGM_RSRC2:TGID_X_EN: 1
; COMPUTE_PGM_RSRC2:TGID_Y_EN: 1
; COMPUTE_PGM_RSRC2:TGID_Z_EN: 1
; COMPUTE_PGM_RSRC2:TIDIG_COMP_CNT: 1
	.section	.text._ZL29rocblas_internal_gemmt_kernelIlLi16ELi32ELi8ELc78ELc67ELc85ELb0ELb0EfPKfPKS1_PKPfEviT_T9_T10_S7_lS9_S7_lS8_T11_S7_li,"axG",@progbits,_ZL29rocblas_internal_gemmt_kernelIlLi16ELi32ELi8ELc78ELc67ELc85ELb0ELb0EfPKfPKS1_PKPfEviT_T9_T10_S7_lS9_S7_lS8_T11_S7_li,comdat
	.globl	_ZL29rocblas_internal_gemmt_kernelIlLi16ELi32ELi8ELc78ELc67ELc85ELb0ELb0EfPKfPKS1_PKPfEviT_T9_T10_S7_lS9_S7_lS8_T11_S7_li ; -- Begin function _ZL29rocblas_internal_gemmt_kernelIlLi16ELi32ELi8ELc78ELc67ELc85ELb0ELb0EfPKfPKS1_PKPfEviT_T9_T10_S7_lS9_S7_lS8_T11_S7_li
	.p2align	8
	.type	_ZL29rocblas_internal_gemmt_kernelIlLi16ELi32ELi8ELc78ELc67ELc85ELb0ELb0EfPKfPKS1_PKPfEviT_T9_T10_S7_lS9_S7_lS8_T11_S7_li,@function
_ZL29rocblas_internal_gemmt_kernelIlLi16ELi32ELi8ELc78ELc67ELc85ELb0ELb0EfPKfPKS1_PKPfEviT_T9_T10_S7_lS9_S7_lS8_T11_S7_li: ; @_ZL29rocblas_internal_gemmt_kernelIlLi16ELi32ELi8ELc78ELc67ELc85ELb0ELb0EfPKfPKS1_PKPfEviT_T9_T10_S7_lS9_S7_lS8_T11_S7_li
; %bb.0:
	s_clause 0x1
	s_load_b256 s[24:31], s[0:1], 0x48
	s_load_b512 s[8:23], s[0:1], 0x8
	s_wait_kmcnt 0x0
	s_load_b32 s33, s[24:25], 0x0
	s_load_b32 s34, s[10:11], 0x0
	s_wait_kmcnt 0x0
	s_cmp_neq_f32 s33, 1.0
	s_cselect_b32 s2, -1, 0
	s_delay_alu instid0(SALU_CYCLE_1)
	s_and_b32 vcc_lo, exec_lo, s2
	s_cbranch_vccnz .LBB434_2
; %bb.1:
	s_cmp_lg_u64 s[8:9], 0
	s_cselect_b32 s2, -1, 0
	s_cmp_neq_f32 s34, 0
	s_cselect_b32 s3, -1, 0
	s_delay_alu instid0(SALU_CYCLE_1)
	s_and_b32 s2, s2, s3
.LBB434_2:
	s_delay_alu instid0(SALU_CYCLE_1)
	s_and_not1_b32 vcc_lo, exec_lo, s2
	s_cbranch_vccnz .LBB434_35
; %bb.3:
	s_load_b32 s24, s[0:1], 0x68
	s_bfe_u32 s2, ttmp6, 0x40014
	s_lshr_b32 s3, ttmp7, 16
	s_add_co_i32 s2, s2, 1
	s_bfe_u32 s5, ttmp6, 0x40008
	s_mul_i32 s4, s3, s2
	s_getreg_b32 s2, hwreg(HW_REG_IB_STS2, 6, 4)
	s_add_co_i32 s5, s5, s4
	s_cmp_eq_u32 s2, 0
	s_mov_b32 s7, 0
	s_cselect_b32 s6, s3, s5
	s_wait_kmcnt 0x0
	s_cmp_ge_u32 s6, s24
	s_cbranch_scc1 .LBB434_35
; %bb.4:
	s_load_b32 s3, s[0:1], 0x0
	s_wait_xcnt 0x0
	s_bfe_u32 s1, ttmp6, 0x4000c
	s_bfe_u32 s5, ttmp6, 0x40010
	s_and_b32 s4, ttmp7, 0xffff
	s_add_co_i32 s1, s1, 1
	s_add_co_i32 s5, s5, 1
	v_and_b32_e32 v13, 0x3ff, v0
	v_bfe_u32 v15, v0, 10, 10
	s_and_b32 s0, ttmp6, 15
	s_mul_i32 s1, ttmp9, s1
	s_mul_i32 s5, s4, s5
	s_bfe_u32 s10, ttmp6, 0x40004
	s_add_co_i32 s0, s0, s1
	s_add_co_i32 s10, s10, s5
	s_cmp_eq_u32 s2, 0
	v_lshl_add_u32 v1, v15, 4, v13
	s_cselect_b32 s1, s4, s10
	s_cselect_b32 s0, ttmp9, s0
	s_lshl_b32 s1, s1, 5
	s_lshl_b32 s2, s0, 5
	v_dual_add_nc_u32 v16, s1, v15 :: v_dual_bitop2_b32 v3, 31, v1 bitop3:0x40
	v_dual_lshrrev_b32 v2, 5, v1 :: v_dual_bitop2_b32 v0, 7, v0 bitop3:0x40
	s_delay_alu instid0(VALU_DEP_2) | instskip(NEXT) | instid1(VALU_DEP_3)
	v_dual_lshrrev_b32 v1, 3, v1 :: v_dual_bitop2_b32 v4, s2, v3 bitop3:0x54
	v_dual_add_nc_u32 v18, 16, v16 :: v_dual_lshlrev_b32 v3, 2, v3
	s_delay_alu instid0(VALU_DEP_2) | instskip(NEXT) | instid1(VALU_DEP_2)
	v_dual_lshlrev_b32 v5, 2, v0 :: v_dual_add_nc_u32 v6, s1, v1
	v_dual_ashrrev_i32 v17, 31, v16 :: v_dual_ashrrev_i32 v19, 31, v18
	v_add_nc_u32_e32 v12, s2, v13
	s_delay_alu instid0(VALU_DEP_3) | instskip(SKIP_1) | instid1(VALU_DEP_4)
	v_lshl_or_b32 v7, v1, 5, v5
	v_ashrrev_i32_e32 v5, 31, v4
	v_mul_u64_e32 v[8:9], s[28:29], v[16:17]
	v_mul_u64_e32 v[10:11], s[28:29], v[18:19]
	s_cmp_neq_f32 s34, 0
	v_lshl_or_b32 v1, v2, 7, v3
	v_add_nc_u32_e32 v3, 0x400, v7
	v_dual_ashrrev_i32 v7, 31, v6 :: v_dual_add_nc_u32 v14, 16, v12
	s_wait_kmcnt 0x0
	v_cmp_gt_i32_e32 vcc_lo, s3, v16
	v_cmp_le_i32_e64 s2, v12, v16
	s_cselect_b32 s10, -1, 0
	s_cmp_neq_f32 s33, 0
	v_cmp_gt_i64_e64 s11, s[8:9], 0
	v_cmp_gt_i32_e64 s0, s3, v4
	v_cmp_gt_i32_e64 s1, s3, v6
	s_cselect_b32 s25, -1, 0
	s_and_b32 s28, vcc_lo, s2
	v_cmp_le_i32_e64 s2, v14, v16
	v_cmp_gt_i32_e64 s3, s3, v18
	v_cmp_le_i32_e64 s4, v12, v18
	v_cmp_le_i32_e64 s5, v14, v18
	v_dual_lshlrev_b32 v28, 2, v13 :: v_dual_ashrrev_i32 v13, 31, v12
	v_lshl_add_u32 v29, v15, 5, 0x400
	v_dual_ashrrev_i32 v15, 31, v14 :: v_dual_mov_b32 v17, 0
	s_and_b32 s29, vcc_lo, s2
	s_and_b32 s35, s3, s4
	s_and_b32 s36, s3, s5
	;; [unrolled: 1-line block ×3, first 2 shown]
	s_lshl_b64 s[2:3], s[22:23], 2
	s_lshl_b64 s[4:5], s[16:17], 2
	s_lshl_b64 s[10:11], s[30:31], 2
	s_branch .LBB434_6
.LBB434_5:                              ;   in Loop: Header=BB434_6 Depth=1
	s_wait_xcnt 0x0
	s_or_b32 exec_lo, exec_lo, s16
	s_add_co_i32 s6, s6, 0x10000
	s_delay_alu instid0(SALU_CYCLE_1)
	s_cmp_lt_u32 s6, s24
	s_cbranch_scc0 .LBB434_35
.LBB434_6:                              ; =>This Loop Header: Depth=1
                                        ;     Child Loop BB434_9 Depth 2
	v_dual_mov_b32 v16, s6 :: v_dual_mov_b32 v23, v17
	v_dual_mov_b32 v22, v17 :: v_dual_mov_b32 v19, v17
	v_mov_b32_e32 v18, v17
	global_load_b64 v[20:21], v16, s[26:27] scale_offset
	s_and_not1_b32 vcc_lo, exec_lo, s37
	s_cbranch_vccnz .LBB434_15
; %bb.7:                                ;   in Loop: Header=BB434_6 Depth=1
	s_lshl_b64 s[16:17], s[6:7], 3
	v_mov_b32_e32 v18, 0
	s_add_nc_u64 s[22:23], s[12:13], s[16:17]
	s_add_nc_u64 s[16:17], s[18:19], s[16:17]
	s_clause 0x1
	global_load_b64 v[22:23], v17, s[22:23]
	global_load_b64 v[24:25], v17, s[16:17]
	s_wait_xcnt 0x0
	s_mov_b64 s[16:17], 0
	v_mov_b32_e32 v19, v18
	s_wait_loadcnt 0x1
	v_add_nc_u64_e32 v[26:27], s[4:5], v[22:23]
	s_wait_loadcnt 0x0
	v_add_nc_u64_e32 v[30:31], s[2:3], v[24:25]
	v_dual_mov_b32 v22, v18 :: v_dual_mov_b32 v23, v18
	s_delay_alu instid0(VALU_DEP_3) | instskip(NEXT) | instid1(VALU_DEP_3)
	v_lshl_add_u64 v[24:25], v[4:5], 2, v[26:27]
	v_lshl_add_u64 v[26:27], v[6:7], 2, v[30:31]
	s_branch .LBB434_9
.LBB434_8:                              ;   in Loop: Header=BB434_9 Depth=2
	s_wait_xcnt 0x0
	s_or_b32 exec_lo, exec_lo, s22
	s_wait_loadcnt_dscnt 0x0
	ds_store_b32 v3, v31
	s_wait_dscnt 0x0
	s_barrier_signal -1
	s_barrier_wait -1
	ds_load_b128 v[30:33], v29
	ds_load_2addr_b32 v[46:47], v28 offset1:16
	ds_load_b128 v[34:37], v29 offset:512
	ds_load_2addr_b32 v[48:49], v28 offset0:32 offset1:48
	ds_load_2addr_b32 v[50:51], v28 offset0:64 offset1:80
	;; [unrolled: 1-line block ×3, first 2 shown]
	ds_load_b128 v[38:41], v29 offset:16
	ds_load_2addr_b32 v[54:55], v28 offset0:128 offset1:144
	ds_load_b128 v[42:45], v29 offset:528
	s_add_nc_u64 s[16:17], s[16:17], 8
	s_delay_alu instid0(SALU_CYCLE_1)
	v_cmp_gt_i64_e64 s22, s[8:9], s[16:17]
	s_and_b32 vcc_lo, exec_lo, s22
	s_wait_dscnt 0x8
	v_mov_b32_e32 v16, v33
	s_wait_dscnt 0x7
	v_pk_fma_f32 v[22:23], v[46:47], v[30:31], v[22:23] op_sel_hi:[1,0,1]
	s_wait_dscnt 0x6
	v_pk_fma_f32 v[18:19], v[46:47], v[34:35], v[18:19] op_sel_hi:[1,0,1]
	ds_load_2addr_b32 v[46:47], v28 offset0:160 offset1:176
	s_wait_dscnt 0x6
	v_pk_fma_f32 v[22:23], v[48:49], v[30:31], v[22:23] op_sel:[0,1,0]
	v_pk_fma_f32 v[18:19], v[48:49], v[34:35], v[18:19] op_sel:[0,1,0]
	ds_load_2addr_b32 v[30:31], v28 offset0:192 offset1:208
	v_mov_b32_e32 v34, v37
	s_wait_dscnt 0x6
	v_pk_fma_f32 v[22:23], v[50:51], v[32:33], v[22:23] op_sel_hi:[1,0,1]
	v_pk_fma_f32 v[18:19], v[50:51], v[36:37], v[18:19] op_sel_hi:[1,0,1]
	ds_load_2addr_b32 v[32:33], v28 offset0:224 offset1:240
	s_wait_dscnt 0x0
	s_barrier_signal -1
	v_pk_fma_f32 v[22:23], v[52:53], v[16:17], v[22:23] op_sel_hi:[1,0,1]
	v_pk_fma_f32 v[18:19], v[52:53], v[34:35], v[18:19] op_sel_hi:[1,0,1]
	v_dual_mov_b32 v16, v41 :: v_dual_mov_b32 v34, v45
	s_barrier_wait -1
	s_delay_alu instid0(VALU_DEP_3) | instskip(NEXT) | instid1(VALU_DEP_3)
	v_pk_fma_f32 v[22:23], v[54:55], v[38:39], v[22:23] op_sel_hi:[1,0,1]
	v_pk_fma_f32 v[18:19], v[54:55], v[42:43], v[18:19] op_sel_hi:[1,0,1]
	s_delay_alu instid0(VALU_DEP_2) | instskip(NEXT) | instid1(VALU_DEP_2)
	v_pk_fma_f32 v[22:23], v[46:47], v[38:39], v[22:23] op_sel:[0,1,0]
	v_pk_fma_f32 v[18:19], v[46:47], v[42:43], v[18:19] op_sel:[0,1,0]
	s_delay_alu instid0(VALU_DEP_2) | instskip(NEXT) | instid1(VALU_DEP_2)
	v_pk_fma_f32 v[22:23], v[30:31], v[40:41], v[22:23] op_sel_hi:[1,0,1]
	v_pk_fma_f32 v[18:19], v[30:31], v[44:45], v[18:19] op_sel_hi:[1,0,1]
	s_delay_alu instid0(VALU_DEP_2) | instskip(NEXT) | instid1(VALU_DEP_2)
	v_pk_fma_f32 v[22:23], v[32:33], v[16:17], v[22:23] op_sel_hi:[1,0,1]
	v_pk_fma_f32 v[18:19], v[32:33], v[34:35], v[18:19] op_sel_hi:[1,0,1]
	s_cbranch_vccz .LBB434_15
.LBB434_9:                              ;   Parent Loop BB434_6 Depth=1
                                        ; =>  This Inner Loop Header: Depth=2
	v_mov_b32_e32 v30, 0
	s_and_saveexec_b32 s22, s0
	s_cbranch_execz .LBB434_13
; %bb.10:                               ;   in Loop: Header=BB434_9 Depth=2
	v_dual_add_nc_u32 v16, s16, v2 :: v_dual_mov_b32 v30, 0
	s_mov_b32 s23, exec_lo
	s_delay_alu instid0(VALU_DEP_1)
	v_cmpx_gt_u64_e64 s[8:9], v[16:17]
	s_cbranch_execz .LBB434_12
; %bb.11:                               ;   in Loop: Header=BB434_9 Depth=2
	v_mul_u64_e32 v[30:31], s[14:15], v[16:17]
	s_delay_alu instid0(VALU_DEP_1)
	v_lshl_add_u64 v[30:31], v[30:31], 2, v[24:25]
	flat_load_b32 v30, v[30:31]
.LBB434_12:                             ;   in Loop: Header=BB434_9 Depth=2
	s_wait_xcnt 0x0
	s_or_b32 exec_lo, exec_lo, s23
.LBB434_13:                             ;   in Loop: Header=BB434_9 Depth=2
	s_delay_alu instid0(SALU_CYCLE_1)
	s_or_b32 exec_lo, exec_lo, s22
	v_dual_mov_b32 v31, 0 :: v_dual_add_nc_u32 v16, s16, v0
	s_wait_loadcnt_dscnt 0x0
	ds_store_b32 v1, v30
	v_cmp_gt_u64_e32 vcc_lo, s[8:9], v[16:17]
	s_and_b32 s23, vcc_lo, s1
	s_delay_alu instid0(SALU_CYCLE_1)
	s_and_saveexec_b32 s22, s23
	s_cbranch_execz .LBB434_8
; %bb.14:                               ;   in Loop: Header=BB434_9 Depth=2
	v_mul_u64_e32 v[30:31], s[20:21], v[16:17]
	s_delay_alu instid0(VALU_DEP_1)
	v_lshl_add_u64 v[30:31], v[30:31], 2, v[26:27]
	flat_load_b32 v31, v[30:31]
	s_branch .LBB434_8
.LBB434_15:                             ;   in Loop: Header=BB434_6 Depth=1
	s_wait_loadcnt 0x0
	v_add_nc_u64_e32 v[20:21], s[10:11], v[20:21]
	s_delay_alu instid0(VALU_DEP_1)
	v_lshl_add_u64 v[24:25], v[8:9], 2, v[20:21]
	s_wait_xcnt 0x0
	s_and_saveexec_b32 s16, s28
	s_cbranch_execz .LBB434_19
; %bb.16:                               ;   in Loop: Header=BB434_6 Depth=1
	v_mul_f32_e32 v16, s34, v22
	v_lshl_add_u64 v[26:27], v[12:13], 2, v[24:25]
	s_and_b32 vcc_lo, exec_lo, s25
	s_cbranch_vccz .LBB434_30
; %bb.17:                               ;   in Loop: Header=BB434_6 Depth=1
	flat_load_b32 v22, v[26:27]
	s_wait_loadcnt_dscnt 0x0
	v_fma_f32 v22, s33, v22, v16
	flat_store_b32 v[26:27], v22
	s_cbranch_execnz .LBB434_19
.LBB434_18:                             ;   in Loop: Header=BB434_6 Depth=1
	flat_store_b32 v[26:27], v16
.LBB434_19:                             ;   in Loop: Header=BB434_6 Depth=1
	s_wait_xcnt 0x0
	s_or_b32 exec_lo, exec_lo, s16
	s_and_saveexec_b32 s16, s29
	s_cbranch_execz .LBB434_23
; %bb.20:                               ;   in Loop: Header=BB434_6 Depth=1
	v_mul_f32_e32 v16, s34, v23
	v_lshl_add_u64 v[22:23], v[14:15], 2, v[24:25]
	s_and_not1_b32 vcc_lo, exec_lo, s25
	s_cbranch_vccnz .LBB434_31
; %bb.21:                               ;   in Loop: Header=BB434_6 Depth=1
	flat_load_b32 v24, v[22:23]
	s_wait_loadcnt_dscnt 0x0
	v_fma_f32 v24, s33, v24, v16
	flat_store_b32 v[22:23], v24
	s_cbranch_execnz .LBB434_23
.LBB434_22:                             ;   in Loop: Header=BB434_6 Depth=1
	flat_store_b32 v[22:23], v16
.LBB434_23:                             ;   in Loop: Header=BB434_6 Depth=1
	s_wait_xcnt 0x0
	s_or_b32 exec_lo, exec_lo, s16
	v_lshl_add_u64 v[20:21], v[10:11], 2, v[20:21]
	s_and_saveexec_b32 s16, s35
	s_cbranch_execz .LBB434_27
; %bb.24:                               ;   in Loop: Header=BB434_6 Depth=1
	v_mul_f32_e32 v16, s34, v18
	s_delay_alu instid0(VALU_DEP_2)
	v_lshl_add_u64 v[22:23], v[12:13], 2, v[20:21]
	s_and_not1_b32 vcc_lo, exec_lo, s25
	s_cbranch_vccnz .LBB434_32
; %bb.25:                               ;   in Loop: Header=BB434_6 Depth=1
	flat_load_b32 v18, v[22:23]
	s_wait_loadcnt_dscnt 0x0
	v_fma_f32 v18, s33, v18, v16
	flat_store_b32 v[22:23], v18
	s_cbranch_execnz .LBB434_27
.LBB434_26:                             ;   in Loop: Header=BB434_6 Depth=1
	flat_store_b32 v[22:23], v16
.LBB434_27:                             ;   in Loop: Header=BB434_6 Depth=1
	s_wait_xcnt 0x0
	s_or_b32 exec_lo, exec_lo, s16
	s_and_saveexec_b32 s16, s36
	s_cbranch_execz .LBB434_5
; %bb.28:                               ;   in Loop: Header=BB434_6 Depth=1
	v_mul_f32_e32 v16, s34, v19
	v_lshl_add_u64 v[18:19], v[14:15], 2, v[20:21]
	s_and_not1_b32 vcc_lo, exec_lo, s25
	s_cbranch_vccnz .LBB434_33
; %bb.29:                               ;   in Loop: Header=BB434_6 Depth=1
	flat_load_b32 v20, v[18:19]
	s_wait_loadcnt_dscnt 0x0
	v_fma_f32 v20, s33, v20, v16
	flat_store_b32 v[18:19], v20
	s_cbranch_execnz .LBB434_5
	s_branch .LBB434_34
.LBB434_30:                             ;   in Loop: Header=BB434_6 Depth=1
	s_branch .LBB434_18
.LBB434_31:                             ;   in Loop: Header=BB434_6 Depth=1
	s_branch .LBB434_22
.LBB434_32:                             ;   in Loop: Header=BB434_6 Depth=1
	s_branch .LBB434_26
.LBB434_33:                             ;   in Loop: Header=BB434_6 Depth=1
.LBB434_34:                             ;   in Loop: Header=BB434_6 Depth=1
	flat_store_b32 v[18:19], v16
	s_branch .LBB434_5
.LBB434_35:
	s_endpgm
	.section	.rodata,"a",@progbits
	.p2align	6, 0x0
	.amdhsa_kernel _ZL29rocblas_internal_gemmt_kernelIlLi16ELi32ELi8ELc78ELc67ELc85ELb0ELb0EfPKfPKS1_PKPfEviT_T9_T10_S7_lS9_S7_lS8_T11_S7_li
		.amdhsa_group_segment_fixed_size 2048
		.amdhsa_private_segment_fixed_size 0
		.amdhsa_kernarg_size 108
		.amdhsa_user_sgpr_count 2
		.amdhsa_user_sgpr_dispatch_ptr 0
		.amdhsa_user_sgpr_queue_ptr 0
		.amdhsa_user_sgpr_kernarg_segment_ptr 1
		.amdhsa_user_sgpr_dispatch_id 0
		.amdhsa_user_sgpr_kernarg_preload_length 0
		.amdhsa_user_sgpr_kernarg_preload_offset 0
		.amdhsa_user_sgpr_private_segment_size 0
		.amdhsa_wavefront_size32 1
		.amdhsa_uses_dynamic_stack 0
		.amdhsa_enable_private_segment 0
		.amdhsa_system_sgpr_workgroup_id_x 1
		.amdhsa_system_sgpr_workgroup_id_y 1
		.amdhsa_system_sgpr_workgroup_id_z 1
		.amdhsa_system_sgpr_workgroup_info 0
		.amdhsa_system_vgpr_workitem_id 1
		.amdhsa_next_free_vgpr 56
		.amdhsa_next_free_sgpr 38
		.amdhsa_named_barrier_count 0
		.amdhsa_reserve_vcc 1
		.amdhsa_float_round_mode_32 0
		.amdhsa_float_round_mode_16_64 0
		.amdhsa_float_denorm_mode_32 3
		.amdhsa_float_denorm_mode_16_64 3
		.amdhsa_fp16_overflow 0
		.amdhsa_memory_ordered 1
		.amdhsa_forward_progress 1
		.amdhsa_inst_pref_size 13
		.amdhsa_round_robin_scheduling 0
		.amdhsa_exception_fp_ieee_invalid_op 0
		.amdhsa_exception_fp_denorm_src 0
		.amdhsa_exception_fp_ieee_div_zero 0
		.amdhsa_exception_fp_ieee_overflow 0
		.amdhsa_exception_fp_ieee_underflow 0
		.amdhsa_exception_fp_ieee_inexact 0
		.amdhsa_exception_int_div_zero 0
	.end_amdhsa_kernel
	.section	.text._ZL29rocblas_internal_gemmt_kernelIlLi16ELi32ELi8ELc78ELc67ELc85ELb0ELb0EfPKfPKS1_PKPfEviT_T9_T10_S7_lS9_S7_lS8_T11_S7_li,"axG",@progbits,_ZL29rocblas_internal_gemmt_kernelIlLi16ELi32ELi8ELc78ELc67ELc85ELb0ELb0EfPKfPKS1_PKPfEviT_T9_T10_S7_lS9_S7_lS8_T11_S7_li,comdat
.Lfunc_end434:
	.size	_ZL29rocblas_internal_gemmt_kernelIlLi16ELi32ELi8ELc78ELc67ELc85ELb0ELb0EfPKfPKS1_PKPfEviT_T9_T10_S7_lS9_S7_lS8_T11_S7_li, .Lfunc_end434-_ZL29rocblas_internal_gemmt_kernelIlLi16ELi32ELi8ELc78ELc67ELc85ELb0ELb0EfPKfPKS1_PKPfEviT_T9_T10_S7_lS9_S7_lS8_T11_S7_li
                                        ; -- End function
	.set _ZL29rocblas_internal_gemmt_kernelIlLi16ELi32ELi8ELc78ELc67ELc85ELb0ELb0EfPKfPKS1_PKPfEviT_T9_T10_S7_lS9_S7_lS8_T11_S7_li.num_vgpr, 56
	.set _ZL29rocblas_internal_gemmt_kernelIlLi16ELi32ELi8ELc78ELc67ELc85ELb0ELb0EfPKfPKS1_PKPfEviT_T9_T10_S7_lS9_S7_lS8_T11_S7_li.num_agpr, 0
	.set _ZL29rocblas_internal_gemmt_kernelIlLi16ELi32ELi8ELc78ELc67ELc85ELb0ELb0EfPKfPKS1_PKPfEviT_T9_T10_S7_lS9_S7_lS8_T11_S7_li.numbered_sgpr, 38
	.set _ZL29rocblas_internal_gemmt_kernelIlLi16ELi32ELi8ELc78ELc67ELc85ELb0ELb0EfPKfPKS1_PKPfEviT_T9_T10_S7_lS9_S7_lS8_T11_S7_li.num_named_barrier, 0
	.set _ZL29rocblas_internal_gemmt_kernelIlLi16ELi32ELi8ELc78ELc67ELc85ELb0ELb0EfPKfPKS1_PKPfEviT_T9_T10_S7_lS9_S7_lS8_T11_S7_li.private_seg_size, 0
	.set _ZL29rocblas_internal_gemmt_kernelIlLi16ELi32ELi8ELc78ELc67ELc85ELb0ELb0EfPKfPKS1_PKPfEviT_T9_T10_S7_lS9_S7_lS8_T11_S7_li.uses_vcc, 1
	.set _ZL29rocblas_internal_gemmt_kernelIlLi16ELi32ELi8ELc78ELc67ELc85ELb0ELb0EfPKfPKS1_PKPfEviT_T9_T10_S7_lS9_S7_lS8_T11_S7_li.uses_flat_scratch, 0
	.set _ZL29rocblas_internal_gemmt_kernelIlLi16ELi32ELi8ELc78ELc67ELc85ELb0ELb0EfPKfPKS1_PKPfEviT_T9_T10_S7_lS9_S7_lS8_T11_S7_li.has_dyn_sized_stack, 0
	.set _ZL29rocblas_internal_gemmt_kernelIlLi16ELi32ELi8ELc78ELc67ELc85ELb0ELb0EfPKfPKS1_PKPfEviT_T9_T10_S7_lS9_S7_lS8_T11_S7_li.has_recursion, 0
	.set _ZL29rocblas_internal_gemmt_kernelIlLi16ELi32ELi8ELc78ELc67ELc85ELb0ELb0EfPKfPKS1_PKPfEviT_T9_T10_S7_lS9_S7_lS8_T11_S7_li.has_indirect_call, 0
	.section	.AMDGPU.csdata,"",@progbits
; Kernel info:
; codeLenInByte = 1664
; TotalNumSgprs: 40
; NumVgprs: 56
; ScratchSize: 0
; MemoryBound: 0
; FloatMode: 240
; IeeeMode: 1
; LDSByteSize: 2048 bytes/workgroup (compile time only)
; SGPRBlocks: 0
; VGPRBlocks: 3
; NumSGPRsForWavesPerEU: 40
; NumVGPRsForWavesPerEU: 56
; NamedBarCnt: 0
; Occupancy: 16
; WaveLimiterHint : 1
; COMPUTE_PGM_RSRC2:SCRATCH_EN: 0
; COMPUTE_PGM_RSRC2:USER_SGPR: 2
; COMPUTE_PGM_RSRC2:TRAP_HANDLER: 0
; COMPUTE_PGM_RSRC2:TGID_X_EN: 1
; COMPUTE_PGM_RSRC2:TGID_Y_EN: 1
; COMPUTE_PGM_RSRC2:TGID_Z_EN: 1
; COMPUTE_PGM_RSRC2:TIDIG_COMP_CNT: 1
	.section	.text._ZL29rocblas_internal_gemmt_kernelIlLi16ELi32ELi8ELc84ELc78ELc85ELb0ELb0EfPKfPKS1_PKPfEviT_T9_T10_S7_lS9_S7_lS8_T11_S7_li,"axG",@progbits,_ZL29rocblas_internal_gemmt_kernelIlLi16ELi32ELi8ELc84ELc78ELc85ELb0ELb0EfPKfPKS1_PKPfEviT_T9_T10_S7_lS9_S7_lS8_T11_S7_li,comdat
	.globl	_ZL29rocblas_internal_gemmt_kernelIlLi16ELi32ELi8ELc84ELc78ELc85ELb0ELb0EfPKfPKS1_PKPfEviT_T9_T10_S7_lS9_S7_lS8_T11_S7_li ; -- Begin function _ZL29rocblas_internal_gemmt_kernelIlLi16ELi32ELi8ELc84ELc78ELc85ELb0ELb0EfPKfPKS1_PKPfEviT_T9_T10_S7_lS9_S7_lS8_T11_S7_li
	.p2align	8
	.type	_ZL29rocblas_internal_gemmt_kernelIlLi16ELi32ELi8ELc84ELc78ELc85ELb0ELb0EfPKfPKS1_PKPfEviT_T9_T10_S7_lS9_S7_lS8_T11_S7_li,@function
_ZL29rocblas_internal_gemmt_kernelIlLi16ELi32ELi8ELc84ELc78ELc85ELb0ELb0EfPKfPKS1_PKPfEviT_T9_T10_S7_lS9_S7_lS8_T11_S7_li: ; @_ZL29rocblas_internal_gemmt_kernelIlLi16ELi32ELi8ELc84ELc78ELc85ELb0ELb0EfPKfPKS1_PKPfEviT_T9_T10_S7_lS9_S7_lS8_T11_S7_li
; %bb.0:
	s_clause 0x1
	s_load_b256 s[24:31], s[0:1], 0x48
	s_load_b512 s[8:23], s[0:1], 0x8
	s_wait_kmcnt 0x0
	s_load_b32 s33, s[24:25], 0x0
	s_load_b32 s34, s[10:11], 0x0
	s_wait_kmcnt 0x0
	s_cmp_neq_f32 s33, 1.0
	s_cselect_b32 s2, -1, 0
	s_delay_alu instid0(SALU_CYCLE_1)
	s_and_b32 vcc_lo, exec_lo, s2
	s_cbranch_vccnz .LBB435_2
; %bb.1:
	s_cmp_lg_u64 s[8:9], 0
	s_cselect_b32 s2, -1, 0
	s_cmp_neq_f32 s34, 0
	s_cselect_b32 s3, -1, 0
	s_delay_alu instid0(SALU_CYCLE_1)
	s_and_b32 s2, s2, s3
.LBB435_2:
	s_delay_alu instid0(SALU_CYCLE_1)
	s_and_not1_b32 vcc_lo, exec_lo, s2
	s_cbranch_vccnz .LBB435_35
; %bb.3:
	s_load_b32 s24, s[0:1], 0x68
	s_bfe_u32 s2, ttmp6, 0x40014
	s_lshr_b32 s3, ttmp7, 16
	s_add_co_i32 s2, s2, 1
	s_bfe_u32 s5, ttmp6, 0x40008
	s_mul_i32 s4, s3, s2
	s_getreg_b32 s2, hwreg(HW_REG_IB_STS2, 6, 4)
	s_add_co_i32 s5, s5, s4
	s_cmp_eq_u32 s2, 0
	s_mov_b32 s7, 0
	s_cselect_b32 s6, s3, s5
	s_wait_kmcnt 0x0
	s_cmp_ge_u32 s6, s24
	s_cbranch_scc1 .LBB435_35
; %bb.4:
	s_load_b32 s3, s[0:1], 0x0
	s_wait_xcnt 0x0
	s_bfe_u32 s1, ttmp6, 0x4000c
	s_bfe_u32 s5, ttmp6, 0x40010
	s_and_b32 s4, ttmp7, 0xffff
	s_add_co_i32 s1, s1, 1
	s_add_co_i32 s5, s5, 1
	v_and_b32_e32 v20, 0x3ff, v0
	v_bfe_u32 v21, v0, 10, 10
	s_and_b32 s0, ttmp6, 15
	s_mul_i32 s1, ttmp9, s1
	s_mul_i32 s5, s4, s5
	s_bfe_u32 s10, ttmp6, 0x40004
	s_add_co_i32 s0, s0, s1
	s_add_co_i32 s10, s10, s5
	s_cmp_eq_u32 s2, 0
	v_lshl_add_u32 v1, v21, 4, v20
	s_cselect_b32 s0, ttmp9, s0
	s_cselect_b32 s1, s4, s10
	s_lshl_b32 s2, s0, 5
	s_lshl_b32 s0, s1, 5
	v_dual_lshrrev_b32 v2, 5, v1 :: v_dual_lshrrev_b32 v3, 3, v1
	v_and_b32_e32 v1, 31, v1
	v_dual_add_nc_u32 v16, s0, v21 :: v_dual_bitop2_b32 v0, 7, v0 bitop3:0x40
	s_cmp_neq_f32 s34, 0
	s_delay_alu instid0(VALU_DEP_2) | instskip(NEXT) | instid1(VALU_DEP_2)
	v_dual_add_nc_u32 v14, s0, v3 :: v_dual_bitop2_b32 v12, s2, v1 bitop3:0x54
	v_dual_add_nc_u32 v18, 16, v16 :: v_dual_ashrrev_i32 v17, 31, v16
	s_delay_alu instid0(VALU_DEP_2) | instskip(NEXT) | instid1(VALU_DEP_2)
	v_dual_lshlrev_b32 v1, 2, v1 :: v_dual_ashrrev_i32 v15, 31, v14
	v_dual_ashrrev_i32 v13, 31, v12 :: v_dual_ashrrev_i32 v19, 31, v18
	s_delay_alu instid0(VALU_DEP_3)
	v_mul_u64_e32 v[8:9], s[28:29], v[16:17]
	s_wait_kmcnt 0x0
	v_cmp_gt_i32_e64 s0, s3, v12
	v_mul_u64_e32 v[6:7], s[20:21], v[14:15]
	v_mul_u64_e32 v[4:5], s[14:15], v[12:13]
	v_lshlrev_b32_e32 v13, 2, v0
	v_mul_u64_e32 v[10:11], s[28:29], v[18:19]
	v_dual_add_nc_u32 v12, s2, v20 :: v_dual_lshlrev_b32 v28, 2, v20
	v_cmp_gt_i32_e64 s1, s3, v14
	v_cmp_gt_i32_e32 vcc_lo, s3, v16
	s_cselect_b32 s10, -1, 0
	v_cmp_le_i32_e64 s2, v12, v16
	v_add_nc_u32_e32 v14, 16, v12
	s_cmp_neq_f32 s33, 0
	v_lshl_or_b32 v3, v3, 5, v13
	v_cmp_gt_i64_e64 s11, s[8:9], 0
	v_cmp_gt_i32_e64 s3, s3, v18
	s_cselect_b32 s20, -1, 0
	s_and_b32 s21, vcc_lo, s2
	v_cmp_le_i32_e64 s4, v12, v18
	v_ashrrev_i32_e32 v13, 31, v12
	v_cmp_le_i32_e64 s2, v14, v16
	v_cmp_le_i32_e64 s5, v14, v18
	v_lshl_or_b32 v1, v2, 7, v1
	v_add_nc_u32_e32 v3, 0x400, v3
	v_lshl_add_u32 v29, v21, 5, 0x400
	v_dual_ashrrev_i32 v15, 31, v14 :: v_dual_mov_b32 v17, 0
	s_and_b32 s25, vcc_lo, s2
	s_and_b32 s28, s3, s4
	s_and_b32 s29, s3, s5
	;; [unrolled: 1-line block ×3, first 2 shown]
	s_lshl_b64 s[2:3], s[22:23], 2
	s_lshl_b64 s[4:5], s[16:17], 2
	;; [unrolled: 1-line block ×3, first 2 shown]
	s_branch .LBB435_6
.LBB435_5:                              ;   in Loop: Header=BB435_6 Depth=1
	s_wait_xcnt 0x0
	s_or_b32 exec_lo, exec_lo, s14
	s_add_co_i32 s6, s6, 0x10000
	s_delay_alu instid0(SALU_CYCLE_1)
	s_cmp_lt_u32 s6, s24
	s_cbranch_scc0 .LBB435_35
.LBB435_6:                              ; =>This Loop Header: Depth=1
                                        ;     Child Loop BB435_9 Depth 2
	v_dual_mov_b32 v16, s6 :: v_dual_mov_b32 v23, v17
	v_dual_mov_b32 v22, v17 :: v_dual_mov_b32 v19, v17
	v_mov_b32_e32 v18, v17
	global_load_b64 v[20:21], v16, s[26:27] scale_offset
	s_and_not1_b32 vcc_lo, exec_lo, s35
	s_cbranch_vccnz .LBB435_15
; %bb.7:                                ;   in Loop: Header=BB435_6 Depth=1
	s_lshl_b64 s[14:15], s[6:7], 3
	v_mov_b32_e32 v18, 0
	s_add_nc_u64 s[16:17], s[12:13], s[14:15]
	s_add_nc_u64 s[14:15], s[18:19], s[14:15]
	s_clause 0x1
	global_load_b64 v[22:23], v17, s[16:17]
	global_load_b64 v[24:25], v17, s[14:15]
	s_wait_xcnt 0x0
	s_mov_b64 s[14:15], 0
	v_mov_b32_e32 v19, v18
	s_wait_loadcnt 0x1
	v_add_nc_u64_e32 v[26:27], s[4:5], v[22:23]
	s_wait_loadcnt 0x0
	v_add_nc_u64_e32 v[30:31], s[2:3], v[24:25]
	v_dual_mov_b32 v22, v18 :: v_dual_mov_b32 v23, v18
	s_delay_alu instid0(VALU_DEP_3) | instskip(NEXT) | instid1(VALU_DEP_3)
	v_lshl_add_u64 v[24:25], v[4:5], 2, v[26:27]
	v_lshl_add_u64 v[26:27], v[6:7], 2, v[30:31]
	s_branch .LBB435_9
.LBB435_8:                              ;   in Loop: Header=BB435_9 Depth=2
	s_wait_xcnt 0x0
	s_or_b32 exec_lo, exec_lo, s16
	s_wait_loadcnt_dscnt 0x0
	ds_store_b32 v3, v31
	s_wait_dscnt 0x0
	s_barrier_signal -1
	s_barrier_wait -1
	ds_load_b128 v[30:33], v29
	ds_load_2addr_b32 v[46:47], v28 offset1:16
	ds_load_b128 v[34:37], v29 offset:512
	ds_load_2addr_b32 v[48:49], v28 offset0:32 offset1:48
	ds_load_2addr_b32 v[50:51], v28 offset0:64 offset1:80
	ds_load_2addr_b32 v[52:53], v28 offset0:96 offset1:112
	ds_load_b128 v[38:41], v29 offset:16
	ds_load_2addr_b32 v[54:55], v28 offset0:128 offset1:144
	ds_load_b128 v[42:45], v29 offset:528
	s_add_nc_u64 s[14:15], s[14:15], 8
	s_delay_alu instid0(SALU_CYCLE_1)
	v_cmp_gt_i64_e64 s16, s[8:9], s[14:15]
	s_and_b32 vcc_lo, exec_lo, s16
	s_wait_dscnt 0x8
	v_mov_b32_e32 v16, v33
	s_wait_dscnt 0x7
	v_pk_fma_f32 v[22:23], v[46:47], v[30:31], v[22:23] op_sel_hi:[1,0,1]
	s_wait_dscnt 0x6
	v_pk_fma_f32 v[18:19], v[46:47], v[34:35], v[18:19] op_sel_hi:[1,0,1]
	ds_load_2addr_b32 v[46:47], v28 offset0:160 offset1:176
	s_wait_dscnt 0x6
	v_pk_fma_f32 v[22:23], v[48:49], v[30:31], v[22:23] op_sel:[0,1,0]
	v_pk_fma_f32 v[18:19], v[48:49], v[34:35], v[18:19] op_sel:[0,1,0]
	ds_load_2addr_b32 v[30:31], v28 offset0:192 offset1:208
	v_mov_b32_e32 v34, v37
	s_wait_dscnt 0x6
	v_pk_fma_f32 v[22:23], v[50:51], v[32:33], v[22:23] op_sel_hi:[1,0,1]
	v_pk_fma_f32 v[18:19], v[50:51], v[36:37], v[18:19] op_sel_hi:[1,0,1]
	ds_load_2addr_b32 v[32:33], v28 offset0:224 offset1:240
	s_wait_dscnt 0x0
	s_barrier_signal -1
	v_pk_fma_f32 v[22:23], v[52:53], v[16:17], v[22:23] op_sel_hi:[1,0,1]
	v_pk_fma_f32 v[18:19], v[52:53], v[34:35], v[18:19] op_sel_hi:[1,0,1]
	v_dual_mov_b32 v16, v41 :: v_dual_mov_b32 v34, v45
	s_barrier_wait -1
	s_delay_alu instid0(VALU_DEP_3) | instskip(NEXT) | instid1(VALU_DEP_3)
	v_pk_fma_f32 v[22:23], v[54:55], v[38:39], v[22:23] op_sel_hi:[1,0,1]
	v_pk_fma_f32 v[18:19], v[54:55], v[42:43], v[18:19] op_sel_hi:[1,0,1]
	s_delay_alu instid0(VALU_DEP_2) | instskip(NEXT) | instid1(VALU_DEP_2)
	v_pk_fma_f32 v[22:23], v[46:47], v[38:39], v[22:23] op_sel:[0,1,0]
	v_pk_fma_f32 v[18:19], v[46:47], v[42:43], v[18:19] op_sel:[0,1,0]
	s_delay_alu instid0(VALU_DEP_2) | instskip(NEXT) | instid1(VALU_DEP_2)
	v_pk_fma_f32 v[22:23], v[30:31], v[40:41], v[22:23] op_sel_hi:[1,0,1]
	v_pk_fma_f32 v[18:19], v[30:31], v[44:45], v[18:19] op_sel_hi:[1,0,1]
	s_delay_alu instid0(VALU_DEP_2) | instskip(NEXT) | instid1(VALU_DEP_2)
	v_pk_fma_f32 v[22:23], v[32:33], v[16:17], v[22:23] op_sel_hi:[1,0,1]
	v_pk_fma_f32 v[18:19], v[32:33], v[34:35], v[18:19] op_sel_hi:[1,0,1]
	s_cbranch_vccz .LBB435_15
.LBB435_9:                              ;   Parent Loop BB435_6 Depth=1
                                        ; =>  This Inner Loop Header: Depth=2
	v_mov_b32_e32 v30, 0
	s_and_saveexec_b32 s16, s0
	s_cbranch_execz .LBB435_13
; %bb.10:                               ;   in Loop: Header=BB435_9 Depth=2
	v_dual_add_nc_u32 v16, s14, v2 :: v_dual_mov_b32 v30, 0
	s_mov_b32 s17, exec_lo
	s_delay_alu instid0(VALU_DEP_1)
	v_cmpx_gt_u64_e64 s[8:9], v[16:17]
	s_cbranch_execz .LBB435_12
; %bb.11:                               ;   in Loop: Header=BB435_9 Depth=2
	v_lshl_add_u64 v[30:31], v[16:17], 2, v[24:25]
	flat_load_b32 v30, v[30:31]
.LBB435_12:                             ;   in Loop: Header=BB435_9 Depth=2
	s_wait_xcnt 0x0
	s_or_b32 exec_lo, exec_lo, s17
.LBB435_13:                             ;   in Loop: Header=BB435_9 Depth=2
	s_delay_alu instid0(SALU_CYCLE_1)
	s_or_b32 exec_lo, exec_lo, s16
	v_dual_mov_b32 v31, 0 :: v_dual_add_nc_u32 v16, s14, v0
	s_wait_loadcnt_dscnt 0x0
	ds_store_b32 v1, v30
	v_cmp_gt_u64_e32 vcc_lo, s[8:9], v[16:17]
	s_and_b32 s17, vcc_lo, s1
	s_delay_alu instid0(SALU_CYCLE_1)
	s_and_saveexec_b32 s16, s17
	s_cbranch_execz .LBB435_8
; %bb.14:                               ;   in Loop: Header=BB435_9 Depth=2
	v_lshl_add_u64 v[30:31], v[16:17], 2, v[26:27]
	flat_load_b32 v31, v[30:31]
	s_branch .LBB435_8
.LBB435_15:                             ;   in Loop: Header=BB435_6 Depth=1
	s_wait_loadcnt 0x0
	v_add_nc_u64_e32 v[20:21], s[10:11], v[20:21]
	s_delay_alu instid0(VALU_DEP_1)
	v_lshl_add_u64 v[24:25], v[8:9], 2, v[20:21]
	s_wait_xcnt 0x0
	s_and_saveexec_b32 s14, s21
	s_cbranch_execz .LBB435_19
; %bb.16:                               ;   in Loop: Header=BB435_6 Depth=1
	v_mul_f32_e32 v16, s34, v22
	v_lshl_add_u64 v[26:27], v[12:13], 2, v[24:25]
	s_and_b32 vcc_lo, exec_lo, s20
	s_cbranch_vccz .LBB435_30
; %bb.17:                               ;   in Loop: Header=BB435_6 Depth=1
	flat_load_b32 v22, v[26:27]
	s_wait_loadcnt_dscnt 0x0
	v_fma_f32 v22, s33, v22, v16
	flat_store_b32 v[26:27], v22
	s_cbranch_execnz .LBB435_19
.LBB435_18:                             ;   in Loop: Header=BB435_6 Depth=1
	flat_store_b32 v[26:27], v16
.LBB435_19:                             ;   in Loop: Header=BB435_6 Depth=1
	s_wait_xcnt 0x0
	s_or_b32 exec_lo, exec_lo, s14
	s_and_saveexec_b32 s14, s25
	s_cbranch_execz .LBB435_23
; %bb.20:                               ;   in Loop: Header=BB435_6 Depth=1
	v_mul_f32_e32 v16, s34, v23
	v_lshl_add_u64 v[22:23], v[14:15], 2, v[24:25]
	s_and_not1_b32 vcc_lo, exec_lo, s20
	s_cbranch_vccnz .LBB435_31
; %bb.21:                               ;   in Loop: Header=BB435_6 Depth=1
	flat_load_b32 v24, v[22:23]
	s_wait_loadcnt_dscnt 0x0
	v_fma_f32 v24, s33, v24, v16
	flat_store_b32 v[22:23], v24
	s_cbranch_execnz .LBB435_23
.LBB435_22:                             ;   in Loop: Header=BB435_6 Depth=1
	flat_store_b32 v[22:23], v16
.LBB435_23:                             ;   in Loop: Header=BB435_6 Depth=1
	s_wait_xcnt 0x0
	s_or_b32 exec_lo, exec_lo, s14
	v_lshl_add_u64 v[20:21], v[10:11], 2, v[20:21]
	s_and_saveexec_b32 s14, s28
	s_cbranch_execz .LBB435_27
; %bb.24:                               ;   in Loop: Header=BB435_6 Depth=1
	v_mul_f32_e32 v16, s34, v18
	s_delay_alu instid0(VALU_DEP_2)
	v_lshl_add_u64 v[22:23], v[12:13], 2, v[20:21]
	s_and_not1_b32 vcc_lo, exec_lo, s20
	s_cbranch_vccnz .LBB435_32
; %bb.25:                               ;   in Loop: Header=BB435_6 Depth=1
	flat_load_b32 v18, v[22:23]
	s_wait_loadcnt_dscnt 0x0
	v_fma_f32 v18, s33, v18, v16
	flat_store_b32 v[22:23], v18
	s_cbranch_execnz .LBB435_27
.LBB435_26:                             ;   in Loop: Header=BB435_6 Depth=1
	flat_store_b32 v[22:23], v16
.LBB435_27:                             ;   in Loop: Header=BB435_6 Depth=1
	s_wait_xcnt 0x0
	s_or_b32 exec_lo, exec_lo, s14
	s_and_saveexec_b32 s14, s29
	s_cbranch_execz .LBB435_5
; %bb.28:                               ;   in Loop: Header=BB435_6 Depth=1
	v_mul_f32_e32 v16, s34, v19
	v_lshl_add_u64 v[18:19], v[14:15], 2, v[20:21]
	s_and_not1_b32 vcc_lo, exec_lo, s20
	s_cbranch_vccnz .LBB435_33
; %bb.29:                               ;   in Loop: Header=BB435_6 Depth=1
	flat_load_b32 v20, v[18:19]
	s_wait_loadcnt_dscnt 0x0
	v_fma_f32 v20, s33, v20, v16
	flat_store_b32 v[18:19], v20
	s_cbranch_execnz .LBB435_5
	s_branch .LBB435_34
.LBB435_30:                             ;   in Loop: Header=BB435_6 Depth=1
	s_branch .LBB435_18
.LBB435_31:                             ;   in Loop: Header=BB435_6 Depth=1
	s_branch .LBB435_22
.LBB435_32:                             ;   in Loop: Header=BB435_6 Depth=1
	s_branch .LBB435_26
.LBB435_33:                             ;   in Loop: Header=BB435_6 Depth=1
.LBB435_34:                             ;   in Loop: Header=BB435_6 Depth=1
	flat_store_b32 v[18:19], v16
	s_branch .LBB435_5
.LBB435_35:
	s_endpgm
	.section	.rodata,"a",@progbits
	.p2align	6, 0x0
	.amdhsa_kernel _ZL29rocblas_internal_gemmt_kernelIlLi16ELi32ELi8ELc84ELc78ELc85ELb0ELb0EfPKfPKS1_PKPfEviT_T9_T10_S7_lS9_S7_lS8_T11_S7_li
		.amdhsa_group_segment_fixed_size 2048
		.amdhsa_private_segment_fixed_size 0
		.amdhsa_kernarg_size 108
		.amdhsa_user_sgpr_count 2
		.amdhsa_user_sgpr_dispatch_ptr 0
		.amdhsa_user_sgpr_queue_ptr 0
		.amdhsa_user_sgpr_kernarg_segment_ptr 1
		.amdhsa_user_sgpr_dispatch_id 0
		.amdhsa_user_sgpr_kernarg_preload_length 0
		.amdhsa_user_sgpr_kernarg_preload_offset 0
		.amdhsa_user_sgpr_private_segment_size 0
		.amdhsa_wavefront_size32 1
		.amdhsa_uses_dynamic_stack 0
		.amdhsa_enable_private_segment 0
		.amdhsa_system_sgpr_workgroup_id_x 1
		.amdhsa_system_sgpr_workgroup_id_y 1
		.amdhsa_system_sgpr_workgroup_id_z 1
		.amdhsa_system_sgpr_workgroup_info 0
		.amdhsa_system_vgpr_workitem_id 1
		.amdhsa_next_free_vgpr 56
		.amdhsa_next_free_sgpr 36
		.amdhsa_named_barrier_count 0
		.amdhsa_reserve_vcc 1
		.amdhsa_float_round_mode_32 0
		.amdhsa_float_round_mode_16_64 0
		.amdhsa_float_denorm_mode_32 3
		.amdhsa_float_denorm_mode_16_64 3
		.amdhsa_fp16_overflow 0
		.amdhsa_memory_ordered 1
		.amdhsa_forward_progress 1
		.amdhsa_inst_pref_size 13
		.amdhsa_round_robin_scheduling 0
		.amdhsa_exception_fp_ieee_invalid_op 0
		.amdhsa_exception_fp_denorm_src 0
		.amdhsa_exception_fp_ieee_div_zero 0
		.amdhsa_exception_fp_ieee_overflow 0
		.amdhsa_exception_fp_ieee_underflow 0
		.amdhsa_exception_fp_ieee_inexact 0
		.amdhsa_exception_int_div_zero 0
	.end_amdhsa_kernel
	.section	.text._ZL29rocblas_internal_gemmt_kernelIlLi16ELi32ELi8ELc84ELc78ELc85ELb0ELb0EfPKfPKS1_PKPfEviT_T9_T10_S7_lS9_S7_lS8_T11_S7_li,"axG",@progbits,_ZL29rocblas_internal_gemmt_kernelIlLi16ELi32ELi8ELc84ELc78ELc85ELb0ELb0EfPKfPKS1_PKPfEviT_T9_T10_S7_lS9_S7_lS8_T11_S7_li,comdat
.Lfunc_end435:
	.size	_ZL29rocblas_internal_gemmt_kernelIlLi16ELi32ELi8ELc84ELc78ELc85ELb0ELb0EfPKfPKS1_PKPfEviT_T9_T10_S7_lS9_S7_lS8_T11_S7_li, .Lfunc_end435-_ZL29rocblas_internal_gemmt_kernelIlLi16ELi32ELi8ELc84ELc78ELc85ELb0ELb0EfPKfPKS1_PKPfEviT_T9_T10_S7_lS9_S7_lS8_T11_S7_li
                                        ; -- End function
	.set _ZL29rocblas_internal_gemmt_kernelIlLi16ELi32ELi8ELc84ELc78ELc85ELb0ELb0EfPKfPKS1_PKPfEviT_T9_T10_S7_lS9_S7_lS8_T11_S7_li.num_vgpr, 56
	.set _ZL29rocblas_internal_gemmt_kernelIlLi16ELi32ELi8ELc84ELc78ELc85ELb0ELb0EfPKfPKS1_PKPfEviT_T9_T10_S7_lS9_S7_lS8_T11_S7_li.num_agpr, 0
	.set _ZL29rocblas_internal_gemmt_kernelIlLi16ELi32ELi8ELc84ELc78ELc85ELb0ELb0EfPKfPKS1_PKPfEviT_T9_T10_S7_lS9_S7_lS8_T11_S7_li.numbered_sgpr, 36
	.set _ZL29rocblas_internal_gemmt_kernelIlLi16ELi32ELi8ELc84ELc78ELc85ELb0ELb0EfPKfPKS1_PKPfEviT_T9_T10_S7_lS9_S7_lS8_T11_S7_li.num_named_barrier, 0
	.set _ZL29rocblas_internal_gemmt_kernelIlLi16ELi32ELi8ELc84ELc78ELc85ELb0ELb0EfPKfPKS1_PKPfEviT_T9_T10_S7_lS9_S7_lS8_T11_S7_li.private_seg_size, 0
	.set _ZL29rocblas_internal_gemmt_kernelIlLi16ELi32ELi8ELc84ELc78ELc85ELb0ELb0EfPKfPKS1_PKPfEviT_T9_T10_S7_lS9_S7_lS8_T11_S7_li.uses_vcc, 1
	.set _ZL29rocblas_internal_gemmt_kernelIlLi16ELi32ELi8ELc84ELc78ELc85ELb0ELb0EfPKfPKS1_PKPfEviT_T9_T10_S7_lS9_S7_lS8_T11_S7_li.uses_flat_scratch, 0
	.set _ZL29rocblas_internal_gemmt_kernelIlLi16ELi32ELi8ELc84ELc78ELc85ELb0ELb0EfPKfPKS1_PKPfEviT_T9_T10_S7_lS9_S7_lS8_T11_S7_li.has_dyn_sized_stack, 0
	.set _ZL29rocblas_internal_gemmt_kernelIlLi16ELi32ELi8ELc84ELc78ELc85ELb0ELb0EfPKfPKS1_PKPfEviT_T9_T10_S7_lS9_S7_lS8_T11_S7_li.has_recursion, 0
	.set _ZL29rocblas_internal_gemmt_kernelIlLi16ELi32ELi8ELc84ELc78ELc85ELb0ELb0EfPKfPKS1_PKPfEviT_T9_T10_S7_lS9_S7_lS8_T11_S7_li.has_indirect_call, 0
	.section	.AMDGPU.csdata,"",@progbits
; Kernel info:
; codeLenInByte = 1652
; TotalNumSgprs: 38
; NumVgprs: 56
; ScratchSize: 0
; MemoryBound: 0
; FloatMode: 240
; IeeeMode: 1
; LDSByteSize: 2048 bytes/workgroup (compile time only)
; SGPRBlocks: 0
; VGPRBlocks: 3
; NumSGPRsForWavesPerEU: 38
; NumVGPRsForWavesPerEU: 56
; NamedBarCnt: 0
; Occupancy: 16
; WaveLimiterHint : 1
; COMPUTE_PGM_RSRC2:SCRATCH_EN: 0
; COMPUTE_PGM_RSRC2:USER_SGPR: 2
; COMPUTE_PGM_RSRC2:TRAP_HANDLER: 0
; COMPUTE_PGM_RSRC2:TGID_X_EN: 1
; COMPUTE_PGM_RSRC2:TGID_Y_EN: 1
; COMPUTE_PGM_RSRC2:TGID_Z_EN: 1
; COMPUTE_PGM_RSRC2:TIDIG_COMP_CNT: 1
	.section	.text._ZL29rocblas_internal_gemmt_kernelIlLi16ELi32ELi8ELc84ELc84ELc85ELb0ELb0EfPKfPKS1_PKPfEviT_T9_T10_S7_lS9_S7_lS8_T11_S7_li,"axG",@progbits,_ZL29rocblas_internal_gemmt_kernelIlLi16ELi32ELi8ELc84ELc84ELc85ELb0ELb0EfPKfPKS1_PKPfEviT_T9_T10_S7_lS9_S7_lS8_T11_S7_li,comdat
	.globl	_ZL29rocblas_internal_gemmt_kernelIlLi16ELi32ELi8ELc84ELc84ELc85ELb0ELb0EfPKfPKS1_PKPfEviT_T9_T10_S7_lS9_S7_lS8_T11_S7_li ; -- Begin function _ZL29rocblas_internal_gemmt_kernelIlLi16ELi32ELi8ELc84ELc84ELc85ELb0ELb0EfPKfPKS1_PKPfEviT_T9_T10_S7_lS9_S7_lS8_T11_S7_li
	.p2align	8
	.type	_ZL29rocblas_internal_gemmt_kernelIlLi16ELi32ELi8ELc84ELc84ELc85ELb0ELb0EfPKfPKS1_PKPfEviT_T9_T10_S7_lS9_S7_lS8_T11_S7_li,@function
_ZL29rocblas_internal_gemmt_kernelIlLi16ELi32ELi8ELc84ELc84ELc85ELb0ELb0EfPKfPKS1_PKPfEviT_T9_T10_S7_lS9_S7_lS8_T11_S7_li: ; @_ZL29rocblas_internal_gemmt_kernelIlLi16ELi32ELi8ELc84ELc84ELc85ELb0ELb0EfPKfPKS1_PKPfEviT_T9_T10_S7_lS9_S7_lS8_T11_S7_li
; %bb.0:
	s_clause 0x1
	s_load_b256 s[24:31], s[0:1], 0x48
	s_load_b512 s[8:23], s[0:1], 0x8
	s_wait_kmcnt 0x0
	s_load_b32 s33, s[24:25], 0x0
	s_load_b32 s34, s[10:11], 0x0
	s_wait_kmcnt 0x0
	s_cmp_neq_f32 s33, 1.0
	s_cselect_b32 s2, -1, 0
	s_delay_alu instid0(SALU_CYCLE_1)
	s_and_b32 vcc_lo, exec_lo, s2
	s_cbranch_vccnz .LBB436_2
; %bb.1:
	s_cmp_lg_u64 s[8:9], 0
	s_cselect_b32 s2, -1, 0
	s_cmp_neq_f32 s34, 0
	s_cselect_b32 s3, -1, 0
	s_delay_alu instid0(SALU_CYCLE_1)
	s_and_b32 s2, s2, s3
.LBB436_2:
	s_delay_alu instid0(SALU_CYCLE_1)
	s_and_not1_b32 vcc_lo, exec_lo, s2
	s_cbranch_vccnz .LBB436_35
; %bb.3:
	s_load_b32 s24, s[0:1], 0x68
	s_bfe_u32 s2, ttmp6, 0x40014
	s_lshr_b32 s3, ttmp7, 16
	s_add_co_i32 s2, s2, 1
	s_bfe_u32 s5, ttmp6, 0x40008
	s_mul_i32 s4, s3, s2
	s_getreg_b32 s2, hwreg(HW_REG_IB_STS2, 6, 4)
	s_add_co_i32 s5, s5, s4
	s_cmp_eq_u32 s2, 0
	s_mov_b32 s7, 0
	s_cselect_b32 s6, s3, s5
	s_wait_kmcnt 0x0
	s_cmp_ge_u32 s6, s24
	s_cbranch_scc1 .LBB436_35
; %bb.4:
	s_load_b32 s3, s[0:1], 0x0
	s_wait_xcnt 0x0
	s_bfe_u32 s1, ttmp6, 0x4000c
	s_bfe_u32 s5, ttmp6, 0x40010
	s_and_b32 s4, ttmp7, 0xffff
	s_add_co_i32 s1, s1, 1
	s_add_co_i32 s5, s5, 1
	v_and_b32_e32 v15, 0x3ff, v0
	v_bfe_u32 v20, v0, 10, 10
	s_and_b32 s0, ttmp6, 15
	s_mul_i32 s1, ttmp9, s1
	s_mul_i32 s5, s4, s5
	s_bfe_u32 s10, ttmp6, 0x40004
	s_add_co_i32 s0, s0, s1
	s_add_co_i32 s10, s10, s5
	s_cmp_eq_u32 s2, 0
	v_lshl_add_u32 v1, v20, 4, v15
	s_cselect_b32 s1, s4, s10
	s_cselect_b32 s0, ttmp9, s0
	s_lshl_b32 s1, s1, 5
	s_delay_alu instid0(VALU_DEP_1) | instskip(SKIP_3) | instid1(VALU_DEP_2)
	v_dual_lshrrev_b32 v2, 5, v1 :: v_dual_bitop2_b32 v0, 7, v0 bitop3:0x40
	v_dual_lshrrev_b32 v1, 3, v1 :: v_dual_bitop2_b32 v3, 31, v1 bitop3:0x40
	s_lshl_b32 s2, s0, 5
	v_add_nc_u32_e32 v16, s1, v20
	v_dual_lshlrev_b32 v5, 2, v0 :: v_dual_bitop2_b32 v12, s2, v3 bitop3:0x54
	s_delay_alu instid0(VALU_DEP_3) | instskip(NEXT) | instid1(VALU_DEP_3)
	v_dual_add_nc_u32 v4, s1, v1 :: v_dual_lshlrev_b32 v3, 2, v3
	v_dual_ashrrev_i32 v17, 31, v16 :: v_dual_add_nc_u32 v18, 16, v16
	s_delay_alu instid0(VALU_DEP_3)
	v_ashrrev_i32_e32 v13, 31, v12
	s_wait_kmcnt 0x0
	v_cmp_gt_i32_e64 s0, s3, v12
	s_cmp_neq_f32 s34, 0
	v_mul_u64_e32 v[8:9], s[28:29], v[16:17]
	v_ashrrev_i32_e32 v19, 31, v18
	v_mul_u64_e32 v[6:7], s[14:15], v[12:13]
	v_add_nc_u32_e32 v12, s2, v15
	v_cmp_gt_i32_e32 vcc_lo, s3, v16
	s_cselect_b32 s10, -1, 0
	v_mul_u64_e32 v[10:11], s[28:29], v[18:19]
	s_cmp_neq_f32 s33, 0
	v_cmp_le_i32_e64 s2, v12, v16
	v_dual_add_nc_u32 v14, 16, v12 :: v_dual_ashrrev_i32 v13, 31, v12
	v_lshl_or_b32 v5, v1, 5, v5
	v_cmp_gt_i64_e64 s11, s[8:9], 0
	v_cmp_gt_i32_e64 s1, s3, v4
	s_cselect_b32 s25, -1, 0
	s_and_b32 s28, vcc_lo, s2
	v_cmp_le_i32_e64 s2, v14, v16
	v_cmp_gt_i32_e64 s3, s3, v18
	v_cmp_le_i32_e64 s4, v12, v18
	v_cmp_le_i32_e64 s5, v14, v18
	v_lshl_or_b32 v1, v2, 7, v3
	v_add_nc_u32_e32 v3, 0x400, v5
	v_dual_ashrrev_i32 v5, 31, v4 :: v_dual_lshlrev_b32 v28, 2, v15
	v_lshl_add_u32 v29, v20, 5, 0x400
	v_dual_ashrrev_i32 v15, 31, v14 :: v_dual_mov_b32 v17, 0
	s_and_b32 s29, vcc_lo, s2
	s_and_b32 s35, s3, s4
	s_and_b32 s36, s3, s5
	;; [unrolled: 1-line block ×3, first 2 shown]
	s_lshl_b64 s[2:3], s[22:23], 2
	s_lshl_b64 s[4:5], s[16:17], 2
	;; [unrolled: 1-line block ×3, first 2 shown]
	s_branch .LBB436_6
.LBB436_5:                              ;   in Loop: Header=BB436_6 Depth=1
	s_wait_xcnt 0x0
	s_or_b32 exec_lo, exec_lo, s14
	s_add_co_i32 s6, s6, 0x10000
	s_delay_alu instid0(SALU_CYCLE_1)
	s_cmp_lt_u32 s6, s24
	s_cbranch_scc0 .LBB436_35
.LBB436_6:                              ; =>This Loop Header: Depth=1
                                        ;     Child Loop BB436_9 Depth 2
	v_dual_mov_b32 v16, s6 :: v_dual_mov_b32 v23, v17
	v_dual_mov_b32 v22, v17 :: v_dual_mov_b32 v19, v17
	v_mov_b32_e32 v18, v17
	global_load_b64 v[20:21], v16, s[26:27] scale_offset
	s_and_not1_b32 vcc_lo, exec_lo, s37
	s_cbranch_vccnz .LBB436_15
; %bb.7:                                ;   in Loop: Header=BB436_6 Depth=1
	s_lshl_b64 s[14:15], s[6:7], 3
	v_mov_b32_e32 v18, 0
	s_add_nc_u64 s[16:17], s[12:13], s[14:15]
	s_add_nc_u64 s[14:15], s[18:19], s[14:15]
	s_clause 0x1
	global_load_b64 v[22:23], v17, s[16:17]
	global_load_b64 v[24:25], v17, s[14:15]
	s_wait_xcnt 0x0
	s_mov_b64 s[14:15], 0
	v_mov_b32_e32 v19, v18
	s_wait_loadcnt 0x1
	v_add_nc_u64_e32 v[26:27], s[4:5], v[22:23]
	s_wait_loadcnt 0x0
	v_add_nc_u64_e32 v[30:31], s[2:3], v[24:25]
	v_dual_mov_b32 v22, v18 :: v_dual_mov_b32 v23, v18
	s_delay_alu instid0(VALU_DEP_3) | instskip(NEXT) | instid1(VALU_DEP_3)
	v_lshl_add_u64 v[24:25], v[6:7], 2, v[26:27]
	v_lshl_add_u64 v[26:27], v[4:5], 2, v[30:31]
	s_branch .LBB436_9
.LBB436_8:                              ;   in Loop: Header=BB436_9 Depth=2
	s_wait_xcnt 0x0
	s_or_b32 exec_lo, exec_lo, s16
	s_wait_loadcnt_dscnt 0x0
	ds_store_b32 v3, v31
	s_wait_dscnt 0x0
	s_barrier_signal -1
	s_barrier_wait -1
	ds_load_b128 v[30:33], v29
	ds_load_2addr_b32 v[46:47], v28 offset1:16
	ds_load_b128 v[34:37], v29 offset:512
	ds_load_2addr_b32 v[48:49], v28 offset0:32 offset1:48
	ds_load_2addr_b32 v[50:51], v28 offset0:64 offset1:80
	;; [unrolled: 1-line block ×3, first 2 shown]
	ds_load_b128 v[38:41], v29 offset:16
	ds_load_2addr_b32 v[54:55], v28 offset0:128 offset1:144
	ds_load_b128 v[42:45], v29 offset:528
	s_add_nc_u64 s[14:15], s[14:15], 8
	s_delay_alu instid0(SALU_CYCLE_1)
	v_cmp_gt_i64_e64 s16, s[8:9], s[14:15]
	s_and_b32 vcc_lo, exec_lo, s16
	s_wait_dscnt 0x8
	v_mov_b32_e32 v16, v33
	s_wait_dscnt 0x7
	v_pk_fma_f32 v[22:23], v[46:47], v[30:31], v[22:23] op_sel_hi:[1,0,1]
	s_wait_dscnt 0x6
	v_pk_fma_f32 v[18:19], v[46:47], v[34:35], v[18:19] op_sel_hi:[1,0,1]
	ds_load_2addr_b32 v[46:47], v28 offset0:160 offset1:176
	s_wait_dscnt 0x6
	v_pk_fma_f32 v[22:23], v[48:49], v[30:31], v[22:23] op_sel:[0,1,0]
	v_pk_fma_f32 v[18:19], v[48:49], v[34:35], v[18:19] op_sel:[0,1,0]
	ds_load_2addr_b32 v[30:31], v28 offset0:192 offset1:208
	v_mov_b32_e32 v34, v37
	s_wait_dscnt 0x6
	v_pk_fma_f32 v[22:23], v[50:51], v[32:33], v[22:23] op_sel_hi:[1,0,1]
	v_pk_fma_f32 v[18:19], v[50:51], v[36:37], v[18:19] op_sel_hi:[1,0,1]
	ds_load_2addr_b32 v[32:33], v28 offset0:224 offset1:240
	s_wait_dscnt 0x0
	s_barrier_signal -1
	v_pk_fma_f32 v[22:23], v[52:53], v[16:17], v[22:23] op_sel_hi:[1,0,1]
	v_pk_fma_f32 v[18:19], v[52:53], v[34:35], v[18:19] op_sel_hi:[1,0,1]
	v_dual_mov_b32 v16, v41 :: v_dual_mov_b32 v34, v45
	s_barrier_wait -1
	s_delay_alu instid0(VALU_DEP_3) | instskip(NEXT) | instid1(VALU_DEP_3)
	v_pk_fma_f32 v[22:23], v[54:55], v[38:39], v[22:23] op_sel_hi:[1,0,1]
	v_pk_fma_f32 v[18:19], v[54:55], v[42:43], v[18:19] op_sel_hi:[1,0,1]
	s_delay_alu instid0(VALU_DEP_2) | instskip(NEXT) | instid1(VALU_DEP_2)
	v_pk_fma_f32 v[22:23], v[46:47], v[38:39], v[22:23] op_sel:[0,1,0]
	v_pk_fma_f32 v[18:19], v[46:47], v[42:43], v[18:19] op_sel:[0,1,0]
	s_delay_alu instid0(VALU_DEP_2) | instskip(NEXT) | instid1(VALU_DEP_2)
	v_pk_fma_f32 v[22:23], v[30:31], v[40:41], v[22:23] op_sel_hi:[1,0,1]
	v_pk_fma_f32 v[18:19], v[30:31], v[44:45], v[18:19] op_sel_hi:[1,0,1]
	s_delay_alu instid0(VALU_DEP_2) | instskip(NEXT) | instid1(VALU_DEP_2)
	v_pk_fma_f32 v[22:23], v[32:33], v[16:17], v[22:23] op_sel_hi:[1,0,1]
	v_pk_fma_f32 v[18:19], v[32:33], v[34:35], v[18:19] op_sel_hi:[1,0,1]
	s_cbranch_vccz .LBB436_15
.LBB436_9:                              ;   Parent Loop BB436_6 Depth=1
                                        ; =>  This Inner Loop Header: Depth=2
	v_mov_b32_e32 v30, 0
	s_and_saveexec_b32 s16, s0
	s_cbranch_execz .LBB436_13
; %bb.10:                               ;   in Loop: Header=BB436_9 Depth=2
	v_dual_add_nc_u32 v16, s14, v2 :: v_dual_mov_b32 v30, 0
	s_mov_b32 s17, exec_lo
	s_delay_alu instid0(VALU_DEP_1)
	v_cmpx_gt_u64_e64 s[8:9], v[16:17]
	s_cbranch_execz .LBB436_12
; %bb.11:                               ;   in Loop: Header=BB436_9 Depth=2
	v_lshl_add_u64 v[30:31], v[16:17], 2, v[24:25]
	flat_load_b32 v30, v[30:31]
.LBB436_12:                             ;   in Loop: Header=BB436_9 Depth=2
	s_wait_xcnt 0x0
	s_or_b32 exec_lo, exec_lo, s17
.LBB436_13:                             ;   in Loop: Header=BB436_9 Depth=2
	s_delay_alu instid0(SALU_CYCLE_1)
	s_or_b32 exec_lo, exec_lo, s16
	v_dual_mov_b32 v31, 0 :: v_dual_add_nc_u32 v16, s14, v0
	s_wait_loadcnt_dscnt 0x0
	ds_store_b32 v1, v30
	v_cmp_gt_u64_e32 vcc_lo, s[8:9], v[16:17]
	s_and_b32 s17, vcc_lo, s1
	s_delay_alu instid0(SALU_CYCLE_1)
	s_and_saveexec_b32 s16, s17
	s_cbranch_execz .LBB436_8
; %bb.14:                               ;   in Loop: Header=BB436_9 Depth=2
	v_mul_u64_e32 v[30:31], s[20:21], v[16:17]
	s_delay_alu instid0(VALU_DEP_1)
	v_lshl_add_u64 v[30:31], v[30:31], 2, v[26:27]
	flat_load_b32 v31, v[30:31]
	s_branch .LBB436_8
.LBB436_15:                             ;   in Loop: Header=BB436_6 Depth=1
	s_wait_loadcnt 0x0
	v_add_nc_u64_e32 v[20:21], s[10:11], v[20:21]
	s_delay_alu instid0(VALU_DEP_1)
	v_lshl_add_u64 v[24:25], v[8:9], 2, v[20:21]
	s_wait_xcnt 0x0
	s_and_saveexec_b32 s14, s28
	s_cbranch_execz .LBB436_19
; %bb.16:                               ;   in Loop: Header=BB436_6 Depth=1
	v_mul_f32_e32 v16, s34, v22
	v_lshl_add_u64 v[26:27], v[12:13], 2, v[24:25]
	s_and_b32 vcc_lo, exec_lo, s25
	s_cbranch_vccz .LBB436_30
; %bb.17:                               ;   in Loop: Header=BB436_6 Depth=1
	flat_load_b32 v22, v[26:27]
	s_wait_loadcnt_dscnt 0x0
	v_fma_f32 v22, s33, v22, v16
	flat_store_b32 v[26:27], v22
	s_cbranch_execnz .LBB436_19
.LBB436_18:                             ;   in Loop: Header=BB436_6 Depth=1
	flat_store_b32 v[26:27], v16
.LBB436_19:                             ;   in Loop: Header=BB436_6 Depth=1
	s_wait_xcnt 0x0
	s_or_b32 exec_lo, exec_lo, s14
	s_and_saveexec_b32 s14, s29
	s_cbranch_execz .LBB436_23
; %bb.20:                               ;   in Loop: Header=BB436_6 Depth=1
	v_mul_f32_e32 v16, s34, v23
	v_lshl_add_u64 v[22:23], v[14:15], 2, v[24:25]
	s_and_not1_b32 vcc_lo, exec_lo, s25
	s_cbranch_vccnz .LBB436_31
; %bb.21:                               ;   in Loop: Header=BB436_6 Depth=1
	flat_load_b32 v24, v[22:23]
	s_wait_loadcnt_dscnt 0x0
	v_fma_f32 v24, s33, v24, v16
	flat_store_b32 v[22:23], v24
	s_cbranch_execnz .LBB436_23
.LBB436_22:                             ;   in Loop: Header=BB436_6 Depth=1
	flat_store_b32 v[22:23], v16
.LBB436_23:                             ;   in Loop: Header=BB436_6 Depth=1
	s_wait_xcnt 0x0
	s_or_b32 exec_lo, exec_lo, s14
	v_lshl_add_u64 v[20:21], v[10:11], 2, v[20:21]
	s_and_saveexec_b32 s14, s35
	s_cbranch_execz .LBB436_27
; %bb.24:                               ;   in Loop: Header=BB436_6 Depth=1
	v_mul_f32_e32 v16, s34, v18
	s_delay_alu instid0(VALU_DEP_2)
	v_lshl_add_u64 v[22:23], v[12:13], 2, v[20:21]
	s_and_not1_b32 vcc_lo, exec_lo, s25
	s_cbranch_vccnz .LBB436_32
; %bb.25:                               ;   in Loop: Header=BB436_6 Depth=1
	flat_load_b32 v18, v[22:23]
	s_wait_loadcnt_dscnt 0x0
	v_fma_f32 v18, s33, v18, v16
	flat_store_b32 v[22:23], v18
	s_cbranch_execnz .LBB436_27
.LBB436_26:                             ;   in Loop: Header=BB436_6 Depth=1
	flat_store_b32 v[22:23], v16
.LBB436_27:                             ;   in Loop: Header=BB436_6 Depth=1
	s_wait_xcnt 0x0
	s_or_b32 exec_lo, exec_lo, s14
	s_and_saveexec_b32 s14, s36
	s_cbranch_execz .LBB436_5
; %bb.28:                               ;   in Loop: Header=BB436_6 Depth=1
	v_mul_f32_e32 v16, s34, v19
	v_lshl_add_u64 v[18:19], v[14:15], 2, v[20:21]
	s_and_not1_b32 vcc_lo, exec_lo, s25
	s_cbranch_vccnz .LBB436_33
; %bb.29:                               ;   in Loop: Header=BB436_6 Depth=1
	flat_load_b32 v20, v[18:19]
	s_wait_loadcnt_dscnt 0x0
	v_fma_f32 v20, s33, v20, v16
	flat_store_b32 v[18:19], v20
	s_cbranch_execnz .LBB436_5
	s_branch .LBB436_34
.LBB436_30:                             ;   in Loop: Header=BB436_6 Depth=1
	s_branch .LBB436_18
.LBB436_31:                             ;   in Loop: Header=BB436_6 Depth=1
	s_branch .LBB436_22
.LBB436_32:                             ;   in Loop: Header=BB436_6 Depth=1
	s_branch .LBB436_26
.LBB436_33:                             ;   in Loop: Header=BB436_6 Depth=1
.LBB436_34:                             ;   in Loop: Header=BB436_6 Depth=1
	flat_store_b32 v[18:19], v16
	s_branch .LBB436_5
.LBB436_35:
	s_endpgm
	.section	.rodata,"a",@progbits
	.p2align	6, 0x0
	.amdhsa_kernel _ZL29rocblas_internal_gemmt_kernelIlLi16ELi32ELi8ELc84ELc84ELc85ELb0ELb0EfPKfPKS1_PKPfEviT_T9_T10_S7_lS9_S7_lS8_T11_S7_li
		.amdhsa_group_segment_fixed_size 2048
		.amdhsa_private_segment_fixed_size 0
		.amdhsa_kernarg_size 108
		.amdhsa_user_sgpr_count 2
		.amdhsa_user_sgpr_dispatch_ptr 0
		.amdhsa_user_sgpr_queue_ptr 0
		.amdhsa_user_sgpr_kernarg_segment_ptr 1
		.amdhsa_user_sgpr_dispatch_id 0
		.amdhsa_user_sgpr_kernarg_preload_length 0
		.amdhsa_user_sgpr_kernarg_preload_offset 0
		.amdhsa_user_sgpr_private_segment_size 0
		.amdhsa_wavefront_size32 1
		.amdhsa_uses_dynamic_stack 0
		.amdhsa_enable_private_segment 0
		.amdhsa_system_sgpr_workgroup_id_x 1
		.amdhsa_system_sgpr_workgroup_id_y 1
		.amdhsa_system_sgpr_workgroup_id_z 1
		.amdhsa_system_sgpr_workgroup_info 0
		.amdhsa_system_vgpr_workitem_id 1
		.amdhsa_next_free_vgpr 56
		.amdhsa_next_free_sgpr 38
		.amdhsa_named_barrier_count 0
		.amdhsa_reserve_vcc 1
		.amdhsa_float_round_mode_32 0
		.amdhsa_float_round_mode_16_64 0
		.amdhsa_float_denorm_mode_32 3
		.amdhsa_float_denorm_mode_16_64 3
		.amdhsa_fp16_overflow 0
		.amdhsa_memory_ordered 1
		.amdhsa_forward_progress 1
		.amdhsa_inst_pref_size 13
		.amdhsa_round_robin_scheduling 0
		.amdhsa_exception_fp_ieee_invalid_op 0
		.amdhsa_exception_fp_denorm_src 0
		.amdhsa_exception_fp_ieee_div_zero 0
		.amdhsa_exception_fp_ieee_overflow 0
		.amdhsa_exception_fp_ieee_underflow 0
		.amdhsa_exception_fp_ieee_inexact 0
		.amdhsa_exception_int_div_zero 0
	.end_amdhsa_kernel
	.section	.text._ZL29rocblas_internal_gemmt_kernelIlLi16ELi32ELi8ELc84ELc84ELc85ELb0ELb0EfPKfPKS1_PKPfEviT_T9_T10_S7_lS9_S7_lS8_T11_S7_li,"axG",@progbits,_ZL29rocblas_internal_gemmt_kernelIlLi16ELi32ELi8ELc84ELc84ELc85ELb0ELb0EfPKfPKS1_PKPfEviT_T9_T10_S7_lS9_S7_lS8_T11_S7_li,comdat
.Lfunc_end436:
	.size	_ZL29rocblas_internal_gemmt_kernelIlLi16ELi32ELi8ELc84ELc84ELc85ELb0ELb0EfPKfPKS1_PKPfEviT_T9_T10_S7_lS9_S7_lS8_T11_S7_li, .Lfunc_end436-_ZL29rocblas_internal_gemmt_kernelIlLi16ELi32ELi8ELc84ELc84ELc85ELb0ELb0EfPKfPKS1_PKPfEviT_T9_T10_S7_lS9_S7_lS8_T11_S7_li
                                        ; -- End function
	.set _ZL29rocblas_internal_gemmt_kernelIlLi16ELi32ELi8ELc84ELc84ELc85ELb0ELb0EfPKfPKS1_PKPfEviT_T9_T10_S7_lS9_S7_lS8_T11_S7_li.num_vgpr, 56
	.set _ZL29rocblas_internal_gemmt_kernelIlLi16ELi32ELi8ELc84ELc84ELc85ELb0ELb0EfPKfPKS1_PKPfEviT_T9_T10_S7_lS9_S7_lS8_T11_S7_li.num_agpr, 0
	.set _ZL29rocblas_internal_gemmt_kernelIlLi16ELi32ELi8ELc84ELc84ELc85ELb0ELb0EfPKfPKS1_PKPfEviT_T9_T10_S7_lS9_S7_lS8_T11_S7_li.numbered_sgpr, 38
	.set _ZL29rocblas_internal_gemmt_kernelIlLi16ELi32ELi8ELc84ELc84ELc85ELb0ELb0EfPKfPKS1_PKPfEviT_T9_T10_S7_lS9_S7_lS8_T11_S7_li.num_named_barrier, 0
	.set _ZL29rocblas_internal_gemmt_kernelIlLi16ELi32ELi8ELc84ELc84ELc85ELb0ELb0EfPKfPKS1_PKPfEviT_T9_T10_S7_lS9_S7_lS8_T11_S7_li.private_seg_size, 0
	.set _ZL29rocblas_internal_gemmt_kernelIlLi16ELi32ELi8ELc84ELc84ELc85ELb0ELb0EfPKfPKS1_PKPfEviT_T9_T10_S7_lS9_S7_lS8_T11_S7_li.uses_vcc, 1
	.set _ZL29rocblas_internal_gemmt_kernelIlLi16ELi32ELi8ELc84ELc84ELc85ELb0ELb0EfPKfPKS1_PKPfEviT_T9_T10_S7_lS9_S7_lS8_T11_S7_li.uses_flat_scratch, 0
	.set _ZL29rocblas_internal_gemmt_kernelIlLi16ELi32ELi8ELc84ELc84ELc85ELb0ELb0EfPKfPKS1_PKPfEviT_T9_T10_S7_lS9_S7_lS8_T11_S7_li.has_dyn_sized_stack, 0
	.set _ZL29rocblas_internal_gemmt_kernelIlLi16ELi32ELi8ELc84ELc84ELc85ELb0ELb0EfPKfPKS1_PKPfEviT_T9_T10_S7_lS9_S7_lS8_T11_S7_li.has_recursion, 0
	.set _ZL29rocblas_internal_gemmt_kernelIlLi16ELi32ELi8ELc84ELc84ELc85ELb0ELb0EfPKfPKS1_PKPfEviT_T9_T10_S7_lS9_S7_lS8_T11_S7_li.has_indirect_call, 0
	.section	.AMDGPU.csdata,"",@progbits
; Kernel info:
; codeLenInByte = 1656
; TotalNumSgprs: 40
; NumVgprs: 56
; ScratchSize: 0
; MemoryBound: 0
; FloatMode: 240
; IeeeMode: 1
; LDSByteSize: 2048 bytes/workgroup (compile time only)
; SGPRBlocks: 0
; VGPRBlocks: 3
; NumSGPRsForWavesPerEU: 40
; NumVGPRsForWavesPerEU: 56
; NamedBarCnt: 0
; Occupancy: 16
; WaveLimiterHint : 1
; COMPUTE_PGM_RSRC2:SCRATCH_EN: 0
; COMPUTE_PGM_RSRC2:USER_SGPR: 2
; COMPUTE_PGM_RSRC2:TRAP_HANDLER: 0
; COMPUTE_PGM_RSRC2:TGID_X_EN: 1
; COMPUTE_PGM_RSRC2:TGID_Y_EN: 1
; COMPUTE_PGM_RSRC2:TGID_Z_EN: 1
; COMPUTE_PGM_RSRC2:TIDIG_COMP_CNT: 1
	.section	.text._ZL29rocblas_internal_gemmt_kernelIlLi16ELi32ELi8ELc84ELc67ELc85ELb0ELb0EfPKfPKS1_PKPfEviT_T9_T10_S7_lS9_S7_lS8_T11_S7_li,"axG",@progbits,_ZL29rocblas_internal_gemmt_kernelIlLi16ELi32ELi8ELc84ELc67ELc85ELb0ELb0EfPKfPKS1_PKPfEviT_T9_T10_S7_lS9_S7_lS8_T11_S7_li,comdat
	.globl	_ZL29rocblas_internal_gemmt_kernelIlLi16ELi32ELi8ELc84ELc67ELc85ELb0ELb0EfPKfPKS1_PKPfEviT_T9_T10_S7_lS9_S7_lS8_T11_S7_li ; -- Begin function _ZL29rocblas_internal_gemmt_kernelIlLi16ELi32ELi8ELc84ELc67ELc85ELb0ELb0EfPKfPKS1_PKPfEviT_T9_T10_S7_lS9_S7_lS8_T11_S7_li
	.p2align	8
	.type	_ZL29rocblas_internal_gemmt_kernelIlLi16ELi32ELi8ELc84ELc67ELc85ELb0ELb0EfPKfPKS1_PKPfEviT_T9_T10_S7_lS9_S7_lS8_T11_S7_li,@function
_ZL29rocblas_internal_gemmt_kernelIlLi16ELi32ELi8ELc84ELc67ELc85ELb0ELb0EfPKfPKS1_PKPfEviT_T9_T10_S7_lS9_S7_lS8_T11_S7_li: ; @_ZL29rocblas_internal_gemmt_kernelIlLi16ELi32ELi8ELc84ELc67ELc85ELb0ELb0EfPKfPKS1_PKPfEviT_T9_T10_S7_lS9_S7_lS8_T11_S7_li
; %bb.0:
	s_clause 0x1
	s_load_b256 s[24:31], s[0:1], 0x48
	s_load_b512 s[8:23], s[0:1], 0x8
	s_wait_kmcnt 0x0
	s_load_b32 s33, s[24:25], 0x0
	s_load_b32 s34, s[10:11], 0x0
	s_wait_kmcnt 0x0
	s_cmp_neq_f32 s33, 1.0
	s_cselect_b32 s2, -1, 0
	s_delay_alu instid0(SALU_CYCLE_1)
	s_and_b32 vcc_lo, exec_lo, s2
	s_cbranch_vccnz .LBB437_2
; %bb.1:
	s_cmp_lg_u64 s[8:9], 0
	s_cselect_b32 s2, -1, 0
	s_cmp_neq_f32 s34, 0
	s_cselect_b32 s3, -1, 0
	s_delay_alu instid0(SALU_CYCLE_1)
	s_and_b32 s2, s2, s3
.LBB437_2:
	s_delay_alu instid0(SALU_CYCLE_1)
	s_and_not1_b32 vcc_lo, exec_lo, s2
	s_cbranch_vccnz .LBB437_35
; %bb.3:
	s_load_b32 s24, s[0:1], 0x68
	s_bfe_u32 s2, ttmp6, 0x40014
	s_lshr_b32 s3, ttmp7, 16
	s_add_co_i32 s2, s2, 1
	s_bfe_u32 s5, ttmp6, 0x40008
	s_mul_i32 s4, s3, s2
	s_getreg_b32 s2, hwreg(HW_REG_IB_STS2, 6, 4)
	s_add_co_i32 s5, s5, s4
	s_cmp_eq_u32 s2, 0
	s_mov_b32 s7, 0
	s_cselect_b32 s6, s3, s5
	s_wait_kmcnt 0x0
	s_cmp_ge_u32 s6, s24
	s_cbranch_scc1 .LBB437_35
; %bb.4:
	s_load_b32 s3, s[0:1], 0x0
	s_wait_xcnt 0x0
	s_bfe_u32 s1, ttmp6, 0x4000c
	s_bfe_u32 s5, ttmp6, 0x40010
	s_and_b32 s4, ttmp7, 0xffff
	s_add_co_i32 s1, s1, 1
	s_add_co_i32 s5, s5, 1
	v_and_b32_e32 v15, 0x3ff, v0
	v_bfe_u32 v20, v0, 10, 10
	s_and_b32 s0, ttmp6, 15
	s_mul_i32 s1, ttmp9, s1
	s_mul_i32 s5, s4, s5
	s_bfe_u32 s10, ttmp6, 0x40004
	s_add_co_i32 s0, s0, s1
	s_add_co_i32 s10, s10, s5
	s_cmp_eq_u32 s2, 0
	v_lshl_add_u32 v1, v20, 4, v15
	s_cselect_b32 s1, s4, s10
	s_cselect_b32 s0, ttmp9, s0
	s_lshl_b32 s1, s1, 5
	s_delay_alu instid0(VALU_DEP_1) | instskip(SKIP_3) | instid1(VALU_DEP_2)
	v_dual_lshrrev_b32 v2, 5, v1 :: v_dual_bitop2_b32 v0, 7, v0 bitop3:0x40
	v_dual_lshrrev_b32 v1, 3, v1 :: v_dual_bitop2_b32 v3, 31, v1 bitop3:0x40
	s_lshl_b32 s2, s0, 5
	v_add_nc_u32_e32 v16, s1, v20
	v_dual_lshlrev_b32 v5, 2, v0 :: v_dual_bitop2_b32 v12, s2, v3 bitop3:0x54
	s_delay_alu instid0(VALU_DEP_3) | instskip(NEXT) | instid1(VALU_DEP_3)
	v_dual_add_nc_u32 v4, s1, v1 :: v_dual_lshlrev_b32 v3, 2, v3
	v_dual_ashrrev_i32 v17, 31, v16 :: v_dual_add_nc_u32 v18, 16, v16
	s_delay_alu instid0(VALU_DEP_3)
	v_ashrrev_i32_e32 v13, 31, v12
	s_wait_kmcnt 0x0
	v_cmp_gt_i32_e64 s0, s3, v12
	s_cmp_neq_f32 s34, 0
	v_mul_u64_e32 v[8:9], s[28:29], v[16:17]
	v_ashrrev_i32_e32 v19, 31, v18
	v_mul_u64_e32 v[6:7], s[14:15], v[12:13]
	v_add_nc_u32_e32 v12, s2, v15
	v_cmp_gt_i32_e32 vcc_lo, s3, v16
	s_cselect_b32 s10, -1, 0
	v_mul_u64_e32 v[10:11], s[28:29], v[18:19]
	s_cmp_neq_f32 s33, 0
	v_cmp_le_i32_e64 s2, v12, v16
	v_dual_add_nc_u32 v14, 16, v12 :: v_dual_ashrrev_i32 v13, 31, v12
	v_lshl_or_b32 v5, v1, 5, v5
	v_cmp_gt_i64_e64 s11, s[8:9], 0
	v_cmp_gt_i32_e64 s1, s3, v4
	s_cselect_b32 s25, -1, 0
	s_and_b32 s28, vcc_lo, s2
	v_cmp_le_i32_e64 s2, v14, v16
	v_cmp_gt_i32_e64 s3, s3, v18
	v_cmp_le_i32_e64 s4, v12, v18
	v_cmp_le_i32_e64 s5, v14, v18
	v_lshl_or_b32 v1, v2, 7, v3
	v_add_nc_u32_e32 v3, 0x400, v5
	v_dual_ashrrev_i32 v5, 31, v4 :: v_dual_lshlrev_b32 v28, 2, v15
	v_lshl_add_u32 v29, v20, 5, 0x400
	v_dual_ashrrev_i32 v15, 31, v14 :: v_dual_mov_b32 v17, 0
	s_and_b32 s29, vcc_lo, s2
	s_and_b32 s35, s3, s4
	s_and_b32 s36, s3, s5
	;; [unrolled: 1-line block ×3, first 2 shown]
	s_lshl_b64 s[2:3], s[22:23], 2
	s_lshl_b64 s[4:5], s[16:17], 2
	;; [unrolled: 1-line block ×3, first 2 shown]
	s_branch .LBB437_6
.LBB437_5:                              ;   in Loop: Header=BB437_6 Depth=1
	s_wait_xcnt 0x0
	s_or_b32 exec_lo, exec_lo, s14
	s_add_co_i32 s6, s6, 0x10000
	s_delay_alu instid0(SALU_CYCLE_1)
	s_cmp_lt_u32 s6, s24
	s_cbranch_scc0 .LBB437_35
.LBB437_6:                              ; =>This Loop Header: Depth=1
                                        ;     Child Loop BB437_9 Depth 2
	v_dual_mov_b32 v16, s6 :: v_dual_mov_b32 v23, v17
	v_dual_mov_b32 v22, v17 :: v_dual_mov_b32 v19, v17
	v_mov_b32_e32 v18, v17
	global_load_b64 v[20:21], v16, s[26:27] scale_offset
	s_and_not1_b32 vcc_lo, exec_lo, s37
	s_cbranch_vccnz .LBB437_15
; %bb.7:                                ;   in Loop: Header=BB437_6 Depth=1
	s_lshl_b64 s[14:15], s[6:7], 3
	v_mov_b32_e32 v18, 0
	s_add_nc_u64 s[16:17], s[12:13], s[14:15]
	s_add_nc_u64 s[14:15], s[18:19], s[14:15]
	s_clause 0x1
	global_load_b64 v[22:23], v17, s[16:17]
	global_load_b64 v[24:25], v17, s[14:15]
	s_wait_xcnt 0x0
	s_mov_b64 s[14:15], 0
	v_mov_b32_e32 v19, v18
	s_wait_loadcnt 0x1
	v_add_nc_u64_e32 v[26:27], s[4:5], v[22:23]
	s_wait_loadcnt 0x0
	v_add_nc_u64_e32 v[30:31], s[2:3], v[24:25]
	v_dual_mov_b32 v22, v18 :: v_dual_mov_b32 v23, v18
	s_delay_alu instid0(VALU_DEP_3) | instskip(NEXT) | instid1(VALU_DEP_3)
	v_lshl_add_u64 v[24:25], v[6:7], 2, v[26:27]
	v_lshl_add_u64 v[26:27], v[4:5], 2, v[30:31]
	s_branch .LBB437_9
.LBB437_8:                              ;   in Loop: Header=BB437_9 Depth=2
	s_wait_xcnt 0x0
	s_or_b32 exec_lo, exec_lo, s16
	s_wait_loadcnt_dscnt 0x0
	ds_store_b32 v3, v31
	s_wait_dscnt 0x0
	s_barrier_signal -1
	s_barrier_wait -1
	ds_load_b128 v[30:33], v29
	ds_load_2addr_b32 v[46:47], v28 offset1:16
	ds_load_b128 v[34:37], v29 offset:512
	ds_load_2addr_b32 v[48:49], v28 offset0:32 offset1:48
	ds_load_2addr_b32 v[50:51], v28 offset0:64 offset1:80
	;; [unrolled: 1-line block ×3, first 2 shown]
	ds_load_b128 v[38:41], v29 offset:16
	ds_load_2addr_b32 v[54:55], v28 offset0:128 offset1:144
	ds_load_b128 v[42:45], v29 offset:528
	s_add_nc_u64 s[14:15], s[14:15], 8
	s_delay_alu instid0(SALU_CYCLE_1)
	v_cmp_gt_i64_e64 s16, s[8:9], s[14:15]
	s_and_b32 vcc_lo, exec_lo, s16
	s_wait_dscnt 0x8
	v_mov_b32_e32 v16, v33
	s_wait_dscnt 0x7
	v_pk_fma_f32 v[22:23], v[46:47], v[30:31], v[22:23] op_sel_hi:[1,0,1]
	s_wait_dscnt 0x6
	v_pk_fma_f32 v[18:19], v[46:47], v[34:35], v[18:19] op_sel_hi:[1,0,1]
	ds_load_2addr_b32 v[46:47], v28 offset0:160 offset1:176
	s_wait_dscnt 0x6
	v_pk_fma_f32 v[22:23], v[48:49], v[30:31], v[22:23] op_sel:[0,1,0]
	v_pk_fma_f32 v[18:19], v[48:49], v[34:35], v[18:19] op_sel:[0,1,0]
	ds_load_2addr_b32 v[30:31], v28 offset0:192 offset1:208
	v_mov_b32_e32 v34, v37
	s_wait_dscnt 0x6
	v_pk_fma_f32 v[22:23], v[50:51], v[32:33], v[22:23] op_sel_hi:[1,0,1]
	v_pk_fma_f32 v[18:19], v[50:51], v[36:37], v[18:19] op_sel_hi:[1,0,1]
	ds_load_2addr_b32 v[32:33], v28 offset0:224 offset1:240
	s_wait_dscnt 0x0
	s_barrier_signal -1
	v_pk_fma_f32 v[22:23], v[52:53], v[16:17], v[22:23] op_sel_hi:[1,0,1]
	v_pk_fma_f32 v[18:19], v[52:53], v[34:35], v[18:19] op_sel_hi:[1,0,1]
	v_dual_mov_b32 v16, v41 :: v_dual_mov_b32 v34, v45
	s_barrier_wait -1
	s_delay_alu instid0(VALU_DEP_3) | instskip(NEXT) | instid1(VALU_DEP_3)
	v_pk_fma_f32 v[22:23], v[54:55], v[38:39], v[22:23] op_sel_hi:[1,0,1]
	v_pk_fma_f32 v[18:19], v[54:55], v[42:43], v[18:19] op_sel_hi:[1,0,1]
	s_delay_alu instid0(VALU_DEP_2) | instskip(NEXT) | instid1(VALU_DEP_2)
	v_pk_fma_f32 v[22:23], v[46:47], v[38:39], v[22:23] op_sel:[0,1,0]
	v_pk_fma_f32 v[18:19], v[46:47], v[42:43], v[18:19] op_sel:[0,1,0]
	s_delay_alu instid0(VALU_DEP_2) | instskip(NEXT) | instid1(VALU_DEP_2)
	v_pk_fma_f32 v[22:23], v[30:31], v[40:41], v[22:23] op_sel_hi:[1,0,1]
	v_pk_fma_f32 v[18:19], v[30:31], v[44:45], v[18:19] op_sel_hi:[1,0,1]
	s_delay_alu instid0(VALU_DEP_2) | instskip(NEXT) | instid1(VALU_DEP_2)
	v_pk_fma_f32 v[22:23], v[32:33], v[16:17], v[22:23] op_sel_hi:[1,0,1]
	v_pk_fma_f32 v[18:19], v[32:33], v[34:35], v[18:19] op_sel_hi:[1,0,1]
	s_cbranch_vccz .LBB437_15
.LBB437_9:                              ;   Parent Loop BB437_6 Depth=1
                                        ; =>  This Inner Loop Header: Depth=2
	v_mov_b32_e32 v30, 0
	s_and_saveexec_b32 s16, s0
	s_cbranch_execz .LBB437_13
; %bb.10:                               ;   in Loop: Header=BB437_9 Depth=2
	v_dual_add_nc_u32 v16, s14, v2 :: v_dual_mov_b32 v30, 0
	s_mov_b32 s17, exec_lo
	s_delay_alu instid0(VALU_DEP_1)
	v_cmpx_gt_u64_e64 s[8:9], v[16:17]
	s_cbranch_execz .LBB437_12
; %bb.11:                               ;   in Loop: Header=BB437_9 Depth=2
	v_lshl_add_u64 v[30:31], v[16:17], 2, v[24:25]
	flat_load_b32 v30, v[30:31]
.LBB437_12:                             ;   in Loop: Header=BB437_9 Depth=2
	s_wait_xcnt 0x0
	s_or_b32 exec_lo, exec_lo, s17
.LBB437_13:                             ;   in Loop: Header=BB437_9 Depth=2
	s_delay_alu instid0(SALU_CYCLE_1)
	s_or_b32 exec_lo, exec_lo, s16
	v_dual_mov_b32 v31, 0 :: v_dual_add_nc_u32 v16, s14, v0
	s_wait_loadcnt_dscnt 0x0
	ds_store_b32 v1, v30
	v_cmp_gt_u64_e32 vcc_lo, s[8:9], v[16:17]
	s_and_b32 s17, vcc_lo, s1
	s_delay_alu instid0(SALU_CYCLE_1)
	s_and_saveexec_b32 s16, s17
	s_cbranch_execz .LBB437_8
; %bb.14:                               ;   in Loop: Header=BB437_9 Depth=2
	v_mul_u64_e32 v[30:31], s[20:21], v[16:17]
	s_delay_alu instid0(VALU_DEP_1)
	v_lshl_add_u64 v[30:31], v[30:31], 2, v[26:27]
	flat_load_b32 v31, v[30:31]
	s_branch .LBB437_8
.LBB437_15:                             ;   in Loop: Header=BB437_6 Depth=1
	s_wait_loadcnt 0x0
	v_add_nc_u64_e32 v[20:21], s[10:11], v[20:21]
	s_delay_alu instid0(VALU_DEP_1)
	v_lshl_add_u64 v[24:25], v[8:9], 2, v[20:21]
	s_wait_xcnt 0x0
	s_and_saveexec_b32 s14, s28
	s_cbranch_execz .LBB437_19
; %bb.16:                               ;   in Loop: Header=BB437_6 Depth=1
	v_mul_f32_e32 v16, s34, v22
	v_lshl_add_u64 v[26:27], v[12:13], 2, v[24:25]
	s_and_b32 vcc_lo, exec_lo, s25
	s_cbranch_vccz .LBB437_30
; %bb.17:                               ;   in Loop: Header=BB437_6 Depth=1
	flat_load_b32 v22, v[26:27]
	s_wait_loadcnt_dscnt 0x0
	v_fma_f32 v22, s33, v22, v16
	flat_store_b32 v[26:27], v22
	s_cbranch_execnz .LBB437_19
.LBB437_18:                             ;   in Loop: Header=BB437_6 Depth=1
	flat_store_b32 v[26:27], v16
.LBB437_19:                             ;   in Loop: Header=BB437_6 Depth=1
	s_wait_xcnt 0x0
	s_or_b32 exec_lo, exec_lo, s14
	s_and_saveexec_b32 s14, s29
	s_cbranch_execz .LBB437_23
; %bb.20:                               ;   in Loop: Header=BB437_6 Depth=1
	v_mul_f32_e32 v16, s34, v23
	v_lshl_add_u64 v[22:23], v[14:15], 2, v[24:25]
	s_and_not1_b32 vcc_lo, exec_lo, s25
	s_cbranch_vccnz .LBB437_31
; %bb.21:                               ;   in Loop: Header=BB437_6 Depth=1
	flat_load_b32 v24, v[22:23]
	s_wait_loadcnt_dscnt 0x0
	v_fma_f32 v24, s33, v24, v16
	flat_store_b32 v[22:23], v24
	s_cbranch_execnz .LBB437_23
.LBB437_22:                             ;   in Loop: Header=BB437_6 Depth=1
	flat_store_b32 v[22:23], v16
.LBB437_23:                             ;   in Loop: Header=BB437_6 Depth=1
	s_wait_xcnt 0x0
	s_or_b32 exec_lo, exec_lo, s14
	v_lshl_add_u64 v[20:21], v[10:11], 2, v[20:21]
	s_and_saveexec_b32 s14, s35
	s_cbranch_execz .LBB437_27
; %bb.24:                               ;   in Loop: Header=BB437_6 Depth=1
	v_mul_f32_e32 v16, s34, v18
	s_delay_alu instid0(VALU_DEP_2)
	v_lshl_add_u64 v[22:23], v[12:13], 2, v[20:21]
	s_and_not1_b32 vcc_lo, exec_lo, s25
	s_cbranch_vccnz .LBB437_32
; %bb.25:                               ;   in Loop: Header=BB437_6 Depth=1
	flat_load_b32 v18, v[22:23]
	s_wait_loadcnt_dscnt 0x0
	v_fma_f32 v18, s33, v18, v16
	flat_store_b32 v[22:23], v18
	s_cbranch_execnz .LBB437_27
.LBB437_26:                             ;   in Loop: Header=BB437_6 Depth=1
	flat_store_b32 v[22:23], v16
.LBB437_27:                             ;   in Loop: Header=BB437_6 Depth=1
	s_wait_xcnt 0x0
	s_or_b32 exec_lo, exec_lo, s14
	s_and_saveexec_b32 s14, s36
	s_cbranch_execz .LBB437_5
; %bb.28:                               ;   in Loop: Header=BB437_6 Depth=1
	v_mul_f32_e32 v16, s34, v19
	v_lshl_add_u64 v[18:19], v[14:15], 2, v[20:21]
	s_and_not1_b32 vcc_lo, exec_lo, s25
	s_cbranch_vccnz .LBB437_33
; %bb.29:                               ;   in Loop: Header=BB437_6 Depth=1
	flat_load_b32 v20, v[18:19]
	s_wait_loadcnt_dscnt 0x0
	v_fma_f32 v20, s33, v20, v16
	flat_store_b32 v[18:19], v20
	s_cbranch_execnz .LBB437_5
	s_branch .LBB437_34
.LBB437_30:                             ;   in Loop: Header=BB437_6 Depth=1
	s_branch .LBB437_18
.LBB437_31:                             ;   in Loop: Header=BB437_6 Depth=1
	s_branch .LBB437_22
.LBB437_32:                             ;   in Loop: Header=BB437_6 Depth=1
	s_branch .LBB437_26
.LBB437_33:                             ;   in Loop: Header=BB437_6 Depth=1
.LBB437_34:                             ;   in Loop: Header=BB437_6 Depth=1
	flat_store_b32 v[18:19], v16
	s_branch .LBB437_5
.LBB437_35:
	s_endpgm
	.section	.rodata,"a",@progbits
	.p2align	6, 0x0
	.amdhsa_kernel _ZL29rocblas_internal_gemmt_kernelIlLi16ELi32ELi8ELc84ELc67ELc85ELb0ELb0EfPKfPKS1_PKPfEviT_T9_T10_S7_lS9_S7_lS8_T11_S7_li
		.amdhsa_group_segment_fixed_size 2048
		.amdhsa_private_segment_fixed_size 0
		.amdhsa_kernarg_size 108
		.amdhsa_user_sgpr_count 2
		.amdhsa_user_sgpr_dispatch_ptr 0
		.amdhsa_user_sgpr_queue_ptr 0
		.amdhsa_user_sgpr_kernarg_segment_ptr 1
		.amdhsa_user_sgpr_dispatch_id 0
		.amdhsa_user_sgpr_kernarg_preload_length 0
		.amdhsa_user_sgpr_kernarg_preload_offset 0
		.amdhsa_user_sgpr_private_segment_size 0
		.amdhsa_wavefront_size32 1
		.amdhsa_uses_dynamic_stack 0
		.amdhsa_enable_private_segment 0
		.amdhsa_system_sgpr_workgroup_id_x 1
		.amdhsa_system_sgpr_workgroup_id_y 1
		.amdhsa_system_sgpr_workgroup_id_z 1
		.amdhsa_system_sgpr_workgroup_info 0
		.amdhsa_system_vgpr_workitem_id 1
		.amdhsa_next_free_vgpr 56
		.amdhsa_next_free_sgpr 38
		.amdhsa_named_barrier_count 0
		.amdhsa_reserve_vcc 1
		.amdhsa_float_round_mode_32 0
		.amdhsa_float_round_mode_16_64 0
		.amdhsa_float_denorm_mode_32 3
		.amdhsa_float_denorm_mode_16_64 3
		.amdhsa_fp16_overflow 0
		.amdhsa_memory_ordered 1
		.amdhsa_forward_progress 1
		.amdhsa_inst_pref_size 13
		.amdhsa_round_robin_scheduling 0
		.amdhsa_exception_fp_ieee_invalid_op 0
		.amdhsa_exception_fp_denorm_src 0
		.amdhsa_exception_fp_ieee_div_zero 0
		.amdhsa_exception_fp_ieee_overflow 0
		.amdhsa_exception_fp_ieee_underflow 0
		.amdhsa_exception_fp_ieee_inexact 0
		.amdhsa_exception_int_div_zero 0
	.end_amdhsa_kernel
	.section	.text._ZL29rocblas_internal_gemmt_kernelIlLi16ELi32ELi8ELc84ELc67ELc85ELb0ELb0EfPKfPKS1_PKPfEviT_T9_T10_S7_lS9_S7_lS8_T11_S7_li,"axG",@progbits,_ZL29rocblas_internal_gemmt_kernelIlLi16ELi32ELi8ELc84ELc67ELc85ELb0ELb0EfPKfPKS1_PKPfEviT_T9_T10_S7_lS9_S7_lS8_T11_S7_li,comdat
.Lfunc_end437:
	.size	_ZL29rocblas_internal_gemmt_kernelIlLi16ELi32ELi8ELc84ELc67ELc85ELb0ELb0EfPKfPKS1_PKPfEviT_T9_T10_S7_lS9_S7_lS8_T11_S7_li, .Lfunc_end437-_ZL29rocblas_internal_gemmt_kernelIlLi16ELi32ELi8ELc84ELc67ELc85ELb0ELb0EfPKfPKS1_PKPfEviT_T9_T10_S7_lS9_S7_lS8_T11_S7_li
                                        ; -- End function
	.set _ZL29rocblas_internal_gemmt_kernelIlLi16ELi32ELi8ELc84ELc67ELc85ELb0ELb0EfPKfPKS1_PKPfEviT_T9_T10_S7_lS9_S7_lS8_T11_S7_li.num_vgpr, 56
	.set _ZL29rocblas_internal_gemmt_kernelIlLi16ELi32ELi8ELc84ELc67ELc85ELb0ELb0EfPKfPKS1_PKPfEviT_T9_T10_S7_lS9_S7_lS8_T11_S7_li.num_agpr, 0
	.set _ZL29rocblas_internal_gemmt_kernelIlLi16ELi32ELi8ELc84ELc67ELc85ELb0ELb0EfPKfPKS1_PKPfEviT_T9_T10_S7_lS9_S7_lS8_T11_S7_li.numbered_sgpr, 38
	.set _ZL29rocblas_internal_gemmt_kernelIlLi16ELi32ELi8ELc84ELc67ELc85ELb0ELb0EfPKfPKS1_PKPfEviT_T9_T10_S7_lS9_S7_lS8_T11_S7_li.num_named_barrier, 0
	.set _ZL29rocblas_internal_gemmt_kernelIlLi16ELi32ELi8ELc84ELc67ELc85ELb0ELb0EfPKfPKS1_PKPfEviT_T9_T10_S7_lS9_S7_lS8_T11_S7_li.private_seg_size, 0
	.set _ZL29rocblas_internal_gemmt_kernelIlLi16ELi32ELi8ELc84ELc67ELc85ELb0ELb0EfPKfPKS1_PKPfEviT_T9_T10_S7_lS9_S7_lS8_T11_S7_li.uses_vcc, 1
	.set _ZL29rocblas_internal_gemmt_kernelIlLi16ELi32ELi8ELc84ELc67ELc85ELb0ELb0EfPKfPKS1_PKPfEviT_T9_T10_S7_lS9_S7_lS8_T11_S7_li.uses_flat_scratch, 0
	.set _ZL29rocblas_internal_gemmt_kernelIlLi16ELi32ELi8ELc84ELc67ELc85ELb0ELb0EfPKfPKS1_PKPfEviT_T9_T10_S7_lS9_S7_lS8_T11_S7_li.has_dyn_sized_stack, 0
	.set _ZL29rocblas_internal_gemmt_kernelIlLi16ELi32ELi8ELc84ELc67ELc85ELb0ELb0EfPKfPKS1_PKPfEviT_T9_T10_S7_lS9_S7_lS8_T11_S7_li.has_recursion, 0
	.set _ZL29rocblas_internal_gemmt_kernelIlLi16ELi32ELi8ELc84ELc67ELc85ELb0ELb0EfPKfPKS1_PKPfEviT_T9_T10_S7_lS9_S7_lS8_T11_S7_li.has_indirect_call, 0
	.section	.AMDGPU.csdata,"",@progbits
; Kernel info:
; codeLenInByte = 1656
; TotalNumSgprs: 40
; NumVgprs: 56
; ScratchSize: 0
; MemoryBound: 0
; FloatMode: 240
; IeeeMode: 1
; LDSByteSize: 2048 bytes/workgroup (compile time only)
; SGPRBlocks: 0
; VGPRBlocks: 3
; NumSGPRsForWavesPerEU: 40
; NumVGPRsForWavesPerEU: 56
; NamedBarCnt: 0
; Occupancy: 16
; WaveLimiterHint : 1
; COMPUTE_PGM_RSRC2:SCRATCH_EN: 0
; COMPUTE_PGM_RSRC2:USER_SGPR: 2
; COMPUTE_PGM_RSRC2:TRAP_HANDLER: 0
; COMPUTE_PGM_RSRC2:TGID_X_EN: 1
; COMPUTE_PGM_RSRC2:TGID_Y_EN: 1
; COMPUTE_PGM_RSRC2:TGID_Z_EN: 1
; COMPUTE_PGM_RSRC2:TIDIG_COMP_CNT: 1
	.section	.text._ZL29rocblas_internal_gemmt_kernelIlLi16ELi32ELi8ELc67ELc78ELc85ELb0ELb0EfPKfPKS1_PKPfEviT_T9_T10_S7_lS9_S7_lS8_T11_S7_li,"axG",@progbits,_ZL29rocblas_internal_gemmt_kernelIlLi16ELi32ELi8ELc67ELc78ELc85ELb0ELb0EfPKfPKS1_PKPfEviT_T9_T10_S7_lS9_S7_lS8_T11_S7_li,comdat
	.globl	_ZL29rocblas_internal_gemmt_kernelIlLi16ELi32ELi8ELc67ELc78ELc85ELb0ELb0EfPKfPKS1_PKPfEviT_T9_T10_S7_lS9_S7_lS8_T11_S7_li ; -- Begin function _ZL29rocblas_internal_gemmt_kernelIlLi16ELi32ELi8ELc67ELc78ELc85ELb0ELb0EfPKfPKS1_PKPfEviT_T9_T10_S7_lS9_S7_lS8_T11_S7_li
	.p2align	8
	.type	_ZL29rocblas_internal_gemmt_kernelIlLi16ELi32ELi8ELc67ELc78ELc85ELb0ELb0EfPKfPKS1_PKPfEviT_T9_T10_S7_lS9_S7_lS8_T11_S7_li,@function
_ZL29rocblas_internal_gemmt_kernelIlLi16ELi32ELi8ELc67ELc78ELc85ELb0ELb0EfPKfPKS1_PKPfEviT_T9_T10_S7_lS9_S7_lS8_T11_S7_li: ; @_ZL29rocblas_internal_gemmt_kernelIlLi16ELi32ELi8ELc67ELc78ELc85ELb0ELb0EfPKfPKS1_PKPfEviT_T9_T10_S7_lS9_S7_lS8_T11_S7_li
; %bb.0:
	s_clause 0x1
	s_load_b256 s[24:31], s[0:1], 0x48
	s_load_b512 s[8:23], s[0:1], 0x8
	s_wait_kmcnt 0x0
	s_load_b32 s33, s[24:25], 0x0
	s_load_b32 s34, s[10:11], 0x0
	s_wait_kmcnt 0x0
	s_cmp_neq_f32 s33, 1.0
	s_cselect_b32 s2, -1, 0
	s_delay_alu instid0(SALU_CYCLE_1)
	s_and_b32 vcc_lo, exec_lo, s2
	s_cbranch_vccnz .LBB438_2
; %bb.1:
	s_cmp_lg_u64 s[8:9], 0
	s_cselect_b32 s2, -1, 0
	s_cmp_neq_f32 s34, 0
	s_cselect_b32 s3, -1, 0
	s_delay_alu instid0(SALU_CYCLE_1)
	s_and_b32 s2, s2, s3
.LBB438_2:
	s_delay_alu instid0(SALU_CYCLE_1)
	s_and_not1_b32 vcc_lo, exec_lo, s2
	s_cbranch_vccnz .LBB438_35
; %bb.3:
	s_load_b32 s24, s[0:1], 0x68
	s_bfe_u32 s2, ttmp6, 0x40014
	s_lshr_b32 s3, ttmp7, 16
	s_add_co_i32 s2, s2, 1
	s_bfe_u32 s5, ttmp6, 0x40008
	s_mul_i32 s4, s3, s2
	s_getreg_b32 s2, hwreg(HW_REG_IB_STS2, 6, 4)
	s_add_co_i32 s5, s5, s4
	s_cmp_eq_u32 s2, 0
	s_mov_b32 s7, 0
	s_cselect_b32 s6, s3, s5
	s_wait_kmcnt 0x0
	s_cmp_ge_u32 s6, s24
	s_cbranch_scc1 .LBB438_35
; %bb.4:
	s_load_b32 s3, s[0:1], 0x0
	s_wait_xcnt 0x0
	s_bfe_u32 s1, ttmp6, 0x4000c
	s_bfe_u32 s5, ttmp6, 0x40010
	s_and_b32 s4, ttmp7, 0xffff
	s_add_co_i32 s1, s1, 1
	s_add_co_i32 s5, s5, 1
	v_and_b32_e32 v20, 0x3ff, v0
	v_bfe_u32 v21, v0, 10, 10
	s_and_b32 s0, ttmp6, 15
	s_mul_i32 s1, ttmp9, s1
	s_mul_i32 s5, s4, s5
	s_bfe_u32 s10, ttmp6, 0x40004
	s_add_co_i32 s0, s0, s1
	s_add_co_i32 s10, s10, s5
	s_cmp_eq_u32 s2, 0
	v_lshl_add_u32 v1, v21, 4, v20
	s_cselect_b32 s0, ttmp9, s0
	s_cselect_b32 s1, s4, s10
	s_lshl_b32 s2, s0, 5
	s_lshl_b32 s0, s1, 5
	v_dual_lshrrev_b32 v2, 5, v1 :: v_dual_lshrrev_b32 v3, 3, v1
	v_and_b32_e32 v1, 31, v1
	v_dual_add_nc_u32 v16, s0, v21 :: v_dual_bitop2_b32 v0, 7, v0 bitop3:0x40
	s_cmp_neq_f32 s34, 0
	s_delay_alu instid0(VALU_DEP_2) | instskip(NEXT) | instid1(VALU_DEP_2)
	v_dual_add_nc_u32 v14, s0, v3 :: v_dual_bitop2_b32 v12, s2, v1 bitop3:0x54
	v_dual_add_nc_u32 v18, 16, v16 :: v_dual_ashrrev_i32 v17, 31, v16
	s_delay_alu instid0(VALU_DEP_2) | instskip(NEXT) | instid1(VALU_DEP_2)
	v_dual_lshlrev_b32 v1, 2, v1 :: v_dual_ashrrev_i32 v15, 31, v14
	v_dual_ashrrev_i32 v13, 31, v12 :: v_dual_ashrrev_i32 v19, 31, v18
	s_delay_alu instid0(VALU_DEP_3)
	v_mul_u64_e32 v[8:9], s[28:29], v[16:17]
	s_wait_kmcnt 0x0
	v_cmp_gt_i32_e64 s0, s3, v12
	v_mul_u64_e32 v[6:7], s[20:21], v[14:15]
	v_mul_u64_e32 v[4:5], s[14:15], v[12:13]
	v_lshlrev_b32_e32 v13, 2, v0
	v_mul_u64_e32 v[10:11], s[28:29], v[18:19]
	v_dual_add_nc_u32 v12, s2, v20 :: v_dual_lshlrev_b32 v28, 2, v20
	v_cmp_gt_i32_e64 s1, s3, v14
	v_cmp_gt_i32_e32 vcc_lo, s3, v16
	s_cselect_b32 s10, -1, 0
	v_cmp_le_i32_e64 s2, v12, v16
	v_add_nc_u32_e32 v14, 16, v12
	s_cmp_neq_f32 s33, 0
	v_lshl_or_b32 v3, v3, 5, v13
	v_cmp_gt_i64_e64 s11, s[8:9], 0
	v_cmp_gt_i32_e64 s3, s3, v18
	s_cselect_b32 s20, -1, 0
	s_and_b32 s21, vcc_lo, s2
	v_cmp_le_i32_e64 s4, v12, v18
	v_ashrrev_i32_e32 v13, 31, v12
	v_cmp_le_i32_e64 s2, v14, v16
	v_cmp_le_i32_e64 s5, v14, v18
	v_lshl_or_b32 v1, v2, 7, v1
	v_add_nc_u32_e32 v3, 0x400, v3
	v_lshl_add_u32 v29, v21, 5, 0x400
	v_dual_ashrrev_i32 v15, 31, v14 :: v_dual_mov_b32 v17, 0
	s_and_b32 s25, vcc_lo, s2
	s_and_b32 s28, s3, s4
	s_and_b32 s29, s3, s5
	;; [unrolled: 1-line block ×3, first 2 shown]
	s_lshl_b64 s[2:3], s[22:23], 2
	s_lshl_b64 s[4:5], s[16:17], 2
	;; [unrolled: 1-line block ×3, first 2 shown]
	s_branch .LBB438_6
.LBB438_5:                              ;   in Loop: Header=BB438_6 Depth=1
	s_wait_xcnt 0x0
	s_or_b32 exec_lo, exec_lo, s14
	s_add_co_i32 s6, s6, 0x10000
	s_delay_alu instid0(SALU_CYCLE_1)
	s_cmp_lt_u32 s6, s24
	s_cbranch_scc0 .LBB438_35
.LBB438_6:                              ; =>This Loop Header: Depth=1
                                        ;     Child Loop BB438_9 Depth 2
	v_dual_mov_b32 v16, s6 :: v_dual_mov_b32 v23, v17
	v_dual_mov_b32 v22, v17 :: v_dual_mov_b32 v19, v17
	v_mov_b32_e32 v18, v17
	global_load_b64 v[20:21], v16, s[26:27] scale_offset
	s_and_not1_b32 vcc_lo, exec_lo, s35
	s_cbranch_vccnz .LBB438_15
; %bb.7:                                ;   in Loop: Header=BB438_6 Depth=1
	s_lshl_b64 s[14:15], s[6:7], 3
	v_mov_b32_e32 v18, 0
	s_add_nc_u64 s[16:17], s[12:13], s[14:15]
	s_add_nc_u64 s[14:15], s[18:19], s[14:15]
	s_clause 0x1
	global_load_b64 v[22:23], v17, s[16:17]
	global_load_b64 v[24:25], v17, s[14:15]
	s_wait_xcnt 0x0
	s_mov_b64 s[14:15], 0
	v_mov_b32_e32 v19, v18
	s_wait_loadcnt 0x1
	v_add_nc_u64_e32 v[26:27], s[4:5], v[22:23]
	s_wait_loadcnt 0x0
	v_add_nc_u64_e32 v[30:31], s[2:3], v[24:25]
	v_dual_mov_b32 v22, v18 :: v_dual_mov_b32 v23, v18
	s_delay_alu instid0(VALU_DEP_3) | instskip(NEXT) | instid1(VALU_DEP_3)
	v_lshl_add_u64 v[24:25], v[4:5], 2, v[26:27]
	v_lshl_add_u64 v[26:27], v[6:7], 2, v[30:31]
	s_branch .LBB438_9
.LBB438_8:                              ;   in Loop: Header=BB438_9 Depth=2
	s_wait_xcnt 0x0
	s_or_b32 exec_lo, exec_lo, s16
	s_wait_loadcnt_dscnt 0x0
	ds_store_b32 v3, v31
	s_wait_dscnt 0x0
	s_barrier_signal -1
	s_barrier_wait -1
	ds_load_b128 v[30:33], v29
	ds_load_2addr_b32 v[46:47], v28 offset1:16
	ds_load_b128 v[34:37], v29 offset:512
	ds_load_2addr_b32 v[48:49], v28 offset0:32 offset1:48
	ds_load_2addr_b32 v[50:51], v28 offset0:64 offset1:80
	;; [unrolled: 1-line block ×3, first 2 shown]
	ds_load_b128 v[38:41], v29 offset:16
	ds_load_2addr_b32 v[54:55], v28 offset0:128 offset1:144
	ds_load_b128 v[42:45], v29 offset:528
	s_add_nc_u64 s[14:15], s[14:15], 8
	s_delay_alu instid0(SALU_CYCLE_1)
	v_cmp_gt_i64_e64 s16, s[8:9], s[14:15]
	s_and_b32 vcc_lo, exec_lo, s16
	s_wait_dscnt 0x8
	v_mov_b32_e32 v16, v33
	s_wait_dscnt 0x7
	v_pk_fma_f32 v[22:23], v[46:47], v[30:31], v[22:23] op_sel_hi:[1,0,1]
	s_wait_dscnt 0x6
	v_pk_fma_f32 v[18:19], v[46:47], v[34:35], v[18:19] op_sel_hi:[1,0,1]
	ds_load_2addr_b32 v[46:47], v28 offset0:160 offset1:176
	s_wait_dscnt 0x6
	v_pk_fma_f32 v[22:23], v[48:49], v[30:31], v[22:23] op_sel:[0,1,0]
	v_pk_fma_f32 v[18:19], v[48:49], v[34:35], v[18:19] op_sel:[0,1,0]
	ds_load_2addr_b32 v[30:31], v28 offset0:192 offset1:208
	v_mov_b32_e32 v34, v37
	s_wait_dscnt 0x6
	v_pk_fma_f32 v[22:23], v[50:51], v[32:33], v[22:23] op_sel_hi:[1,0,1]
	v_pk_fma_f32 v[18:19], v[50:51], v[36:37], v[18:19] op_sel_hi:[1,0,1]
	ds_load_2addr_b32 v[32:33], v28 offset0:224 offset1:240
	s_wait_dscnt 0x0
	s_barrier_signal -1
	v_pk_fma_f32 v[22:23], v[52:53], v[16:17], v[22:23] op_sel_hi:[1,0,1]
	v_pk_fma_f32 v[18:19], v[52:53], v[34:35], v[18:19] op_sel_hi:[1,0,1]
	v_dual_mov_b32 v16, v41 :: v_dual_mov_b32 v34, v45
	s_barrier_wait -1
	s_delay_alu instid0(VALU_DEP_3) | instskip(NEXT) | instid1(VALU_DEP_3)
	v_pk_fma_f32 v[22:23], v[54:55], v[38:39], v[22:23] op_sel_hi:[1,0,1]
	v_pk_fma_f32 v[18:19], v[54:55], v[42:43], v[18:19] op_sel_hi:[1,0,1]
	s_delay_alu instid0(VALU_DEP_2) | instskip(NEXT) | instid1(VALU_DEP_2)
	v_pk_fma_f32 v[22:23], v[46:47], v[38:39], v[22:23] op_sel:[0,1,0]
	v_pk_fma_f32 v[18:19], v[46:47], v[42:43], v[18:19] op_sel:[0,1,0]
	s_delay_alu instid0(VALU_DEP_2) | instskip(NEXT) | instid1(VALU_DEP_2)
	v_pk_fma_f32 v[22:23], v[30:31], v[40:41], v[22:23] op_sel_hi:[1,0,1]
	v_pk_fma_f32 v[18:19], v[30:31], v[44:45], v[18:19] op_sel_hi:[1,0,1]
	s_delay_alu instid0(VALU_DEP_2) | instskip(NEXT) | instid1(VALU_DEP_2)
	v_pk_fma_f32 v[22:23], v[32:33], v[16:17], v[22:23] op_sel_hi:[1,0,1]
	v_pk_fma_f32 v[18:19], v[32:33], v[34:35], v[18:19] op_sel_hi:[1,0,1]
	s_cbranch_vccz .LBB438_15
.LBB438_9:                              ;   Parent Loop BB438_6 Depth=1
                                        ; =>  This Inner Loop Header: Depth=2
	v_mov_b32_e32 v30, 0
	s_and_saveexec_b32 s16, s0
	s_cbranch_execz .LBB438_13
; %bb.10:                               ;   in Loop: Header=BB438_9 Depth=2
	v_dual_add_nc_u32 v16, s14, v2 :: v_dual_mov_b32 v30, 0
	s_mov_b32 s17, exec_lo
	s_delay_alu instid0(VALU_DEP_1)
	v_cmpx_gt_u64_e64 s[8:9], v[16:17]
	s_cbranch_execz .LBB438_12
; %bb.11:                               ;   in Loop: Header=BB438_9 Depth=2
	v_lshl_add_u64 v[30:31], v[16:17], 2, v[24:25]
	flat_load_b32 v30, v[30:31]
.LBB438_12:                             ;   in Loop: Header=BB438_9 Depth=2
	s_wait_xcnt 0x0
	s_or_b32 exec_lo, exec_lo, s17
.LBB438_13:                             ;   in Loop: Header=BB438_9 Depth=2
	s_delay_alu instid0(SALU_CYCLE_1)
	s_or_b32 exec_lo, exec_lo, s16
	v_dual_mov_b32 v31, 0 :: v_dual_add_nc_u32 v16, s14, v0
	s_wait_loadcnt_dscnt 0x0
	ds_store_b32 v1, v30
	v_cmp_gt_u64_e32 vcc_lo, s[8:9], v[16:17]
	s_and_b32 s17, vcc_lo, s1
	s_delay_alu instid0(SALU_CYCLE_1)
	s_and_saveexec_b32 s16, s17
	s_cbranch_execz .LBB438_8
; %bb.14:                               ;   in Loop: Header=BB438_9 Depth=2
	v_lshl_add_u64 v[30:31], v[16:17], 2, v[26:27]
	flat_load_b32 v31, v[30:31]
	s_branch .LBB438_8
.LBB438_15:                             ;   in Loop: Header=BB438_6 Depth=1
	s_wait_loadcnt 0x0
	v_add_nc_u64_e32 v[20:21], s[10:11], v[20:21]
	s_delay_alu instid0(VALU_DEP_1)
	v_lshl_add_u64 v[24:25], v[8:9], 2, v[20:21]
	s_wait_xcnt 0x0
	s_and_saveexec_b32 s14, s21
	s_cbranch_execz .LBB438_19
; %bb.16:                               ;   in Loop: Header=BB438_6 Depth=1
	v_mul_f32_e32 v16, s34, v22
	v_lshl_add_u64 v[26:27], v[12:13], 2, v[24:25]
	s_and_b32 vcc_lo, exec_lo, s20
	s_cbranch_vccz .LBB438_30
; %bb.17:                               ;   in Loop: Header=BB438_6 Depth=1
	flat_load_b32 v22, v[26:27]
	s_wait_loadcnt_dscnt 0x0
	v_fma_f32 v22, s33, v22, v16
	flat_store_b32 v[26:27], v22
	s_cbranch_execnz .LBB438_19
.LBB438_18:                             ;   in Loop: Header=BB438_6 Depth=1
	flat_store_b32 v[26:27], v16
.LBB438_19:                             ;   in Loop: Header=BB438_6 Depth=1
	s_wait_xcnt 0x0
	s_or_b32 exec_lo, exec_lo, s14
	s_and_saveexec_b32 s14, s25
	s_cbranch_execz .LBB438_23
; %bb.20:                               ;   in Loop: Header=BB438_6 Depth=1
	v_mul_f32_e32 v16, s34, v23
	v_lshl_add_u64 v[22:23], v[14:15], 2, v[24:25]
	s_and_not1_b32 vcc_lo, exec_lo, s20
	s_cbranch_vccnz .LBB438_31
; %bb.21:                               ;   in Loop: Header=BB438_6 Depth=1
	flat_load_b32 v24, v[22:23]
	s_wait_loadcnt_dscnt 0x0
	v_fma_f32 v24, s33, v24, v16
	flat_store_b32 v[22:23], v24
	s_cbranch_execnz .LBB438_23
.LBB438_22:                             ;   in Loop: Header=BB438_6 Depth=1
	flat_store_b32 v[22:23], v16
.LBB438_23:                             ;   in Loop: Header=BB438_6 Depth=1
	s_wait_xcnt 0x0
	s_or_b32 exec_lo, exec_lo, s14
	v_lshl_add_u64 v[20:21], v[10:11], 2, v[20:21]
	s_and_saveexec_b32 s14, s28
	s_cbranch_execz .LBB438_27
; %bb.24:                               ;   in Loop: Header=BB438_6 Depth=1
	v_mul_f32_e32 v16, s34, v18
	s_delay_alu instid0(VALU_DEP_2)
	v_lshl_add_u64 v[22:23], v[12:13], 2, v[20:21]
	s_and_not1_b32 vcc_lo, exec_lo, s20
	s_cbranch_vccnz .LBB438_32
; %bb.25:                               ;   in Loop: Header=BB438_6 Depth=1
	flat_load_b32 v18, v[22:23]
	s_wait_loadcnt_dscnt 0x0
	v_fma_f32 v18, s33, v18, v16
	flat_store_b32 v[22:23], v18
	s_cbranch_execnz .LBB438_27
.LBB438_26:                             ;   in Loop: Header=BB438_6 Depth=1
	flat_store_b32 v[22:23], v16
.LBB438_27:                             ;   in Loop: Header=BB438_6 Depth=1
	s_wait_xcnt 0x0
	s_or_b32 exec_lo, exec_lo, s14
	s_and_saveexec_b32 s14, s29
	s_cbranch_execz .LBB438_5
; %bb.28:                               ;   in Loop: Header=BB438_6 Depth=1
	v_mul_f32_e32 v16, s34, v19
	v_lshl_add_u64 v[18:19], v[14:15], 2, v[20:21]
	s_and_not1_b32 vcc_lo, exec_lo, s20
	s_cbranch_vccnz .LBB438_33
; %bb.29:                               ;   in Loop: Header=BB438_6 Depth=1
	flat_load_b32 v20, v[18:19]
	s_wait_loadcnt_dscnt 0x0
	v_fma_f32 v20, s33, v20, v16
	flat_store_b32 v[18:19], v20
	s_cbranch_execnz .LBB438_5
	s_branch .LBB438_34
.LBB438_30:                             ;   in Loop: Header=BB438_6 Depth=1
	s_branch .LBB438_18
.LBB438_31:                             ;   in Loop: Header=BB438_6 Depth=1
	s_branch .LBB438_22
.LBB438_32:                             ;   in Loop: Header=BB438_6 Depth=1
	s_branch .LBB438_26
.LBB438_33:                             ;   in Loop: Header=BB438_6 Depth=1
.LBB438_34:                             ;   in Loop: Header=BB438_6 Depth=1
	flat_store_b32 v[18:19], v16
	s_branch .LBB438_5
.LBB438_35:
	s_endpgm
	.section	.rodata,"a",@progbits
	.p2align	6, 0x0
	.amdhsa_kernel _ZL29rocblas_internal_gemmt_kernelIlLi16ELi32ELi8ELc67ELc78ELc85ELb0ELb0EfPKfPKS1_PKPfEviT_T9_T10_S7_lS9_S7_lS8_T11_S7_li
		.amdhsa_group_segment_fixed_size 2048
		.amdhsa_private_segment_fixed_size 0
		.amdhsa_kernarg_size 108
		.amdhsa_user_sgpr_count 2
		.amdhsa_user_sgpr_dispatch_ptr 0
		.amdhsa_user_sgpr_queue_ptr 0
		.amdhsa_user_sgpr_kernarg_segment_ptr 1
		.amdhsa_user_sgpr_dispatch_id 0
		.amdhsa_user_sgpr_kernarg_preload_length 0
		.amdhsa_user_sgpr_kernarg_preload_offset 0
		.amdhsa_user_sgpr_private_segment_size 0
		.amdhsa_wavefront_size32 1
		.amdhsa_uses_dynamic_stack 0
		.amdhsa_enable_private_segment 0
		.amdhsa_system_sgpr_workgroup_id_x 1
		.amdhsa_system_sgpr_workgroup_id_y 1
		.amdhsa_system_sgpr_workgroup_id_z 1
		.amdhsa_system_sgpr_workgroup_info 0
		.amdhsa_system_vgpr_workitem_id 1
		.amdhsa_next_free_vgpr 56
		.amdhsa_next_free_sgpr 36
		.amdhsa_named_barrier_count 0
		.amdhsa_reserve_vcc 1
		.amdhsa_float_round_mode_32 0
		.amdhsa_float_round_mode_16_64 0
		.amdhsa_float_denorm_mode_32 3
		.amdhsa_float_denorm_mode_16_64 3
		.amdhsa_fp16_overflow 0
		.amdhsa_memory_ordered 1
		.amdhsa_forward_progress 1
		.amdhsa_inst_pref_size 13
		.amdhsa_round_robin_scheduling 0
		.amdhsa_exception_fp_ieee_invalid_op 0
		.amdhsa_exception_fp_denorm_src 0
		.amdhsa_exception_fp_ieee_div_zero 0
		.amdhsa_exception_fp_ieee_overflow 0
		.amdhsa_exception_fp_ieee_underflow 0
		.amdhsa_exception_fp_ieee_inexact 0
		.amdhsa_exception_int_div_zero 0
	.end_amdhsa_kernel
	.section	.text._ZL29rocblas_internal_gemmt_kernelIlLi16ELi32ELi8ELc67ELc78ELc85ELb0ELb0EfPKfPKS1_PKPfEviT_T9_T10_S7_lS9_S7_lS8_T11_S7_li,"axG",@progbits,_ZL29rocblas_internal_gemmt_kernelIlLi16ELi32ELi8ELc67ELc78ELc85ELb0ELb0EfPKfPKS1_PKPfEviT_T9_T10_S7_lS9_S7_lS8_T11_S7_li,comdat
.Lfunc_end438:
	.size	_ZL29rocblas_internal_gemmt_kernelIlLi16ELi32ELi8ELc67ELc78ELc85ELb0ELb0EfPKfPKS1_PKPfEviT_T9_T10_S7_lS9_S7_lS8_T11_S7_li, .Lfunc_end438-_ZL29rocblas_internal_gemmt_kernelIlLi16ELi32ELi8ELc67ELc78ELc85ELb0ELb0EfPKfPKS1_PKPfEviT_T9_T10_S7_lS9_S7_lS8_T11_S7_li
                                        ; -- End function
	.set _ZL29rocblas_internal_gemmt_kernelIlLi16ELi32ELi8ELc67ELc78ELc85ELb0ELb0EfPKfPKS1_PKPfEviT_T9_T10_S7_lS9_S7_lS8_T11_S7_li.num_vgpr, 56
	.set _ZL29rocblas_internal_gemmt_kernelIlLi16ELi32ELi8ELc67ELc78ELc85ELb0ELb0EfPKfPKS1_PKPfEviT_T9_T10_S7_lS9_S7_lS8_T11_S7_li.num_agpr, 0
	.set _ZL29rocblas_internal_gemmt_kernelIlLi16ELi32ELi8ELc67ELc78ELc85ELb0ELb0EfPKfPKS1_PKPfEviT_T9_T10_S7_lS9_S7_lS8_T11_S7_li.numbered_sgpr, 36
	.set _ZL29rocblas_internal_gemmt_kernelIlLi16ELi32ELi8ELc67ELc78ELc85ELb0ELb0EfPKfPKS1_PKPfEviT_T9_T10_S7_lS9_S7_lS8_T11_S7_li.num_named_barrier, 0
	.set _ZL29rocblas_internal_gemmt_kernelIlLi16ELi32ELi8ELc67ELc78ELc85ELb0ELb0EfPKfPKS1_PKPfEviT_T9_T10_S7_lS9_S7_lS8_T11_S7_li.private_seg_size, 0
	.set _ZL29rocblas_internal_gemmt_kernelIlLi16ELi32ELi8ELc67ELc78ELc85ELb0ELb0EfPKfPKS1_PKPfEviT_T9_T10_S7_lS9_S7_lS8_T11_S7_li.uses_vcc, 1
	.set _ZL29rocblas_internal_gemmt_kernelIlLi16ELi32ELi8ELc67ELc78ELc85ELb0ELb0EfPKfPKS1_PKPfEviT_T9_T10_S7_lS9_S7_lS8_T11_S7_li.uses_flat_scratch, 0
	.set _ZL29rocblas_internal_gemmt_kernelIlLi16ELi32ELi8ELc67ELc78ELc85ELb0ELb0EfPKfPKS1_PKPfEviT_T9_T10_S7_lS9_S7_lS8_T11_S7_li.has_dyn_sized_stack, 0
	.set _ZL29rocblas_internal_gemmt_kernelIlLi16ELi32ELi8ELc67ELc78ELc85ELb0ELb0EfPKfPKS1_PKPfEviT_T9_T10_S7_lS9_S7_lS8_T11_S7_li.has_recursion, 0
	.set _ZL29rocblas_internal_gemmt_kernelIlLi16ELi32ELi8ELc67ELc78ELc85ELb0ELb0EfPKfPKS1_PKPfEviT_T9_T10_S7_lS9_S7_lS8_T11_S7_li.has_indirect_call, 0
	.section	.AMDGPU.csdata,"",@progbits
; Kernel info:
; codeLenInByte = 1652
; TotalNumSgprs: 38
; NumVgprs: 56
; ScratchSize: 0
; MemoryBound: 0
; FloatMode: 240
; IeeeMode: 1
; LDSByteSize: 2048 bytes/workgroup (compile time only)
; SGPRBlocks: 0
; VGPRBlocks: 3
; NumSGPRsForWavesPerEU: 38
; NumVGPRsForWavesPerEU: 56
; NamedBarCnt: 0
; Occupancy: 16
; WaveLimiterHint : 1
; COMPUTE_PGM_RSRC2:SCRATCH_EN: 0
; COMPUTE_PGM_RSRC2:USER_SGPR: 2
; COMPUTE_PGM_RSRC2:TRAP_HANDLER: 0
; COMPUTE_PGM_RSRC2:TGID_X_EN: 1
; COMPUTE_PGM_RSRC2:TGID_Y_EN: 1
; COMPUTE_PGM_RSRC2:TGID_Z_EN: 1
; COMPUTE_PGM_RSRC2:TIDIG_COMP_CNT: 1
	.section	.text._ZL29rocblas_internal_gemmt_kernelIlLi16ELi32ELi8ELc67ELc84ELc85ELb0ELb0EfPKfPKS1_PKPfEviT_T9_T10_S7_lS9_S7_lS8_T11_S7_li,"axG",@progbits,_ZL29rocblas_internal_gemmt_kernelIlLi16ELi32ELi8ELc67ELc84ELc85ELb0ELb0EfPKfPKS1_PKPfEviT_T9_T10_S7_lS9_S7_lS8_T11_S7_li,comdat
	.globl	_ZL29rocblas_internal_gemmt_kernelIlLi16ELi32ELi8ELc67ELc84ELc85ELb0ELb0EfPKfPKS1_PKPfEviT_T9_T10_S7_lS9_S7_lS8_T11_S7_li ; -- Begin function _ZL29rocblas_internal_gemmt_kernelIlLi16ELi32ELi8ELc67ELc84ELc85ELb0ELb0EfPKfPKS1_PKPfEviT_T9_T10_S7_lS9_S7_lS8_T11_S7_li
	.p2align	8
	.type	_ZL29rocblas_internal_gemmt_kernelIlLi16ELi32ELi8ELc67ELc84ELc85ELb0ELb0EfPKfPKS1_PKPfEviT_T9_T10_S7_lS9_S7_lS8_T11_S7_li,@function
_ZL29rocblas_internal_gemmt_kernelIlLi16ELi32ELi8ELc67ELc84ELc85ELb0ELb0EfPKfPKS1_PKPfEviT_T9_T10_S7_lS9_S7_lS8_T11_S7_li: ; @_ZL29rocblas_internal_gemmt_kernelIlLi16ELi32ELi8ELc67ELc84ELc85ELb0ELb0EfPKfPKS1_PKPfEviT_T9_T10_S7_lS9_S7_lS8_T11_S7_li
; %bb.0:
	s_clause 0x1
	s_load_b256 s[24:31], s[0:1], 0x48
	s_load_b512 s[8:23], s[0:1], 0x8
	s_wait_kmcnt 0x0
	s_load_b32 s33, s[24:25], 0x0
	s_load_b32 s34, s[10:11], 0x0
	s_wait_kmcnt 0x0
	s_cmp_neq_f32 s33, 1.0
	s_cselect_b32 s2, -1, 0
	s_delay_alu instid0(SALU_CYCLE_1)
	s_and_b32 vcc_lo, exec_lo, s2
	s_cbranch_vccnz .LBB439_2
; %bb.1:
	s_cmp_lg_u64 s[8:9], 0
	s_cselect_b32 s2, -1, 0
	s_cmp_neq_f32 s34, 0
	s_cselect_b32 s3, -1, 0
	s_delay_alu instid0(SALU_CYCLE_1)
	s_and_b32 s2, s2, s3
.LBB439_2:
	s_delay_alu instid0(SALU_CYCLE_1)
	s_and_not1_b32 vcc_lo, exec_lo, s2
	s_cbranch_vccnz .LBB439_35
; %bb.3:
	s_load_b32 s24, s[0:1], 0x68
	s_bfe_u32 s2, ttmp6, 0x40014
	s_lshr_b32 s3, ttmp7, 16
	s_add_co_i32 s2, s2, 1
	s_bfe_u32 s5, ttmp6, 0x40008
	s_mul_i32 s4, s3, s2
	s_getreg_b32 s2, hwreg(HW_REG_IB_STS2, 6, 4)
	s_add_co_i32 s5, s5, s4
	s_cmp_eq_u32 s2, 0
	s_mov_b32 s7, 0
	s_cselect_b32 s6, s3, s5
	s_wait_kmcnt 0x0
	s_cmp_ge_u32 s6, s24
	s_cbranch_scc1 .LBB439_35
; %bb.4:
	s_load_b32 s3, s[0:1], 0x0
	s_wait_xcnt 0x0
	s_bfe_u32 s1, ttmp6, 0x4000c
	s_bfe_u32 s5, ttmp6, 0x40010
	s_and_b32 s4, ttmp7, 0xffff
	s_add_co_i32 s1, s1, 1
	s_add_co_i32 s5, s5, 1
	v_and_b32_e32 v15, 0x3ff, v0
	v_bfe_u32 v20, v0, 10, 10
	s_and_b32 s0, ttmp6, 15
	s_mul_i32 s1, ttmp9, s1
	s_mul_i32 s5, s4, s5
	s_bfe_u32 s10, ttmp6, 0x40004
	s_add_co_i32 s0, s0, s1
	s_add_co_i32 s10, s10, s5
	s_cmp_eq_u32 s2, 0
	v_lshl_add_u32 v1, v20, 4, v15
	s_cselect_b32 s1, s4, s10
	s_cselect_b32 s0, ttmp9, s0
	s_lshl_b32 s1, s1, 5
	s_delay_alu instid0(VALU_DEP_1) | instskip(SKIP_3) | instid1(VALU_DEP_2)
	v_dual_lshrrev_b32 v2, 5, v1 :: v_dual_bitop2_b32 v0, 7, v0 bitop3:0x40
	v_dual_lshrrev_b32 v1, 3, v1 :: v_dual_bitop2_b32 v3, 31, v1 bitop3:0x40
	s_lshl_b32 s2, s0, 5
	v_add_nc_u32_e32 v16, s1, v20
	v_dual_lshlrev_b32 v5, 2, v0 :: v_dual_bitop2_b32 v12, s2, v3 bitop3:0x54
	s_delay_alu instid0(VALU_DEP_3) | instskip(NEXT) | instid1(VALU_DEP_3)
	v_dual_add_nc_u32 v4, s1, v1 :: v_dual_lshlrev_b32 v3, 2, v3
	v_dual_ashrrev_i32 v17, 31, v16 :: v_dual_add_nc_u32 v18, 16, v16
	s_delay_alu instid0(VALU_DEP_3)
	v_ashrrev_i32_e32 v13, 31, v12
	s_wait_kmcnt 0x0
	v_cmp_gt_i32_e64 s0, s3, v12
	s_cmp_neq_f32 s34, 0
	v_mul_u64_e32 v[8:9], s[28:29], v[16:17]
	v_ashrrev_i32_e32 v19, 31, v18
	v_mul_u64_e32 v[6:7], s[14:15], v[12:13]
	v_add_nc_u32_e32 v12, s2, v15
	v_cmp_gt_i32_e32 vcc_lo, s3, v16
	s_cselect_b32 s10, -1, 0
	v_mul_u64_e32 v[10:11], s[28:29], v[18:19]
	s_cmp_neq_f32 s33, 0
	v_cmp_le_i32_e64 s2, v12, v16
	v_dual_add_nc_u32 v14, 16, v12 :: v_dual_ashrrev_i32 v13, 31, v12
	v_lshl_or_b32 v5, v1, 5, v5
	v_cmp_gt_i64_e64 s11, s[8:9], 0
	v_cmp_gt_i32_e64 s1, s3, v4
	s_cselect_b32 s25, -1, 0
	s_and_b32 s28, vcc_lo, s2
	v_cmp_le_i32_e64 s2, v14, v16
	v_cmp_gt_i32_e64 s3, s3, v18
	v_cmp_le_i32_e64 s4, v12, v18
	v_cmp_le_i32_e64 s5, v14, v18
	v_lshl_or_b32 v1, v2, 7, v3
	v_add_nc_u32_e32 v3, 0x400, v5
	v_dual_ashrrev_i32 v5, 31, v4 :: v_dual_lshlrev_b32 v28, 2, v15
	v_lshl_add_u32 v29, v20, 5, 0x400
	v_dual_ashrrev_i32 v15, 31, v14 :: v_dual_mov_b32 v17, 0
	s_and_b32 s29, vcc_lo, s2
	s_and_b32 s35, s3, s4
	s_and_b32 s36, s3, s5
	;; [unrolled: 1-line block ×3, first 2 shown]
	s_lshl_b64 s[2:3], s[22:23], 2
	s_lshl_b64 s[4:5], s[16:17], 2
	;; [unrolled: 1-line block ×3, first 2 shown]
	s_branch .LBB439_6
.LBB439_5:                              ;   in Loop: Header=BB439_6 Depth=1
	s_wait_xcnt 0x0
	s_or_b32 exec_lo, exec_lo, s14
	s_add_co_i32 s6, s6, 0x10000
	s_delay_alu instid0(SALU_CYCLE_1)
	s_cmp_lt_u32 s6, s24
	s_cbranch_scc0 .LBB439_35
.LBB439_6:                              ; =>This Loop Header: Depth=1
                                        ;     Child Loop BB439_9 Depth 2
	v_dual_mov_b32 v16, s6 :: v_dual_mov_b32 v23, v17
	v_dual_mov_b32 v22, v17 :: v_dual_mov_b32 v19, v17
	v_mov_b32_e32 v18, v17
	global_load_b64 v[20:21], v16, s[26:27] scale_offset
	s_and_not1_b32 vcc_lo, exec_lo, s37
	s_cbranch_vccnz .LBB439_15
; %bb.7:                                ;   in Loop: Header=BB439_6 Depth=1
	s_lshl_b64 s[14:15], s[6:7], 3
	v_mov_b32_e32 v18, 0
	s_add_nc_u64 s[16:17], s[12:13], s[14:15]
	s_add_nc_u64 s[14:15], s[18:19], s[14:15]
	s_clause 0x1
	global_load_b64 v[22:23], v17, s[16:17]
	global_load_b64 v[24:25], v17, s[14:15]
	s_wait_xcnt 0x0
	s_mov_b64 s[14:15], 0
	v_mov_b32_e32 v19, v18
	s_wait_loadcnt 0x1
	v_add_nc_u64_e32 v[26:27], s[4:5], v[22:23]
	s_wait_loadcnt 0x0
	v_add_nc_u64_e32 v[30:31], s[2:3], v[24:25]
	v_dual_mov_b32 v22, v18 :: v_dual_mov_b32 v23, v18
	s_delay_alu instid0(VALU_DEP_3) | instskip(NEXT) | instid1(VALU_DEP_3)
	v_lshl_add_u64 v[24:25], v[6:7], 2, v[26:27]
	v_lshl_add_u64 v[26:27], v[4:5], 2, v[30:31]
	s_branch .LBB439_9
.LBB439_8:                              ;   in Loop: Header=BB439_9 Depth=2
	s_wait_xcnt 0x0
	s_or_b32 exec_lo, exec_lo, s16
	s_wait_loadcnt_dscnt 0x0
	ds_store_b32 v3, v31
	s_wait_dscnt 0x0
	s_barrier_signal -1
	s_barrier_wait -1
	ds_load_b128 v[30:33], v29
	ds_load_2addr_b32 v[46:47], v28 offset1:16
	ds_load_b128 v[34:37], v29 offset:512
	ds_load_2addr_b32 v[48:49], v28 offset0:32 offset1:48
	ds_load_2addr_b32 v[50:51], v28 offset0:64 offset1:80
	;; [unrolled: 1-line block ×3, first 2 shown]
	ds_load_b128 v[38:41], v29 offset:16
	ds_load_2addr_b32 v[54:55], v28 offset0:128 offset1:144
	ds_load_b128 v[42:45], v29 offset:528
	s_add_nc_u64 s[14:15], s[14:15], 8
	s_delay_alu instid0(SALU_CYCLE_1)
	v_cmp_gt_i64_e64 s16, s[8:9], s[14:15]
	s_and_b32 vcc_lo, exec_lo, s16
	s_wait_dscnt 0x8
	v_mov_b32_e32 v16, v33
	s_wait_dscnt 0x7
	v_pk_fma_f32 v[22:23], v[46:47], v[30:31], v[22:23] op_sel_hi:[1,0,1]
	s_wait_dscnt 0x6
	v_pk_fma_f32 v[18:19], v[46:47], v[34:35], v[18:19] op_sel_hi:[1,0,1]
	ds_load_2addr_b32 v[46:47], v28 offset0:160 offset1:176
	s_wait_dscnt 0x6
	v_pk_fma_f32 v[22:23], v[48:49], v[30:31], v[22:23] op_sel:[0,1,0]
	v_pk_fma_f32 v[18:19], v[48:49], v[34:35], v[18:19] op_sel:[0,1,0]
	ds_load_2addr_b32 v[30:31], v28 offset0:192 offset1:208
	v_mov_b32_e32 v34, v37
	s_wait_dscnt 0x6
	v_pk_fma_f32 v[22:23], v[50:51], v[32:33], v[22:23] op_sel_hi:[1,0,1]
	v_pk_fma_f32 v[18:19], v[50:51], v[36:37], v[18:19] op_sel_hi:[1,0,1]
	ds_load_2addr_b32 v[32:33], v28 offset0:224 offset1:240
	s_wait_dscnt 0x0
	s_barrier_signal -1
	v_pk_fma_f32 v[22:23], v[52:53], v[16:17], v[22:23] op_sel_hi:[1,0,1]
	v_pk_fma_f32 v[18:19], v[52:53], v[34:35], v[18:19] op_sel_hi:[1,0,1]
	v_dual_mov_b32 v16, v41 :: v_dual_mov_b32 v34, v45
	s_barrier_wait -1
	s_delay_alu instid0(VALU_DEP_3) | instskip(NEXT) | instid1(VALU_DEP_3)
	v_pk_fma_f32 v[22:23], v[54:55], v[38:39], v[22:23] op_sel_hi:[1,0,1]
	v_pk_fma_f32 v[18:19], v[54:55], v[42:43], v[18:19] op_sel_hi:[1,0,1]
	s_delay_alu instid0(VALU_DEP_2) | instskip(NEXT) | instid1(VALU_DEP_2)
	v_pk_fma_f32 v[22:23], v[46:47], v[38:39], v[22:23] op_sel:[0,1,0]
	v_pk_fma_f32 v[18:19], v[46:47], v[42:43], v[18:19] op_sel:[0,1,0]
	s_delay_alu instid0(VALU_DEP_2) | instskip(NEXT) | instid1(VALU_DEP_2)
	v_pk_fma_f32 v[22:23], v[30:31], v[40:41], v[22:23] op_sel_hi:[1,0,1]
	v_pk_fma_f32 v[18:19], v[30:31], v[44:45], v[18:19] op_sel_hi:[1,0,1]
	s_delay_alu instid0(VALU_DEP_2) | instskip(NEXT) | instid1(VALU_DEP_2)
	v_pk_fma_f32 v[22:23], v[32:33], v[16:17], v[22:23] op_sel_hi:[1,0,1]
	v_pk_fma_f32 v[18:19], v[32:33], v[34:35], v[18:19] op_sel_hi:[1,0,1]
	s_cbranch_vccz .LBB439_15
.LBB439_9:                              ;   Parent Loop BB439_6 Depth=1
                                        ; =>  This Inner Loop Header: Depth=2
	v_mov_b32_e32 v30, 0
	s_and_saveexec_b32 s16, s0
	s_cbranch_execz .LBB439_13
; %bb.10:                               ;   in Loop: Header=BB439_9 Depth=2
	v_dual_add_nc_u32 v16, s14, v2 :: v_dual_mov_b32 v30, 0
	s_mov_b32 s17, exec_lo
	s_delay_alu instid0(VALU_DEP_1)
	v_cmpx_gt_u64_e64 s[8:9], v[16:17]
	s_cbranch_execz .LBB439_12
; %bb.11:                               ;   in Loop: Header=BB439_9 Depth=2
	v_lshl_add_u64 v[30:31], v[16:17], 2, v[24:25]
	flat_load_b32 v30, v[30:31]
.LBB439_12:                             ;   in Loop: Header=BB439_9 Depth=2
	s_wait_xcnt 0x0
	s_or_b32 exec_lo, exec_lo, s17
.LBB439_13:                             ;   in Loop: Header=BB439_9 Depth=2
	s_delay_alu instid0(SALU_CYCLE_1)
	s_or_b32 exec_lo, exec_lo, s16
	v_dual_mov_b32 v31, 0 :: v_dual_add_nc_u32 v16, s14, v0
	s_wait_loadcnt_dscnt 0x0
	ds_store_b32 v1, v30
	v_cmp_gt_u64_e32 vcc_lo, s[8:9], v[16:17]
	s_and_b32 s17, vcc_lo, s1
	s_delay_alu instid0(SALU_CYCLE_1)
	s_and_saveexec_b32 s16, s17
	s_cbranch_execz .LBB439_8
; %bb.14:                               ;   in Loop: Header=BB439_9 Depth=2
	v_mul_u64_e32 v[30:31], s[20:21], v[16:17]
	s_delay_alu instid0(VALU_DEP_1)
	v_lshl_add_u64 v[30:31], v[30:31], 2, v[26:27]
	flat_load_b32 v31, v[30:31]
	s_branch .LBB439_8
.LBB439_15:                             ;   in Loop: Header=BB439_6 Depth=1
	s_wait_loadcnt 0x0
	v_add_nc_u64_e32 v[20:21], s[10:11], v[20:21]
	s_delay_alu instid0(VALU_DEP_1)
	v_lshl_add_u64 v[24:25], v[8:9], 2, v[20:21]
	s_wait_xcnt 0x0
	s_and_saveexec_b32 s14, s28
	s_cbranch_execz .LBB439_19
; %bb.16:                               ;   in Loop: Header=BB439_6 Depth=1
	v_mul_f32_e32 v16, s34, v22
	v_lshl_add_u64 v[26:27], v[12:13], 2, v[24:25]
	s_and_b32 vcc_lo, exec_lo, s25
	s_cbranch_vccz .LBB439_30
; %bb.17:                               ;   in Loop: Header=BB439_6 Depth=1
	flat_load_b32 v22, v[26:27]
	s_wait_loadcnt_dscnt 0x0
	v_fma_f32 v22, s33, v22, v16
	flat_store_b32 v[26:27], v22
	s_cbranch_execnz .LBB439_19
.LBB439_18:                             ;   in Loop: Header=BB439_6 Depth=1
	flat_store_b32 v[26:27], v16
.LBB439_19:                             ;   in Loop: Header=BB439_6 Depth=1
	s_wait_xcnt 0x0
	s_or_b32 exec_lo, exec_lo, s14
	s_and_saveexec_b32 s14, s29
	s_cbranch_execz .LBB439_23
; %bb.20:                               ;   in Loop: Header=BB439_6 Depth=1
	v_mul_f32_e32 v16, s34, v23
	v_lshl_add_u64 v[22:23], v[14:15], 2, v[24:25]
	s_and_not1_b32 vcc_lo, exec_lo, s25
	s_cbranch_vccnz .LBB439_31
; %bb.21:                               ;   in Loop: Header=BB439_6 Depth=1
	flat_load_b32 v24, v[22:23]
	s_wait_loadcnt_dscnt 0x0
	v_fma_f32 v24, s33, v24, v16
	flat_store_b32 v[22:23], v24
	s_cbranch_execnz .LBB439_23
.LBB439_22:                             ;   in Loop: Header=BB439_6 Depth=1
	flat_store_b32 v[22:23], v16
.LBB439_23:                             ;   in Loop: Header=BB439_6 Depth=1
	s_wait_xcnt 0x0
	s_or_b32 exec_lo, exec_lo, s14
	v_lshl_add_u64 v[20:21], v[10:11], 2, v[20:21]
	s_and_saveexec_b32 s14, s35
	s_cbranch_execz .LBB439_27
; %bb.24:                               ;   in Loop: Header=BB439_6 Depth=1
	v_mul_f32_e32 v16, s34, v18
	s_delay_alu instid0(VALU_DEP_2)
	v_lshl_add_u64 v[22:23], v[12:13], 2, v[20:21]
	s_and_not1_b32 vcc_lo, exec_lo, s25
	s_cbranch_vccnz .LBB439_32
; %bb.25:                               ;   in Loop: Header=BB439_6 Depth=1
	flat_load_b32 v18, v[22:23]
	s_wait_loadcnt_dscnt 0x0
	v_fma_f32 v18, s33, v18, v16
	flat_store_b32 v[22:23], v18
	s_cbranch_execnz .LBB439_27
.LBB439_26:                             ;   in Loop: Header=BB439_6 Depth=1
	flat_store_b32 v[22:23], v16
.LBB439_27:                             ;   in Loop: Header=BB439_6 Depth=1
	s_wait_xcnt 0x0
	s_or_b32 exec_lo, exec_lo, s14
	s_and_saveexec_b32 s14, s36
	s_cbranch_execz .LBB439_5
; %bb.28:                               ;   in Loop: Header=BB439_6 Depth=1
	v_mul_f32_e32 v16, s34, v19
	v_lshl_add_u64 v[18:19], v[14:15], 2, v[20:21]
	s_and_not1_b32 vcc_lo, exec_lo, s25
	s_cbranch_vccnz .LBB439_33
; %bb.29:                               ;   in Loop: Header=BB439_6 Depth=1
	flat_load_b32 v20, v[18:19]
	s_wait_loadcnt_dscnt 0x0
	v_fma_f32 v20, s33, v20, v16
	flat_store_b32 v[18:19], v20
	s_cbranch_execnz .LBB439_5
	s_branch .LBB439_34
.LBB439_30:                             ;   in Loop: Header=BB439_6 Depth=1
	s_branch .LBB439_18
.LBB439_31:                             ;   in Loop: Header=BB439_6 Depth=1
	s_branch .LBB439_22
.LBB439_32:                             ;   in Loop: Header=BB439_6 Depth=1
	s_branch .LBB439_26
.LBB439_33:                             ;   in Loop: Header=BB439_6 Depth=1
.LBB439_34:                             ;   in Loop: Header=BB439_6 Depth=1
	flat_store_b32 v[18:19], v16
	s_branch .LBB439_5
.LBB439_35:
	s_endpgm
	.section	.rodata,"a",@progbits
	.p2align	6, 0x0
	.amdhsa_kernel _ZL29rocblas_internal_gemmt_kernelIlLi16ELi32ELi8ELc67ELc84ELc85ELb0ELb0EfPKfPKS1_PKPfEviT_T9_T10_S7_lS9_S7_lS8_T11_S7_li
		.amdhsa_group_segment_fixed_size 2048
		.amdhsa_private_segment_fixed_size 0
		.amdhsa_kernarg_size 108
		.amdhsa_user_sgpr_count 2
		.amdhsa_user_sgpr_dispatch_ptr 0
		.amdhsa_user_sgpr_queue_ptr 0
		.amdhsa_user_sgpr_kernarg_segment_ptr 1
		.amdhsa_user_sgpr_dispatch_id 0
		.amdhsa_user_sgpr_kernarg_preload_length 0
		.amdhsa_user_sgpr_kernarg_preload_offset 0
		.amdhsa_user_sgpr_private_segment_size 0
		.amdhsa_wavefront_size32 1
		.amdhsa_uses_dynamic_stack 0
		.amdhsa_enable_private_segment 0
		.amdhsa_system_sgpr_workgroup_id_x 1
		.amdhsa_system_sgpr_workgroup_id_y 1
		.amdhsa_system_sgpr_workgroup_id_z 1
		.amdhsa_system_sgpr_workgroup_info 0
		.amdhsa_system_vgpr_workitem_id 1
		.amdhsa_next_free_vgpr 56
		.amdhsa_next_free_sgpr 38
		.amdhsa_named_barrier_count 0
		.amdhsa_reserve_vcc 1
		.amdhsa_float_round_mode_32 0
		.amdhsa_float_round_mode_16_64 0
		.amdhsa_float_denorm_mode_32 3
		.amdhsa_float_denorm_mode_16_64 3
		.amdhsa_fp16_overflow 0
		.amdhsa_memory_ordered 1
		.amdhsa_forward_progress 1
		.amdhsa_inst_pref_size 13
		.amdhsa_round_robin_scheduling 0
		.amdhsa_exception_fp_ieee_invalid_op 0
		.amdhsa_exception_fp_denorm_src 0
		.amdhsa_exception_fp_ieee_div_zero 0
		.amdhsa_exception_fp_ieee_overflow 0
		.amdhsa_exception_fp_ieee_underflow 0
		.amdhsa_exception_fp_ieee_inexact 0
		.amdhsa_exception_int_div_zero 0
	.end_amdhsa_kernel
	.section	.text._ZL29rocblas_internal_gemmt_kernelIlLi16ELi32ELi8ELc67ELc84ELc85ELb0ELb0EfPKfPKS1_PKPfEviT_T9_T10_S7_lS9_S7_lS8_T11_S7_li,"axG",@progbits,_ZL29rocblas_internal_gemmt_kernelIlLi16ELi32ELi8ELc67ELc84ELc85ELb0ELb0EfPKfPKS1_PKPfEviT_T9_T10_S7_lS9_S7_lS8_T11_S7_li,comdat
.Lfunc_end439:
	.size	_ZL29rocblas_internal_gemmt_kernelIlLi16ELi32ELi8ELc67ELc84ELc85ELb0ELb0EfPKfPKS1_PKPfEviT_T9_T10_S7_lS9_S7_lS8_T11_S7_li, .Lfunc_end439-_ZL29rocblas_internal_gemmt_kernelIlLi16ELi32ELi8ELc67ELc84ELc85ELb0ELb0EfPKfPKS1_PKPfEviT_T9_T10_S7_lS9_S7_lS8_T11_S7_li
                                        ; -- End function
	.set _ZL29rocblas_internal_gemmt_kernelIlLi16ELi32ELi8ELc67ELc84ELc85ELb0ELb0EfPKfPKS1_PKPfEviT_T9_T10_S7_lS9_S7_lS8_T11_S7_li.num_vgpr, 56
	.set _ZL29rocblas_internal_gemmt_kernelIlLi16ELi32ELi8ELc67ELc84ELc85ELb0ELb0EfPKfPKS1_PKPfEviT_T9_T10_S7_lS9_S7_lS8_T11_S7_li.num_agpr, 0
	.set _ZL29rocblas_internal_gemmt_kernelIlLi16ELi32ELi8ELc67ELc84ELc85ELb0ELb0EfPKfPKS1_PKPfEviT_T9_T10_S7_lS9_S7_lS8_T11_S7_li.numbered_sgpr, 38
	.set _ZL29rocblas_internal_gemmt_kernelIlLi16ELi32ELi8ELc67ELc84ELc85ELb0ELb0EfPKfPKS1_PKPfEviT_T9_T10_S7_lS9_S7_lS8_T11_S7_li.num_named_barrier, 0
	.set _ZL29rocblas_internal_gemmt_kernelIlLi16ELi32ELi8ELc67ELc84ELc85ELb0ELb0EfPKfPKS1_PKPfEviT_T9_T10_S7_lS9_S7_lS8_T11_S7_li.private_seg_size, 0
	.set _ZL29rocblas_internal_gemmt_kernelIlLi16ELi32ELi8ELc67ELc84ELc85ELb0ELb0EfPKfPKS1_PKPfEviT_T9_T10_S7_lS9_S7_lS8_T11_S7_li.uses_vcc, 1
	.set _ZL29rocblas_internal_gemmt_kernelIlLi16ELi32ELi8ELc67ELc84ELc85ELb0ELb0EfPKfPKS1_PKPfEviT_T9_T10_S7_lS9_S7_lS8_T11_S7_li.uses_flat_scratch, 0
	.set _ZL29rocblas_internal_gemmt_kernelIlLi16ELi32ELi8ELc67ELc84ELc85ELb0ELb0EfPKfPKS1_PKPfEviT_T9_T10_S7_lS9_S7_lS8_T11_S7_li.has_dyn_sized_stack, 0
	.set _ZL29rocblas_internal_gemmt_kernelIlLi16ELi32ELi8ELc67ELc84ELc85ELb0ELb0EfPKfPKS1_PKPfEviT_T9_T10_S7_lS9_S7_lS8_T11_S7_li.has_recursion, 0
	.set _ZL29rocblas_internal_gemmt_kernelIlLi16ELi32ELi8ELc67ELc84ELc85ELb0ELb0EfPKfPKS1_PKPfEviT_T9_T10_S7_lS9_S7_lS8_T11_S7_li.has_indirect_call, 0
	.section	.AMDGPU.csdata,"",@progbits
; Kernel info:
; codeLenInByte = 1656
; TotalNumSgprs: 40
; NumVgprs: 56
; ScratchSize: 0
; MemoryBound: 0
; FloatMode: 240
; IeeeMode: 1
; LDSByteSize: 2048 bytes/workgroup (compile time only)
; SGPRBlocks: 0
; VGPRBlocks: 3
; NumSGPRsForWavesPerEU: 40
; NumVGPRsForWavesPerEU: 56
; NamedBarCnt: 0
; Occupancy: 16
; WaveLimiterHint : 1
; COMPUTE_PGM_RSRC2:SCRATCH_EN: 0
; COMPUTE_PGM_RSRC2:USER_SGPR: 2
; COMPUTE_PGM_RSRC2:TRAP_HANDLER: 0
; COMPUTE_PGM_RSRC2:TGID_X_EN: 1
; COMPUTE_PGM_RSRC2:TGID_Y_EN: 1
; COMPUTE_PGM_RSRC2:TGID_Z_EN: 1
; COMPUTE_PGM_RSRC2:TIDIG_COMP_CNT: 1
	.section	.text._ZL29rocblas_internal_gemmt_kernelIlLi16ELi32ELi8ELc67ELc67ELc85ELb0ELb0EfPKfPKS1_PKPfEviT_T9_T10_S7_lS9_S7_lS8_T11_S7_li,"axG",@progbits,_ZL29rocblas_internal_gemmt_kernelIlLi16ELi32ELi8ELc67ELc67ELc85ELb0ELb0EfPKfPKS1_PKPfEviT_T9_T10_S7_lS9_S7_lS8_T11_S7_li,comdat
	.globl	_ZL29rocblas_internal_gemmt_kernelIlLi16ELi32ELi8ELc67ELc67ELc85ELb0ELb0EfPKfPKS1_PKPfEviT_T9_T10_S7_lS9_S7_lS8_T11_S7_li ; -- Begin function _ZL29rocblas_internal_gemmt_kernelIlLi16ELi32ELi8ELc67ELc67ELc85ELb0ELb0EfPKfPKS1_PKPfEviT_T9_T10_S7_lS9_S7_lS8_T11_S7_li
	.p2align	8
	.type	_ZL29rocblas_internal_gemmt_kernelIlLi16ELi32ELi8ELc67ELc67ELc85ELb0ELb0EfPKfPKS1_PKPfEviT_T9_T10_S7_lS9_S7_lS8_T11_S7_li,@function
_ZL29rocblas_internal_gemmt_kernelIlLi16ELi32ELi8ELc67ELc67ELc85ELb0ELb0EfPKfPKS1_PKPfEviT_T9_T10_S7_lS9_S7_lS8_T11_S7_li: ; @_ZL29rocblas_internal_gemmt_kernelIlLi16ELi32ELi8ELc67ELc67ELc85ELb0ELb0EfPKfPKS1_PKPfEviT_T9_T10_S7_lS9_S7_lS8_T11_S7_li
; %bb.0:
	s_clause 0x1
	s_load_b256 s[24:31], s[0:1], 0x48
	s_load_b512 s[8:23], s[0:1], 0x8
	s_wait_kmcnt 0x0
	s_load_b32 s33, s[24:25], 0x0
	s_load_b32 s34, s[10:11], 0x0
	s_wait_kmcnt 0x0
	s_cmp_neq_f32 s33, 1.0
	s_cselect_b32 s2, -1, 0
	s_delay_alu instid0(SALU_CYCLE_1)
	s_and_b32 vcc_lo, exec_lo, s2
	s_cbranch_vccnz .LBB440_2
; %bb.1:
	s_cmp_lg_u64 s[8:9], 0
	s_cselect_b32 s2, -1, 0
	s_cmp_neq_f32 s34, 0
	s_cselect_b32 s3, -1, 0
	s_delay_alu instid0(SALU_CYCLE_1)
	s_and_b32 s2, s2, s3
.LBB440_2:
	s_delay_alu instid0(SALU_CYCLE_1)
	s_and_not1_b32 vcc_lo, exec_lo, s2
	s_cbranch_vccnz .LBB440_35
; %bb.3:
	s_load_b32 s24, s[0:1], 0x68
	s_bfe_u32 s2, ttmp6, 0x40014
	s_lshr_b32 s3, ttmp7, 16
	s_add_co_i32 s2, s2, 1
	s_bfe_u32 s5, ttmp6, 0x40008
	s_mul_i32 s4, s3, s2
	s_getreg_b32 s2, hwreg(HW_REG_IB_STS2, 6, 4)
	s_add_co_i32 s5, s5, s4
	s_cmp_eq_u32 s2, 0
	s_mov_b32 s7, 0
	s_cselect_b32 s6, s3, s5
	s_wait_kmcnt 0x0
	s_cmp_ge_u32 s6, s24
	s_cbranch_scc1 .LBB440_35
; %bb.4:
	s_load_b32 s3, s[0:1], 0x0
	s_wait_xcnt 0x0
	s_bfe_u32 s1, ttmp6, 0x4000c
	s_bfe_u32 s5, ttmp6, 0x40010
	s_and_b32 s4, ttmp7, 0xffff
	s_add_co_i32 s1, s1, 1
	s_add_co_i32 s5, s5, 1
	v_and_b32_e32 v15, 0x3ff, v0
	v_bfe_u32 v20, v0, 10, 10
	s_and_b32 s0, ttmp6, 15
	s_mul_i32 s1, ttmp9, s1
	s_mul_i32 s5, s4, s5
	s_bfe_u32 s10, ttmp6, 0x40004
	s_add_co_i32 s0, s0, s1
	s_add_co_i32 s10, s10, s5
	s_cmp_eq_u32 s2, 0
	v_lshl_add_u32 v1, v20, 4, v15
	s_cselect_b32 s1, s4, s10
	s_cselect_b32 s0, ttmp9, s0
	s_lshl_b32 s1, s1, 5
	s_delay_alu instid0(VALU_DEP_1) | instskip(SKIP_3) | instid1(VALU_DEP_2)
	v_dual_lshrrev_b32 v2, 5, v1 :: v_dual_bitop2_b32 v0, 7, v0 bitop3:0x40
	v_dual_lshrrev_b32 v1, 3, v1 :: v_dual_bitop2_b32 v3, 31, v1 bitop3:0x40
	s_lshl_b32 s2, s0, 5
	v_add_nc_u32_e32 v16, s1, v20
	v_dual_lshlrev_b32 v5, 2, v0 :: v_dual_bitop2_b32 v12, s2, v3 bitop3:0x54
	s_delay_alu instid0(VALU_DEP_3) | instskip(NEXT) | instid1(VALU_DEP_3)
	v_dual_add_nc_u32 v4, s1, v1 :: v_dual_lshlrev_b32 v3, 2, v3
	v_dual_ashrrev_i32 v17, 31, v16 :: v_dual_add_nc_u32 v18, 16, v16
	s_delay_alu instid0(VALU_DEP_3)
	v_ashrrev_i32_e32 v13, 31, v12
	s_wait_kmcnt 0x0
	v_cmp_gt_i32_e64 s0, s3, v12
	s_cmp_neq_f32 s34, 0
	v_mul_u64_e32 v[8:9], s[28:29], v[16:17]
	v_ashrrev_i32_e32 v19, 31, v18
	v_mul_u64_e32 v[6:7], s[14:15], v[12:13]
	v_add_nc_u32_e32 v12, s2, v15
	v_cmp_gt_i32_e32 vcc_lo, s3, v16
	s_cselect_b32 s10, -1, 0
	v_mul_u64_e32 v[10:11], s[28:29], v[18:19]
	s_cmp_neq_f32 s33, 0
	v_cmp_le_i32_e64 s2, v12, v16
	v_dual_add_nc_u32 v14, 16, v12 :: v_dual_ashrrev_i32 v13, 31, v12
	v_lshl_or_b32 v5, v1, 5, v5
	v_cmp_gt_i64_e64 s11, s[8:9], 0
	v_cmp_gt_i32_e64 s1, s3, v4
	s_cselect_b32 s25, -1, 0
	s_and_b32 s28, vcc_lo, s2
	v_cmp_le_i32_e64 s2, v14, v16
	v_cmp_gt_i32_e64 s3, s3, v18
	v_cmp_le_i32_e64 s4, v12, v18
	v_cmp_le_i32_e64 s5, v14, v18
	v_lshl_or_b32 v1, v2, 7, v3
	v_add_nc_u32_e32 v3, 0x400, v5
	v_dual_ashrrev_i32 v5, 31, v4 :: v_dual_lshlrev_b32 v28, 2, v15
	v_lshl_add_u32 v29, v20, 5, 0x400
	v_dual_ashrrev_i32 v15, 31, v14 :: v_dual_mov_b32 v17, 0
	s_and_b32 s29, vcc_lo, s2
	s_and_b32 s35, s3, s4
	s_and_b32 s36, s3, s5
	;; [unrolled: 1-line block ×3, first 2 shown]
	s_lshl_b64 s[2:3], s[22:23], 2
	s_lshl_b64 s[4:5], s[16:17], 2
	;; [unrolled: 1-line block ×3, first 2 shown]
	s_branch .LBB440_6
.LBB440_5:                              ;   in Loop: Header=BB440_6 Depth=1
	s_wait_xcnt 0x0
	s_or_b32 exec_lo, exec_lo, s14
	s_add_co_i32 s6, s6, 0x10000
	s_delay_alu instid0(SALU_CYCLE_1)
	s_cmp_lt_u32 s6, s24
	s_cbranch_scc0 .LBB440_35
.LBB440_6:                              ; =>This Loop Header: Depth=1
                                        ;     Child Loop BB440_9 Depth 2
	v_dual_mov_b32 v16, s6 :: v_dual_mov_b32 v23, v17
	v_dual_mov_b32 v22, v17 :: v_dual_mov_b32 v19, v17
	v_mov_b32_e32 v18, v17
	global_load_b64 v[20:21], v16, s[26:27] scale_offset
	s_and_not1_b32 vcc_lo, exec_lo, s37
	s_cbranch_vccnz .LBB440_15
; %bb.7:                                ;   in Loop: Header=BB440_6 Depth=1
	s_lshl_b64 s[14:15], s[6:7], 3
	v_mov_b32_e32 v18, 0
	s_add_nc_u64 s[16:17], s[12:13], s[14:15]
	s_add_nc_u64 s[14:15], s[18:19], s[14:15]
	s_clause 0x1
	global_load_b64 v[22:23], v17, s[16:17]
	global_load_b64 v[24:25], v17, s[14:15]
	s_wait_xcnt 0x0
	s_mov_b64 s[14:15], 0
	v_mov_b32_e32 v19, v18
	s_wait_loadcnt 0x1
	v_add_nc_u64_e32 v[26:27], s[4:5], v[22:23]
	s_wait_loadcnt 0x0
	v_add_nc_u64_e32 v[30:31], s[2:3], v[24:25]
	v_dual_mov_b32 v22, v18 :: v_dual_mov_b32 v23, v18
	s_delay_alu instid0(VALU_DEP_3) | instskip(NEXT) | instid1(VALU_DEP_3)
	v_lshl_add_u64 v[24:25], v[6:7], 2, v[26:27]
	v_lshl_add_u64 v[26:27], v[4:5], 2, v[30:31]
	s_branch .LBB440_9
.LBB440_8:                              ;   in Loop: Header=BB440_9 Depth=2
	s_wait_xcnt 0x0
	s_or_b32 exec_lo, exec_lo, s16
	s_wait_loadcnt_dscnt 0x0
	ds_store_b32 v3, v31
	s_wait_dscnt 0x0
	s_barrier_signal -1
	s_barrier_wait -1
	ds_load_b128 v[30:33], v29
	ds_load_2addr_b32 v[46:47], v28 offset1:16
	ds_load_b128 v[34:37], v29 offset:512
	ds_load_2addr_b32 v[48:49], v28 offset0:32 offset1:48
	ds_load_2addr_b32 v[50:51], v28 offset0:64 offset1:80
	;; [unrolled: 1-line block ×3, first 2 shown]
	ds_load_b128 v[38:41], v29 offset:16
	ds_load_2addr_b32 v[54:55], v28 offset0:128 offset1:144
	ds_load_b128 v[42:45], v29 offset:528
	s_add_nc_u64 s[14:15], s[14:15], 8
	s_delay_alu instid0(SALU_CYCLE_1)
	v_cmp_gt_i64_e64 s16, s[8:9], s[14:15]
	s_and_b32 vcc_lo, exec_lo, s16
	s_wait_dscnt 0x8
	v_mov_b32_e32 v16, v33
	s_wait_dscnt 0x7
	v_pk_fma_f32 v[22:23], v[46:47], v[30:31], v[22:23] op_sel_hi:[1,0,1]
	s_wait_dscnt 0x6
	v_pk_fma_f32 v[18:19], v[46:47], v[34:35], v[18:19] op_sel_hi:[1,0,1]
	ds_load_2addr_b32 v[46:47], v28 offset0:160 offset1:176
	s_wait_dscnt 0x6
	v_pk_fma_f32 v[22:23], v[48:49], v[30:31], v[22:23] op_sel:[0,1,0]
	v_pk_fma_f32 v[18:19], v[48:49], v[34:35], v[18:19] op_sel:[0,1,0]
	ds_load_2addr_b32 v[30:31], v28 offset0:192 offset1:208
	v_mov_b32_e32 v34, v37
	s_wait_dscnt 0x6
	v_pk_fma_f32 v[22:23], v[50:51], v[32:33], v[22:23] op_sel_hi:[1,0,1]
	v_pk_fma_f32 v[18:19], v[50:51], v[36:37], v[18:19] op_sel_hi:[1,0,1]
	ds_load_2addr_b32 v[32:33], v28 offset0:224 offset1:240
	s_wait_dscnt 0x0
	s_barrier_signal -1
	v_pk_fma_f32 v[22:23], v[52:53], v[16:17], v[22:23] op_sel_hi:[1,0,1]
	v_pk_fma_f32 v[18:19], v[52:53], v[34:35], v[18:19] op_sel_hi:[1,0,1]
	v_dual_mov_b32 v16, v41 :: v_dual_mov_b32 v34, v45
	s_barrier_wait -1
	s_delay_alu instid0(VALU_DEP_3) | instskip(NEXT) | instid1(VALU_DEP_3)
	v_pk_fma_f32 v[22:23], v[54:55], v[38:39], v[22:23] op_sel_hi:[1,0,1]
	v_pk_fma_f32 v[18:19], v[54:55], v[42:43], v[18:19] op_sel_hi:[1,0,1]
	s_delay_alu instid0(VALU_DEP_2) | instskip(NEXT) | instid1(VALU_DEP_2)
	v_pk_fma_f32 v[22:23], v[46:47], v[38:39], v[22:23] op_sel:[0,1,0]
	v_pk_fma_f32 v[18:19], v[46:47], v[42:43], v[18:19] op_sel:[0,1,0]
	s_delay_alu instid0(VALU_DEP_2) | instskip(NEXT) | instid1(VALU_DEP_2)
	v_pk_fma_f32 v[22:23], v[30:31], v[40:41], v[22:23] op_sel_hi:[1,0,1]
	v_pk_fma_f32 v[18:19], v[30:31], v[44:45], v[18:19] op_sel_hi:[1,0,1]
	s_delay_alu instid0(VALU_DEP_2) | instskip(NEXT) | instid1(VALU_DEP_2)
	v_pk_fma_f32 v[22:23], v[32:33], v[16:17], v[22:23] op_sel_hi:[1,0,1]
	v_pk_fma_f32 v[18:19], v[32:33], v[34:35], v[18:19] op_sel_hi:[1,0,1]
	s_cbranch_vccz .LBB440_15
.LBB440_9:                              ;   Parent Loop BB440_6 Depth=1
                                        ; =>  This Inner Loop Header: Depth=2
	v_mov_b32_e32 v30, 0
	s_and_saveexec_b32 s16, s0
	s_cbranch_execz .LBB440_13
; %bb.10:                               ;   in Loop: Header=BB440_9 Depth=2
	v_dual_add_nc_u32 v16, s14, v2 :: v_dual_mov_b32 v30, 0
	s_mov_b32 s17, exec_lo
	s_delay_alu instid0(VALU_DEP_1)
	v_cmpx_gt_u64_e64 s[8:9], v[16:17]
	s_cbranch_execz .LBB440_12
; %bb.11:                               ;   in Loop: Header=BB440_9 Depth=2
	v_lshl_add_u64 v[30:31], v[16:17], 2, v[24:25]
	flat_load_b32 v30, v[30:31]
.LBB440_12:                             ;   in Loop: Header=BB440_9 Depth=2
	s_wait_xcnt 0x0
	s_or_b32 exec_lo, exec_lo, s17
.LBB440_13:                             ;   in Loop: Header=BB440_9 Depth=2
	s_delay_alu instid0(SALU_CYCLE_1)
	s_or_b32 exec_lo, exec_lo, s16
	v_dual_mov_b32 v31, 0 :: v_dual_add_nc_u32 v16, s14, v0
	s_wait_loadcnt_dscnt 0x0
	ds_store_b32 v1, v30
	v_cmp_gt_u64_e32 vcc_lo, s[8:9], v[16:17]
	s_and_b32 s17, vcc_lo, s1
	s_delay_alu instid0(SALU_CYCLE_1)
	s_and_saveexec_b32 s16, s17
	s_cbranch_execz .LBB440_8
; %bb.14:                               ;   in Loop: Header=BB440_9 Depth=2
	v_mul_u64_e32 v[30:31], s[20:21], v[16:17]
	s_delay_alu instid0(VALU_DEP_1)
	v_lshl_add_u64 v[30:31], v[30:31], 2, v[26:27]
	flat_load_b32 v31, v[30:31]
	s_branch .LBB440_8
.LBB440_15:                             ;   in Loop: Header=BB440_6 Depth=1
	s_wait_loadcnt 0x0
	v_add_nc_u64_e32 v[20:21], s[10:11], v[20:21]
	s_delay_alu instid0(VALU_DEP_1)
	v_lshl_add_u64 v[24:25], v[8:9], 2, v[20:21]
	s_wait_xcnt 0x0
	s_and_saveexec_b32 s14, s28
	s_cbranch_execz .LBB440_19
; %bb.16:                               ;   in Loop: Header=BB440_6 Depth=1
	v_mul_f32_e32 v16, s34, v22
	v_lshl_add_u64 v[26:27], v[12:13], 2, v[24:25]
	s_and_b32 vcc_lo, exec_lo, s25
	s_cbranch_vccz .LBB440_30
; %bb.17:                               ;   in Loop: Header=BB440_6 Depth=1
	flat_load_b32 v22, v[26:27]
	s_wait_loadcnt_dscnt 0x0
	v_fma_f32 v22, s33, v22, v16
	flat_store_b32 v[26:27], v22
	s_cbranch_execnz .LBB440_19
.LBB440_18:                             ;   in Loop: Header=BB440_6 Depth=1
	flat_store_b32 v[26:27], v16
.LBB440_19:                             ;   in Loop: Header=BB440_6 Depth=1
	s_wait_xcnt 0x0
	s_or_b32 exec_lo, exec_lo, s14
	s_and_saveexec_b32 s14, s29
	s_cbranch_execz .LBB440_23
; %bb.20:                               ;   in Loop: Header=BB440_6 Depth=1
	v_mul_f32_e32 v16, s34, v23
	v_lshl_add_u64 v[22:23], v[14:15], 2, v[24:25]
	s_and_not1_b32 vcc_lo, exec_lo, s25
	s_cbranch_vccnz .LBB440_31
; %bb.21:                               ;   in Loop: Header=BB440_6 Depth=1
	flat_load_b32 v24, v[22:23]
	s_wait_loadcnt_dscnt 0x0
	v_fma_f32 v24, s33, v24, v16
	flat_store_b32 v[22:23], v24
	s_cbranch_execnz .LBB440_23
.LBB440_22:                             ;   in Loop: Header=BB440_6 Depth=1
	flat_store_b32 v[22:23], v16
.LBB440_23:                             ;   in Loop: Header=BB440_6 Depth=1
	s_wait_xcnt 0x0
	s_or_b32 exec_lo, exec_lo, s14
	v_lshl_add_u64 v[20:21], v[10:11], 2, v[20:21]
	s_and_saveexec_b32 s14, s35
	s_cbranch_execz .LBB440_27
; %bb.24:                               ;   in Loop: Header=BB440_6 Depth=1
	v_mul_f32_e32 v16, s34, v18
	s_delay_alu instid0(VALU_DEP_2)
	v_lshl_add_u64 v[22:23], v[12:13], 2, v[20:21]
	s_and_not1_b32 vcc_lo, exec_lo, s25
	s_cbranch_vccnz .LBB440_32
; %bb.25:                               ;   in Loop: Header=BB440_6 Depth=1
	flat_load_b32 v18, v[22:23]
	s_wait_loadcnt_dscnt 0x0
	v_fma_f32 v18, s33, v18, v16
	flat_store_b32 v[22:23], v18
	s_cbranch_execnz .LBB440_27
.LBB440_26:                             ;   in Loop: Header=BB440_6 Depth=1
	flat_store_b32 v[22:23], v16
.LBB440_27:                             ;   in Loop: Header=BB440_6 Depth=1
	s_wait_xcnt 0x0
	s_or_b32 exec_lo, exec_lo, s14
	s_and_saveexec_b32 s14, s36
	s_cbranch_execz .LBB440_5
; %bb.28:                               ;   in Loop: Header=BB440_6 Depth=1
	v_mul_f32_e32 v16, s34, v19
	v_lshl_add_u64 v[18:19], v[14:15], 2, v[20:21]
	s_and_not1_b32 vcc_lo, exec_lo, s25
	s_cbranch_vccnz .LBB440_33
; %bb.29:                               ;   in Loop: Header=BB440_6 Depth=1
	flat_load_b32 v20, v[18:19]
	s_wait_loadcnt_dscnt 0x0
	v_fma_f32 v20, s33, v20, v16
	flat_store_b32 v[18:19], v20
	s_cbranch_execnz .LBB440_5
	s_branch .LBB440_34
.LBB440_30:                             ;   in Loop: Header=BB440_6 Depth=1
	s_branch .LBB440_18
.LBB440_31:                             ;   in Loop: Header=BB440_6 Depth=1
	s_branch .LBB440_22
.LBB440_32:                             ;   in Loop: Header=BB440_6 Depth=1
	s_branch .LBB440_26
.LBB440_33:                             ;   in Loop: Header=BB440_6 Depth=1
.LBB440_34:                             ;   in Loop: Header=BB440_6 Depth=1
	flat_store_b32 v[18:19], v16
	s_branch .LBB440_5
.LBB440_35:
	s_endpgm
	.section	.rodata,"a",@progbits
	.p2align	6, 0x0
	.amdhsa_kernel _ZL29rocblas_internal_gemmt_kernelIlLi16ELi32ELi8ELc67ELc67ELc85ELb0ELb0EfPKfPKS1_PKPfEviT_T9_T10_S7_lS9_S7_lS8_T11_S7_li
		.amdhsa_group_segment_fixed_size 2048
		.amdhsa_private_segment_fixed_size 0
		.amdhsa_kernarg_size 108
		.amdhsa_user_sgpr_count 2
		.amdhsa_user_sgpr_dispatch_ptr 0
		.amdhsa_user_sgpr_queue_ptr 0
		.amdhsa_user_sgpr_kernarg_segment_ptr 1
		.amdhsa_user_sgpr_dispatch_id 0
		.amdhsa_user_sgpr_kernarg_preload_length 0
		.amdhsa_user_sgpr_kernarg_preload_offset 0
		.amdhsa_user_sgpr_private_segment_size 0
		.amdhsa_wavefront_size32 1
		.amdhsa_uses_dynamic_stack 0
		.amdhsa_enable_private_segment 0
		.amdhsa_system_sgpr_workgroup_id_x 1
		.amdhsa_system_sgpr_workgroup_id_y 1
		.amdhsa_system_sgpr_workgroup_id_z 1
		.amdhsa_system_sgpr_workgroup_info 0
		.amdhsa_system_vgpr_workitem_id 1
		.amdhsa_next_free_vgpr 56
		.amdhsa_next_free_sgpr 38
		.amdhsa_named_barrier_count 0
		.amdhsa_reserve_vcc 1
		.amdhsa_float_round_mode_32 0
		.amdhsa_float_round_mode_16_64 0
		.amdhsa_float_denorm_mode_32 3
		.amdhsa_float_denorm_mode_16_64 3
		.amdhsa_fp16_overflow 0
		.amdhsa_memory_ordered 1
		.amdhsa_forward_progress 1
		.amdhsa_inst_pref_size 13
		.amdhsa_round_robin_scheduling 0
		.amdhsa_exception_fp_ieee_invalid_op 0
		.amdhsa_exception_fp_denorm_src 0
		.amdhsa_exception_fp_ieee_div_zero 0
		.amdhsa_exception_fp_ieee_overflow 0
		.amdhsa_exception_fp_ieee_underflow 0
		.amdhsa_exception_fp_ieee_inexact 0
		.amdhsa_exception_int_div_zero 0
	.end_amdhsa_kernel
	.section	.text._ZL29rocblas_internal_gemmt_kernelIlLi16ELi32ELi8ELc67ELc67ELc85ELb0ELb0EfPKfPKS1_PKPfEviT_T9_T10_S7_lS9_S7_lS8_T11_S7_li,"axG",@progbits,_ZL29rocblas_internal_gemmt_kernelIlLi16ELi32ELi8ELc67ELc67ELc85ELb0ELb0EfPKfPKS1_PKPfEviT_T9_T10_S7_lS9_S7_lS8_T11_S7_li,comdat
.Lfunc_end440:
	.size	_ZL29rocblas_internal_gemmt_kernelIlLi16ELi32ELi8ELc67ELc67ELc85ELb0ELb0EfPKfPKS1_PKPfEviT_T9_T10_S7_lS9_S7_lS8_T11_S7_li, .Lfunc_end440-_ZL29rocblas_internal_gemmt_kernelIlLi16ELi32ELi8ELc67ELc67ELc85ELb0ELb0EfPKfPKS1_PKPfEviT_T9_T10_S7_lS9_S7_lS8_T11_S7_li
                                        ; -- End function
	.set _ZL29rocblas_internal_gemmt_kernelIlLi16ELi32ELi8ELc67ELc67ELc85ELb0ELb0EfPKfPKS1_PKPfEviT_T9_T10_S7_lS9_S7_lS8_T11_S7_li.num_vgpr, 56
	.set _ZL29rocblas_internal_gemmt_kernelIlLi16ELi32ELi8ELc67ELc67ELc85ELb0ELb0EfPKfPKS1_PKPfEviT_T9_T10_S7_lS9_S7_lS8_T11_S7_li.num_agpr, 0
	.set _ZL29rocblas_internal_gemmt_kernelIlLi16ELi32ELi8ELc67ELc67ELc85ELb0ELb0EfPKfPKS1_PKPfEviT_T9_T10_S7_lS9_S7_lS8_T11_S7_li.numbered_sgpr, 38
	.set _ZL29rocblas_internal_gemmt_kernelIlLi16ELi32ELi8ELc67ELc67ELc85ELb0ELb0EfPKfPKS1_PKPfEviT_T9_T10_S7_lS9_S7_lS8_T11_S7_li.num_named_barrier, 0
	.set _ZL29rocblas_internal_gemmt_kernelIlLi16ELi32ELi8ELc67ELc67ELc85ELb0ELb0EfPKfPKS1_PKPfEviT_T9_T10_S7_lS9_S7_lS8_T11_S7_li.private_seg_size, 0
	.set _ZL29rocblas_internal_gemmt_kernelIlLi16ELi32ELi8ELc67ELc67ELc85ELb0ELb0EfPKfPKS1_PKPfEviT_T9_T10_S7_lS9_S7_lS8_T11_S7_li.uses_vcc, 1
	.set _ZL29rocblas_internal_gemmt_kernelIlLi16ELi32ELi8ELc67ELc67ELc85ELb0ELb0EfPKfPKS1_PKPfEviT_T9_T10_S7_lS9_S7_lS8_T11_S7_li.uses_flat_scratch, 0
	.set _ZL29rocblas_internal_gemmt_kernelIlLi16ELi32ELi8ELc67ELc67ELc85ELb0ELb0EfPKfPKS1_PKPfEviT_T9_T10_S7_lS9_S7_lS8_T11_S7_li.has_dyn_sized_stack, 0
	.set _ZL29rocblas_internal_gemmt_kernelIlLi16ELi32ELi8ELc67ELc67ELc85ELb0ELb0EfPKfPKS1_PKPfEviT_T9_T10_S7_lS9_S7_lS8_T11_S7_li.has_recursion, 0
	.set _ZL29rocblas_internal_gemmt_kernelIlLi16ELi32ELi8ELc67ELc67ELc85ELb0ELb0EfPKfPKS1_PKPfEviT_T9_T10_S7_lS9_S7_lS8_T11_S7_li.has_indirect_call, 0
	.section	.AMDGPU.csdata,"",@progbits
; Kernel info:
; codeLenInByte = 1656
; TotalNumSgprs: 40
; NumVgprs: 56
; ScratchSize: 0
; MemoryBound: 0
; FloatMode: 240
; IeeeMode: 1
; LDSByteSize: 2048 bytes/workgroup (compile time only)
; SGPRBlocks: 0
; VGPRBlocks: 3
; NumSGPRsForWavesPerEU: 40
; NumVGPRsForWavesPerEU: 56
; NamedBarCnt: 0
; Occupancy: 16
; WaveLimiterHint : 1
; COMPUTE_PGM_RSRC2:SCRATCH_EN: 0
; COMPUTE_PGM_RSRC2:USER_SGPR: 2
; COMPUTE_PGM_RSRC2:TRAP_HANDLER: 0
; COMPUTE_PGM_RSRC2:TGID_X_EN: 1
; COMPUTE_PGM_RSRC2:TGID_Y_EN: 1
; COMPUTE_PGM_RSRC2:TGID_Z_EN: 1
; COMPUTE_PGM_RSRC2:TIDIG_COMP_CNT: 1
	.section	.text._ZL29rocblas_internal_gemmt_kernelIlLi16ELi32ELi8ELc78ELc78ELc76ELb0ELb0EfPKfPKS1_PKPfEviT_T9_T10_S7_lS9_S7_lS8_T11_S7_li,"axG",@progbits,_ZL29rocblas_internal_gemmt_kernelIlLi16ELi32ELi8ELc78ELc78ELc76ELb0ELb0EfPKfPKS1_PKPfEviT_T9_T10_S7_lS9_S7_lS8_T11_S7_li,comdat
	.globl	_ZL29rocblas_internal_gemmt_kernelIlLi16ELi32ELi8ELc78ELc78ELc76ELb0ELb0EfPKfPKS1_PKPfEviT_T9_T10_S7_lS9_S7_lS8_T11_S7_li ; -- Begin function _ZL29rocblas_internal_gemmt_kernelIlLi16ELi32ELi8ELc78ELc78ELc76ELb0ELb0EfPKfPKS1_PKPfEviT_T9_T10_S7_lS9_S7_lS8_T11_S7_li
	.p2align	8
	.type	_ZL29rocblas_internal_gemmt_kernelIlLi16ELi32ELi8ELc78ELc78ELc76ELb0ELb0EfPKfPKS1_PKPfEviT_T9_T10_S7_lS9_S7_lS8_T11_S7_li,@function
_ZL29rocblas_internal_gemmt_kernelIlLi16ELi32ELi8ELc78ELc78ELc76ELb0ELb0EfPKfPKS1_PKPfEviT_T9_T10_S7_lS9_S7_lS8_T11_S7_li: ; @_ZL29rocblas_internal_gemmt_kernelIlLi16ELi32ELi8ELc78ELc78ELc76ELb0ELb0EfPKfPKS1_PKPfEviT_T9_T10_S7_lS9_S7_lS8_T11_S7_li
; %bb.0:
	s_clause 0x1
	s_load_b256 s[24:31], s[0:1], 0x48
	s_load_b512 s[8:23], s[0:1], 0x8
	s_wait_kmcnt 0x0
	s_load_b32 s33, s[24:25], 0x0
	s_load_b32 s34, s[10:11], 0x0
	s_wait_kmcnt 0x0
	s_cmp_neq_f32 s33, 1.0
	s_cselect_b32 s2, -1, 0
	s_delay_alu instid0(SALU_CYCLE_1)
	s_and_b32 vcc_lo, exec_lo, s2
	s_cbranch_vccnz .LBB441_2
; %bb.1:
	s_cmp_lg_u64 s[8:9], 0
	s_cselect_b32 s2, -1, 0
	s_cmp_neq_f32 s34, 0
	s_cselect_b32 s3, -1, 0
	s_delay_alu instid0(SALU_CYCLE_1)
	s_and_b32 s2, s2, s3
.LBB441_2:
	s_delay_alu instid0(SALU_CYCLE_1)
	s_and_not1_b32 vcc_lo, exec_lo, s2
	s_cbranch_vccnz .LBB441_35
; %bb.3:
	s_load_b32 s24, s[0:1], 0x68
	s_bfe_u32 s2, ttmp6, 0x40014
	s_lshr_b32 s3, ttmp7, 16
	s_add_co_i32 s2, s2, 1
	s_bfe_u32 s5, ttmp6, 0x40008
	s_mul_i32 s4, s3, s2
	s_getreg_b32 s2, hwreg(HW_REG_IB_STS2, 6, 4)
	s_add_co_i32 s5, s5, s4
	s_cmp_eq_u32 s2, 0
	s_mov_b32 s7, 0
	s_cselect_b32 s6, s3, s5
	s_wait_kmcnt 0x0
	s_cmp_ge_u32 s6, s24
	s_cbranch_scc1 .LBB441_35
; %bb.4:
	s_load_b32 s4, s[0:1], 0x0
	s_wait_xcnt 0x0
	s_bfe_u32 s1, ttmp6, 0x4000c
	s_bfe_u32 s5, ttmp6, 0x40010
	s_and_b32 s3, ttmp7, 0xffff
	s_add_co_i32 s1, s1, 1
	s_add_co_i32 s5, s5, 1
	v_and_b32_e32 v13, 0x3ff, v0
	v_bfe_u32 v20, v0, 10, 10
	s_and_b32 s0, ttmp6, 15
	s_mul_i32 s1, ttmp9, s1
	s_mul_i32 s5, s3, s5
	s_bfe_u32 s10, ttmp6, 0x40004
	s_add_co_i32 s0, s0, s1
	s_add_co_i32 s10, s10, s5
	s_cmp_eq_u32 s2, 0
	v_lshl_add_u32 v1, v20, 4, v13
	s_cselect_b32 s1, s3, s10
	s_cselect_b32 s0, ttmp9, s0
	s_lshl_b32 s1, s1, 5
	s_delay_alu instid0(VALU_DEP_1)
	v_dual_lshrrev_b32 v2, 5, v1 :: v_dual_bitop2_b32 v0, 7, v0 bitop3:0x40
	v_dual_lshrrev_b32 v3, 3, v1 :: v_dual_bitop2_b32 v1, 31, v1 bitop3:0x40
	v_add_nc_u32_e32 v16, s1, v20
	s_lshl_b32 s2, s0, 5
	s_delay_alu instid0(VALU_DEP_3) | instid1(SALU_CYCLE_1)
	v_dual_lshlrev_b32 v5, 2, v0 :: v_dual_add_nc_u32 v12, s2, v13
	s_delay_alu instid0(VALU_DEP_3) | instskip(NEXT) | instid1(VALU_DEP_3)
	v_dual_add_nc_u32 v14, s1, v3 :: v_dual_bitop2_b32 v4, s2, v1 bitop3:0x54
	v_dual_add_nc_u32 v18, 16, v16 :: v_dual_ashrrev_i32 v17, 31, v16
	s_delay_alu instid0(VALU_DEP_2) | instskip(SKIP_1) | instid1(VALU_DEP_2)
	v_dual_lshlrev_b32 v1, 2, v1 :: v_dual_ashrrev_i32 v15, 31, v14
	s_cmp_neq_f32 s34, 0
	v_ashrrev_i32_e32 v19, 31, v18
	s_delay_alu instid0(VALU_DEP_3)
	v_mul_u64_e32 v[8:9], s[28:29], v[16:17]
	s_wait_kmcnt 0x0
	v_cmp_gt_i32_e64 s1, s4, v14
	v_mul_u64_e32 v[6:7], s[20:21], v[14:15]
	v_add_nc_u32_e32 v14, 16, v12
	v_mul_u64_e32 v[10:11], s[28:29], v[18:19]
	v_cmp_le_i32_e32 vcc_lo, v16, v12
	v_cmp_gt_i32_e64 s2, s4, v12
	s_cselect_b32 s10, -1, 0
	s_cmp_neq_f32 s33, 0
	v_lshl_or_b32 v3, v3, 5, v5
	v_cmp_gt_i64_e64 s11, s[8:9], 0
	v_cmp_gt_i32_e64 s0, s4, v4
	v_dual_ashrrev_i32 v5, 31, v4 :: v_dual_lshlrev_b32 v28, 2, v13
	s_cselect_b32 s20, -1, 0
	s_and_b32 s21, vcc_lo, s2
	v_cmp_le_i32_e32 vcc_lo, v18, v12
	v_ashrrev_i32_e32 v13, 31, v12
	v_cmp_le_i32_e64 s3, v16, v14
	v_cmp_gt_i32_e64 s4, s4, v14
	v_cmp_le_i32_e64 s5, v18, v14
	v_lshl_or_b32 v1, v2, 7, v1
	v_add_nc_u32_e32 v3, 0x400, v3
	v_lshl_add_u32 v29, v20, 5, 0x400
	v_dual_ashrrev_i32 v15, 31, v14 :: v_dual_mov_b32 v17, 0
	s_and_b32 s25, s3, s4
	s_and_b32 s28, vcc_lo, s2
	s_and_b32 s29, s5, s4
	s_and_b32 s35, s10, s11
	s_lshl_b64 s[2:3], s[22:23], 2
	s_lshl_b64 s[4:5], s[16:17], 2
	;; [unrolled: 1-line block ×3, first 2 shown]
	s_branch .LBB441_6
.LBB441_5:                              ;   in Loop: Header=BB441_6 Depth=1
	s_wait_xcnt 0x0
	s_or_b32 exec_lo, exec_lo, s16
	s_add_co_i32 s6, s6, 0x10000
	s_delay_alu instid0(SALU_CYCLE_1)
	s_cmp_lt_u32 s6, s24
	s_cbranch_scc0 .LBB441_35
.LBB441_6:                              ; =>This Loop Header: Depth=1
                                        ;     Child Loop BB441_9 Depth 2
	v_dual_mov_b32 v16, s6 :: v_dual_mov_b32 v23, v17
	v_dual_mov_b32 v22, v17 :: v_dual_mov_b32 v19, v17
	v_mov_b32_e32 v18, v17
	global_load_b64 v[20:21], v16, s[26:27] scale_offset
	s_and_not1_b32 vcc_lo, exec_lo, s35
	s_cbranch_vccnz .LBB441_15
; %bb.7:                                ;   in Loop: Header=BB441_6 Depth=1
	s_lshl_b64 s[16:17], s[6:7], 3
	v_mov_b32_e32 v18, 0
	s_add_nc_u64 s[22:23], s[12:13], s[16:17]
	s_add_nc_u64 s[16:17], s[18:19], s[16:17]
	s_clause 0x1
	global_load_b64 v[22:23], v17, s[22:23]
	global_load_b64 v[24:25], v17, s[16:17]
	s_wait_xcnt 0x0
	s_mov_b64 s[16:17], 0
	v_mov_b32_e32 v19, v18
	s_wait_loadcnt 0x1
	v_add_nc_u64_e32 v[26:27], s[4:5], v[22:23]
	s_wait_loadcnt 0x0
	v_add_nc_u64_e32 v[30:31], s[2:3], v[24:25]
	v_dual_mov_b32 v22, v18 :: v_dual_mov_b32 v23, v18
	s_delay_alu instid0(VALU_DEP_3) | instskip(NEXT) | instid1(VALU_DEP_3)
	v_lshl_add_u64 v[24:25], v[4:5], 2, v[26:27]
	v_lshl_add_u64 v[26:27], v[6:7], 2, v[30:31]
	s_branch .LBB441_9
.LBB441_8:                              ;   in Loop: Header=BB441_9 Depth=2
	s_wait_xcnt 0x0
	s_or_b32 exec_lo, exec_lo, s22
	s_wait_loadcnt_dscnt 0x0
	ds_store_b32 v3, v31
	s_wait_dscnt 0x0
	s_barrier_signal -1
	s_barrier_wait -1
	ds_load_b128 v[30:33], v29
	ds_load_2addr_b32 v[46:47], v28 offset1:16
	ds_load_b128 v[34:37], v29 offset:512
	ds_load_2addr_b32 v[48:49], v28 offset0:32 offset1:48
	ds_load_2addr_b32 v[50:51], v28 offset0:64 offset1:80
	;; [unrolled: 1-line block ×3, first 2 shown]
	ds_load_b128 v[38:41], v29 offset:16
	ds_load_2addr_b32 v[54:55], v28 offset0:128 offset1:144
	ds_load_b128 v[42:45], v29 offset:528
	s_add_nc_u64 s[16:17], s[16:17], 8
	s_delay_alu instid0(SALU_CYCLE_1)
	v_cmp_gt_i64_e64 s22, s[8:9], s[16:17]
	s_and_b32 vcc_lo, exec_lo, s22
	s_wait_dscnt 0x8
	v_mov_b32_e32 v16, v33
	s_wait_dscnt 0x7
	v_pk_fma_f32 v[22:23], v[46:47], v[30:31], v[22:23] op_sel_hi:[1,0,1]
	s_wait_dscnt 0x6
	v_pk_fma_f32 v[18:19], v[46:47], v[34:35], v[18:19] op_sel_hi:[1,0,1]
	ds_load_2addr_b32 v[46:47], v28 offset0:160 offset1:176
	s_wait_dscnt 0x6
	v_pk_fma_f32 v[22:23], v[48:49], v[30:31], v[22:23] op_sel:[0,1,0]
	v_pk_fma_f32 v[18:19], v[48:49], v[34:35], v[18:19] op_sel:[0,1,0]
	ds_load_2addr_b32 v[30:31], v28 offset0:192 offset1:208
	v_mov_b32_e32 v34, v37
	s_wait_dscnt 0x6
	v_pk_fma_f32 v[22:23], v[50:51], v[32:33], v[22:23] op_sel_hi:[1,0,1]
	v_pk_fma_f32 v[18:19], v[50:51], v[36:37], v[18:19] op_sel_hi:[1,0,1]
	ds_load_2addr_b32 v[32:33], v28 offset0:224 offset1:240
	s_wait_dscnt 0x0
	s_barrier_signal -1
	v_pk_fma_f32 v[22:23], v[52:53], v[16:17], v[22:23] op_sel_hi:[1,0,1]
	v_pk_fma_f32 v[18:19], v[52:53], v[34:35], v[18:19] op_sel_hi:[1,0,1]
	v_dual_mov_b32 v16, v41 :: v_dual_mov_b32 v34, v45
	s_barrier_wait -1
	s_delay_alu instid0(VALU_DEP_3) | instskip(NEXT) | instid1(VALU_DEP_3)
	v_pk_fma_f32 v[22:23], v[54:55], v[38:39], v[22:23] op_sel_hi:[1,0,1]
	v_pk_fma_f32 v[18:19], v[54:55], v[42:43], v[18:19] op_sel_hi:[1,0,1]
	s_delay_alu instid0(VALU_DEP_2) | instskip(NEXT) | instid1(VALU_DEP_2)
	v_pk_fma_f32 v[22:23], v[46:47], v[38:39], v[22:23] op_sel:[0,1,0]
	v_pk_fma_f32 v[18:19], v[46:47], v[42:43], v[18:19] op_sel:[0,1,0]
	s_delay_alu instid0(VALU_DEP_2) | instskip(NEXT) | instid1(VALU_DEP_2)
	v_pk_fma_f32 v[22:23], v[30:31], v[40:41], v[22:23] op_sel_hi:[1,0,1]
	v_pk_fma_f32 v[18:19], v[30:31], v[44:45], v[18:19] op_sel_hi:[1,0,1]
	s_delay_alu instid0(VALU_DEP_2) | instskip(NEXT) | instid1(VALU_DEP_2)
	v_pk_fma_f32 v[22:23], v[32:33], v[16:17], v[22:23] op_sel_hi:[1,0,1]
	v_pk_fma_f32 v[18:19], v[32:33], v[34:35], v[18:19] op_sel_hi:[1,0,1]
	s_cbranch_vccz .LBB441_15
.LBB441_9:                              ;   Parent Loop BB441_6 Depth=1
                                        ; =>  This Inner Loop Header: Depth=2
	v_mov_b32_e32 v30, 0
	s_and_saveexec_b32 s22, s0
	s_cbranch_execz .LBB441_13
; %bb.10:                               ;   in Loop: Header=BB441_9 Depth=2
	v_dual_add_nc_u32 v16, s16, v2 :: v_dual_mov_b32 v30, 0
	s_mov_b32 s23, exec_lo
	s_delay_alu instid0(VALU_DEP_1)
	v_cmpx_gt_u64_e64 s[8:9], v[16:17]
	s_cbranch_execz .LBB441_12
; %bb.11:                               ;   in Loop: Header=BB441_9 Depth=2
	v_mul_u64_e32 v[30:31], s[14:15], v[16:17]
	s_delay_alu instid0(VALU_DEP_1)
	v_lshl_add_u64 v[30:31], v[30:31], 2, v[24:25]
	flat_load_b32 v30, v[30:31]
.LBB441_12:                             ;   in Loop: Header=BB441_9 Depth=2
	s_wait_xcnt 0x0
	s_or_b32 exec_lo, exec_lo, s23
.LBB441_13:                             ;   in Loop: Header=BB441_9 Depth=2
	s_delay_alu instid0(SALU_CYCLE_1)
	s_or_b32 exec_lo, exec_lo, s22
	v_dual_mov_b32 v31, 0 :: v_dual_add_nc_u32 v16, s16, v0
	s_wait_loadcnt_dscnt 0x0
	ds_store_b32 v1, v30
	v_cmp_gt_u64_e32 vcc_lo, s[8:9], v[16:17]
	s_and_b32 s23, vcc_lo, s1
	s_delay_alu instid0(SALU_CYCLE_1)
	s_and_saveexec_b32 s22, s23
	s_cbranch_execz .LBB441_8
; %bb.14:                               ;   in Loop: Header=BB441_9 Depth=2
	v_lshl_add_u64 v[30:31], v[16:17], 2, v[26:27]
	flat_load_b32 v31, v[30:31]
	s_branch .LBB441_8
.LBB441_15:                             ;   in Loop: Header=BB441_6 Depth=1
	s_wait_loadcnt 0x0
	v_add_nc_u64_e32 v[20:21], s[10:11], v[20:21]
	s_delay_alu instid0(VALU_DEP_1)
	v_lshl_add_u64 v[24:25], v[8:9], 2, v[20:21]
	s_wait_xcnt 0x0
	s_and_saveexec_b32 s16, s21
	s_cbranch_execz .LBB441_19
; %bb.16:                               ;   in Loop: Header=BB441_6 Depth=1
	v_mul_f32_e32 v16, s34, v22
	v_lshl_add_u64 v[26:27], v[12:13], 2, v[24:25]
	s_and_b32 vcc_lo, exec_lo, s20
	s_cbranch_vccz .LBB441_30
; %bb.17:                               ;   in Loop: Header=BB441_6 Depth=1
	flat_load_b32 v22, v[26:27]
	s_wait_loadcnt_dscnt 0x0
	v_fma_f32 v22, s33, v22, v16
	flat_store_b32 v[26:27], v22
	s_cbranch_execnz .LBB441_19
.LBB441_18:                             ;   in Loop: Header=BB441_6 Depth=1
	flat_store_b32 v[26:27], v16
.LBB441_19:                             ;   in Loop: Header=BB441_6 Depth=1
	s_wait_xcnt 0x0
	s_or_b32 exec_lo, exec_lo, s16
	s_and_saveexec_b32 s16, s25
	s_cbranch_execz .LBB441_23
; %bb.20:                               ;   in Loop: Header=BB441_6 Depth=1
	v_mul_f32_e32 v16, s34, v23
	v_lshl_add_u64 v[22:23], v[14:15], 2, v[24:25]
	s_and_not1_b32 vcc_lo, exec_lo, s20
	s_cbranch_vccnz .LBB441_31
; %bb.21:                               ;   in Loop: Header=BB441_6 Depth=1
	flat_load_b32 v24, v[22:23]
	s_wait_loadcnt_dscnt 0x0
	v_fma_f32 v24, s33, v24, v16
	flat_store_b32 v[22:23], v24
	s_cbranch_execnz .LBB441_23
.LBB441_22:                             ;   in Loop: Header=BB441_6 Depth=1
	flat_store_b32 v[22:23], v16
.LBB441_23:                             ;   in Loop: Header=BB441_6 Depth=1
	s_wait_xcnt 0x0
	s_or_b32 exec_lo, exec_lo, s16
	v_lshl_add_u64 v[20:21], v[10:11], 2, v[20:21]
	s_and_saveexec_b32 s16, s28
	s_cbranch_execz .LBB441_27
; %bb.24:                               ;   in Loop: Header=BB441_6 Depth=1
	v_mul_f32_e32 v16, s34, v18
	s_delay_alu instid0(VALU_DEP_2)
	v_lshl_add_u64 v[22:23], v[12:13], 2, v[20:21]
	s_and_not1_b32 vcc_lo, exec_lo, s20
	s_cbranch_vccnz .LBB441_32
; %bb.25:                               ;   in Loop: Header=BB441_6 Depth=1
	flat_load_b32 v18, v[22:23]
	s_wait_loadcnt_dscnt 0x0
	v_fma_f32 v18, s33, v18, v16
	flat_store_b32 v[22:23], v18
	s_cbranch_execnz .LBB441_27
.LBB441_26:                             ;   in Loop: Header=BB441_6 Depth=1
	flat_store_b32 v[22:23], v16
.LBB441_27:                             ;   in Loop: Header=BB441_6 Depth=1
	s_wait_xcnt 0x0
	s_or_b32 exec_lo, exec_lo, s16
	s_and_saveexec_b32 s16, s29
	s_cbranch_execz .LBB441_5
; %bb.28:                               ;   in Loop: Header=BB441_6 Depth=1
	v_mul_f32_e32 v16, s34, v19
	v_lshl_add_u64 v[18:19], v[14:15], 2, v[20:21]
	s_and_not1_b32 vcc_lo, exec_lo, s20
	s_cbranch_vccnz .LBB441_33
; %bb.29:                               ;   in Loop: Header=BB441_6 Depth=1
	flat_load_b32 v20, v[18:19]
	s_wait_loadcnt_dscnt 0x0
	v_fma_f32 v20, s33, v20, v16
	flat_store_b32 v[18:19], v20
	s_cbranch_execnz .LBB441_5
	s_branch .LBB441_34
.LBB441_30:                             ;   in Loop: Header=BB441_6 Depth=1
	s_branch .LBB441_18
.LBB441_31:                             ;   in Loop: Header=BB441_6 Depth=1
	s_branch .LBB441_22
.LBB441_32:                             ;   in Loop: Header=BB441_6 Depth=1
	s_branch .LBB441_26
.LBB441_33:                             ;   in Loop: Header=BB441_6 Depth=1
.LBB441_34:                             ;   in Loop: Header=BB441_6 Depth=1
	flat_store_b32 v[18:19], v16
	s_branch .LBB441_5
.LBB441_35:
	s_endpgm
	.section	.rodata,"a",@progbits
	.p2align	6, 0x0
	.amdhsa_kernel _ZL29rocblas_internal_gemmt_kernelIlLi16ELi32ELi8ELc78ELc78ELc76ELb0ELb0EfPKfPKS1_PKPfEviT_T9_T10_S7_lS9_S7_lS8_T11_S7_li
		.amdhsa_group_segment_fixed_size 2048
		.amdhsa_private_segment_fixed_size 0
		.amdhsa_kernarg_size 108
		.amdhsa_user_sgpr_count 2
		.amdhsa_user_sgpr_dispatch_ptr 0
		.amdhsa_user_sgpr_queue_ptr 0
		.amdhsa_user_sgpr_kernarg_segment_ptr 1
		.amdhsa_user_sgpr_dispatch_id 0
		.amdhsa_user_sgpr_kernarg_preload_length 0
		.amdhsa_user_sgpr_kernarg_preload_offset 0
		.amdhsa_user_sgpr_private_segment_size 0
		.amdhsa_wavefront_size32 1
		.amdhsa_uses_dynamic_stack 0
		.amdhsa_enable_private_segment 0
		.amdhsa_system_sgpr_workgroup_id_x 1
		.amdhsa_system_sgpr_workgroup_id_y 1
		.amdhsa_system_sgpr_workgroup_id_z 1
		.amdhsa_system_sgpr_workgroup_info 0
		.amdhsa_system_vgpr_workitem_id 1
		.amdhsa_next_free_vgpr 56
		.amdhsa_next_free_sgpr 36
		.amdhsa_named_barrier_count 0
		.amdhsa_reserve_vcc 1
		.amdhsa_float_round_mode_32 0
		.amdhsa_float_round_mode_16_64 0
		.amdhsa_float_denorm_mode_32 3
		.amdhsa_float_denorm_mode_16_64 3
		.amdhsa_fp16_overflow 0
		.amdhsa_memory_ordered 1
		.amdhsa_forward_progress 1
		.amdhsa_inst_pref_size 13
		.amdhsa_round_robin_scheduling 0
		.amdhsa_exception_fp_ieee_invalid_op 0
		.amdhsa_exception_fp_denorm_src 0
		.amdhsa_exception_fp_ieee_div_zero 0
		.amdhsa_exception_fp_ieee_overflow 0
		.amdhsa_exception_fp_ieee_underflow 0
		.amdhsa_exception_fp_ieee_inexact 0
		.amdhsa_exception_int_div_zero 0
	.end_amdhsa_kernel
	.section	.text._ZL29rocblas_internal_gemmt_kernelIlLi16ELi32ELi8ELc78ELc78ELc76ELb0ELb0EfPKfPKS1_PKPfEviT_T9_T10_S7_lS9_S7_lS8_T11_S7_li,"axG",@progbits,_ZL29rocblas_internal_gemmt_kernelIlLi16ELi32ELi8ELc78ELc78ELc76ELb0ELb0EfPKfPKS1_PKPfEviT_T9_T10_S7_lS9_S7_lS8_T11_S7_li,comdat
.Lfunc_end441:
	.size	_ZL29rocblas_internal_gemmt_kernelIlLi16ELi32ELi8ELc78ELc78ELc76ELb0ELb0EfPKfPKS1_PKPfEviT_T9_T10_S7_lS9_S7_lS8_T11_S7_li, .Lfunc_end441-_ZL29rocblas_internal_gemmt_kernelIlLi16ELi32ELi8ELc78ELc78ELc76ELb0ELb0EfPKfPKS1_PKPfEviT_T9_T10_S7_lS9_S7_lS8_T11_S7_li
                                        ; -- End function
	.set _ZL29rocblas_internal_gemmt_kernelIlLi16ELi32ELi8ELc78ELc78ELc76ELb0ELb0EfPKfPKS1_PKPfEviT_T9_T10_S7_lS9_S7_lS8_T11_S7_li.num_vgpr, 56
	.set _ZL29rocblas_internal_gemmt_kernelIlLi16ELi32ELi8ELc78ELc78ELc76ELb0ELb0EfPKfPKS1_PKPfEviT_T9_T10_S7_lS9_S7_lS8_T11_S7_li.num_agpr, 0
	.set _ZL29rocblas_internal_gemmt_kernelIlLi16ELi32ELi8ELc78ELc78ELc76ELb0ELb0EfPKfPKS1_PKPfEviT_T9_T10_S7_lS9_S7_lS8_T11_S7_li.numbered_sgpr, 36
	.set _ZL29rocblas_internal_gemmt_kernelIlLi16ELi32ELi8ELc78ELc78ELc76ELb0ELb0EfPKfPKS1_PKPfEviT_T9_T10_S7_lS9_S7_lS8_T11_S7_li.num_named_barrier, 0
	.set _ZL29rocblas_internal_gemmt_kernelIlLi16ELi32ELi8ELc78ELc78ELc76ELb0ELb0EfPKfPKS1_PKPfEviT_T9_T10_S7_lS9_S7_lS8_T11_S7_li.private_seg_size, 0
	.set _ZL29rocblas_internal_gemmt_kernelIlLi16ELi32ELi8ELc78ELc78ELc76ELb0ELb0EfPKfPKS1_PKPfEviT_T9_T10_S7_lS9_S7_lS8_T11_S7_li.uses_vcc, 1
	.set _ZL29rocblas_internal_gemmt_kernelIlLi16ELi32ELi8ELc78ELc78ELc76ELb0ELb0EfPKfPKS1_PKPfEviT_T9_T10_S7_lS9_S7_lS8_T11_S7_li.uses_flat_scratch, 0
	.set _ZL29rocblas_internal_gemmt_kernelIlLi16ELi32ELi8ELc78ELc78ELc76ELb0ELb0EfPKfPKS1_PKPfEviT_T9_T10_S7_lS9_S7_lS8_T11_S7_li.has_dyn_sized_stack, 0
	.set _ZL29rocblas_internal_gemmt_kernelIlLi16ELi32ELi8ELc78ELc78ELc76ELb0ELb0EfPKfPKS1_PKPfEviT_T9_T10_S7_lS9_S7_lS8_T11_S7_li.has_recursion, 0
	.set _ZL29rocblas_internal_gemmt_kernelIlLi16ELi32ELi8ELc78ELc78ELc76ELb0ELb0EfPKfPKS1_PKPfEviT_T9_T10_S7_lS9_S7_lS8_T11_S7_li.has_indirect_call, 0
	.section	.AMDGPU.csdata,"",@progbits
; Kernel info:
; codeLenInByte = 1660
; TotalNumSgprs: 38
; NumVgprs: 56
; ScratchSize: 0
; MemoryBound: 0
; FloatMode: 240
; IeeeMode: 1
; LDSByteSize: 2048 bytes/workgroup (compile time only)
; SGPRBlocks: 0
; VGPRBlocks: 3
; NumSGPRsForWavesPerEU: 38
; NumVGPRsForWavesPerEU: 56
; NamedBarCnt: 0
; Occupancy: 16
; WaveLimiterHint : 1
; COMPUTE_PGM_RSRC2:SCRATCH_EN: 0
; COMPUTE_PGM_RSRC2:USER_SGPR: 2
; COMPUTE_PGM_RSRC2:TRAP_HANDLER: 0
; COMPUTE_PGM_RSRC2:TGID_X_EN: 1
; COMPUTE_PGM_RSRC2:TGID_Y_EN: 1
; COMPUTE_PGM_RSRC2:TGID_Z_EN: 1
; COMPUTE_PGM_RSRC2:TIDIG_COMP_CNT: 1
	.section	.text._ZL29rocblas_internal_gemmt_kernelIlLi16ELi32ELi8ELc78ELc84ELc76ELb0ELb0EfPKfPKS1_PKPfEviT_T9_T10_S7_lS9_S7_lS8_T11_S7_li,"axG",@progbits,_ZL29rocblas_internal_gemmt_kernelIlLi16ELi32ELi8ELc78ELc84ELc76ELb0ELb0EfPKfPKS1_PKPfEviT_T9_T10_S7_lS9_S7_lS8_T11_S7_li,comdat
	.globl	_ZL29rocblas_internal_gemmt_kernelIlLi16ELi32ELi8ELc78ELc84ELc76ELb0ELb0EfPKfPKS1_PKPfEviT_T9_T10_S7_lS9_S7_lS8_T11_S7_li ; -- Begin function _ZL29rocblas_internal_gemmt_kernelIlLi16ELi32ELi8ELc78ELc84ELc76ELb0ELb0EfPKfPKS1_PKPfEviT_T9_T10_S7_lS9_S7_lS8_T11_S7_li
	.p2align	8
	.type	_ZL29rocblas_internal_gemmt_kernelIlLi16ELi32ELi8ELc78ELc84ELc76ELb0ELb0EfPKfPKS1_PKPfEviT_T9_T10_S7_lS9_S7_lS8_T11_S7_li,@function
_ZL29rocblas_internal_gemmt_kernelIlLi16ELi32ELi8ELc78ELc84ELc76ELb0ELb0EfPKfPKS1_PKPfEviT_T9_T10_S7_lS9_S7_lS8_T11_S7_li: ; @_ZL29rocblas_internal_gemmt_kernelIlLi16ELi32ELi8ELc78ELc84ELc76ELb0ELb0EfPKfPKS1_PKPfEviT_T9_T10_S7_lS9_S7_lS8_T11_S7_li
; %bb.0:
	s_clause 0x1
	s_load_b256 s[24:31], s[0:1], 0x48
	s_load_b512 s[8:23], s[0:1], 0x8
	s_wait_kmcnt 0x0
	s_load_b32 s33, s[24:25], 0x0
	s_load_b32 s34, s[10:11], 0x0
	s_wait_kmcnt 0x0
	s_cmp_neq_f32 s33, 1.0
	s_cselect_b32 s2, -1, 0
	s_delay_alu instid0(SALU_CYCLE_1)
	s_and_b32 vcc_lo, exec_lo, s2
	s_cbranch_vccnz .LBB442_2
; %bb.1:
	s_cmp_lg_u64 s[8:9], 0
	s_cselect_b32 s2, -1, 0
	s_cmp_neq_f32 s34, 0
	s_cselect_b32 s3, -1, 0
	s_delay_alu instid0(SALU_CYCLE_1)
	s_and_b32 s2, s2, s3
.LBB442_2:
	s_delay_alu instid0(SALU_CYCLE_1)
	s_and_not1_b32 vcc_lo, exec_lo, s2
	s_cbranch_vccnz .LBB442_35
; %bb.3:
	s_load_b32 s24, s[0:1], 0x68
	s_bfe_u32 s2, ttmp6, 0x40014
	s_lshr_b32 s3, ttmp7, 16
	s_add_co_i32 s2, s2, 1
	s_bfe_u32 s5, ttmp6, 0x40008
	s_mul_i32 s4, s3, s2
	s_getreg_b32 s2, hwreg(HW_REG_IB_STS2, 6, 4)
	s_add_co_i32 s5, s5, s4
	s_cmp_eq_u32 s2, 0
	s_mov_b32 s7, 0
	s_cselect_b32 s6, s3, s5
	s_wait_kmcnt 0x0
	s_cmp_ge_u32 s6, s24
	s_cbranch_scc1 .LBB442_35
; %bb.4:
	s_load_b32 s4, s[0:1], 0x0
	s_wait_xcnt 0x0
	s_bfe_u32 s1, ttmp6, 0x4000c
	s_bfe_u32 s5, ttmp6, 0x40010
	s_and_b32 s3, ttmp7, 0xffff
	s_add_co_i32 s1, s1, 1
	s_add_co_i32 s5, s5, 1
	v_and_b32_e32 v13, 0x3ff, v0
	v_bfe_u32 v15, v0, 10, 10
	s_and_b32 s0, ttmp6, 15
	s_mul_i32 s1, ttmp9, s1
	s_mul_i32 s5, s3, s5
	s_bfe_u32 s10, ttmp6, 0x40004
	s_add_co_i32 s0, s0, s1
	s_add_co_i32 s10, s10, s5
	s_cmp_eq_u32 s2, 0
	v_lshl_add_u32 v1, v15, 4, v13
	s_cselect_b32 s1, s3, s10
	s_cselect_b32 s0, ttmp9, s0
	s_lshl_b32 s1, s1, 5
	s_lshl_b32 s2, s0, 5
	v_dual_add_nc_u32 v16, s1, v15 :: v_dual_bitop2_b32 v3, 31, v1 bitop3:0x40
	v_dual_lshrrev_b32 v2, 5, v1 :: v_dual_bitop2_b32 v0, 7, v0 bitop3:0x40
	s_delay_alu instid0(VALU_DEP_2) | instskip(NEXT) | instid1(VALU_DEP_3)
	v_dual_lshrrev_b32 v1, 3, v1 :: v_dual_bitop2_b32 v4, s2, v3 bitop3:0x54
	v_dual_add_nc_u32 v18, 16, v16 :: v_dual_lshlrev_b32 v3, 2, v3
	s_delay_alu instid0(VALU_DEP_2) | instskip(NEXT) | instid1(VALU_DEP_2)
	v_dual_lshlrev_b32 v5, 2, v0 :: v_dual_add_nc_u32 v6, s1, v1
	v_dual_ashrrev_i32 v17, 31, v16 :: v_dual_ashrrev_i32 v19, 31, v18
	v_add_nc_u32_e32 v12, s2, v13
	s_delay_alu instid0(VALU_DEP_3) | instskip(SKIP_1) | instid1(VALU_DEP_4)
	v_lshl_or_b32 v7, v1, 5, v5
	v_ashrrev_i32_e32 v5, 31, v4
	v_mul_u64_e32 v[8:9], s[28:29], v[16:17]
	v_mul_u64_e32 v[10:11], s[28:29], v[18:19]
	s_cmp_neq_f32 s34, 0
	v_add_nc_u32_e32 v14, 16, v12
	v_cmp_le_i32_e32 vcc_lo, v16, v12
	s_wait_kmcnt 0x0
	v_cmp_gt_i32_e64 s2, s4, v12
	s_cselect_b32 s10, -1, 0
	s_cmp_neq_f32 s33, 0
	v_cmp_gt_i64_e64 s11, s[8:9], 0
	v_cmp_gt_i32_e64 s0, s4, v4
	v_lshl_or_b32 v1, v2, 7, v3
	v_cmp_gt_i32_e64 s1, s4, v6
	v_add_nc_u32_e32 v3, 0x400, v7
	v_dual_ashrrev_i32 v7, 31, v6 :: v_dual_lshlrev_b32 v28, 2, v13
	s_cselect_b32 s25, -1, 0
	s_and_b32 s28, vcc_lo, s2
	v_cmp_le_i32_e32 vcc_lo, v18, v12
	v_ashrrev_i32_e32 v13, 31, v12
	v_cmp_le_i32_e64 s3, v16, v14
	v_cmp_gt_i32_e64 s4, s4, v14
	v_cmp_le_i32_e64 s5, v18, v14
	v_lshl_add_u32 v29, v15, 5, 0x400
	v_dual_ashrrev_i32 v15, 31, v14 :: v_dual_mov_b32 v17, 0
	s_and_b32 s29, s3, s4
	s_and_b32 s35, vcc_lo, s2
	s_and_b32 s36, s5, s4
	s_and_b32 s37, s10, s11
	s_lshl_b64 s[2:3], s[22:23], 2
	s_lshl_b64 s[4:5], s[16:17], 2
	;; [unrolled: 1-line block ×3, first 2 shown]
	s_branch .LBB442_6
.LBB442_5:                              ;   in Loop: Header=BB442_6 Depth=1
	s_wait_xcnt 0x0
	s_or_b32 exec_lo, exec_lo, s16
	s_add_co_i32 s6, s6, 0x10000
	s_delay_alu instid0(SALU_CYCLE_1)
	s_cmp_lt_u32 s6, s24
	s_cbranch_scc0 .LBB442_35
.LBB442_6:                              ; =>This Loop Header: Depth=1
                                        ;     Child Loop BB442_9 Depth 2
	v_dual_mov_b32 v16, s6 :: v_dual_mov_b32 v23, v17
	v_dual_mov_b32 v22, v17 :: v_dual_mov_b32 v19, v17
	v_mov_b32_e32 v18, v17
	global_load_b64 v[20:21], v16, s[26:27] scale_offset
	s_and_not1_b32 vcc_lo, exec_lo, s37
	s_cbranch_vccnz .LBB442_15
; %bb.7:                                ;   in Loop: Header=BB442_6 Depth=1
	s_lshl_b64 s[16:17], s[6:7], 3
	v_mov_b32_e32 v18, 0
	s_add_nc_u64 s[22:23], s[12:13], s[16:17]
	s_add_nc_u64 s[16:17], s[18:19], s[16:17]
	s_clause 0x1
	global_load_b64 v[22:23], v17, s[22:23]
	global_load_b64 v[24:25], v17, s[16:17]
	s_wait_xcnt 0x0
	s_mov_b64 s[16:17], 0
	v_mov_b32_e32 v19, v18
	s_wait_loadcnt 0x1
	v_add_nc_u64_e32 v[26:27], s[4:5], v[22:23]
	s_wait_loadcnt 0x0
	v_add_nc_u64_e32 v[30:31], s[2:3], v[24:25]
	v_dual_mov_b32 v22, v18 :: v_dual_mov_b32 v23, v18
	s_delay_alu instid0(VALU_DEP_3) | instskip(NEXT) | instid1(VALU_DEP_3)
	v_lshl_add_u64 v[24:25], v[4:5], 2, v[26:27]
	v_lshl_add_u64 v[26:27], v[6:7], 2, v[30:31]
	s_branch .LBB442_9
.LBB442_8:                              ;   in Loop: Header=BB442_9 Depth=2
	s_wait_xcnt 0x0
	s_or_b32 exec_lo, exec_lo, s22
	s_wait_loadcnt_dscnt 0x0
	ds_store_b32 v3, v31
	s_wait_dscnt 0x0
	s_barrier_signal -1
	s_barrier_wait -1
	ds_load_b128 v[30:33], v29
	ds_load_2addr_b32 v[46:47], v28 offset1:16
	ds_load_b128 v[34:37], v29 offset:512
	ds_load_2addr_b32 v[48:49], v28 offset0:32 offset1:48
	ds_load_2addr_b32 v[50:51], v28 offset0:64 offset1:80
	;; [unrolled: 1-line block ×3, first 2 shown]
	ds_load_b128 v[38:41], v29 offset:16
	ds_load_2addr_b32 v[54:55], v28 offset0:128 offset1:144
	ds_load_b128 v[42:45], v29 offset:528
	s_add_nc_u64 s[16:17], s[16:17], 8
	s_delay_alu instid0(SALU_CYCLE_1)
	v_cmp_gt_i64_e64 s22, s[8:9], s[16:17]
	s_and_b32 vcc_lo, exec_lo, s22
	s_wait_dscnt 0x8
	v_mov_b32_e32 v16, v33
	s_wait_dscnt 0x7
	v_pk_fma_f32 v[22:23], v[46:47], v[30:31], v[22:23] op_sel_hi:[1,0,1]
	s_wait_dscnt 0x6
	v_pk_fma_f32 v[18:19], v[46:47], v[34:35], v[18:19] op_sel_hi:[1,0,1]
	ds_load_2addr_b32 v[46:47], v28 offset0:160 offset1:176
	s_wait_dscnt 0x6
	v_pk_fma_f32 v[22:23], v[48:49], v[30:31], v[22:23] op_sel:[0,1,0]
	v_pk_fma_f32 v[18:19], v[48:49], v[34:35], v[18:19] op_sel:[0,1,0]
	ds_load_2addr_b32 v[30:31], v28 offset0:192 offset1:208
	v_mov_b32_e32 v34, v37
	s_wait_dscnt 0x6
	v_pk_fma_f32 v[22:23], v[50:51], v[32:33], v[22:23] op_sel_hi:[1,0,1]
	v_pk_fma_f32 v[18:19], v[50:51], v[36:37], v[18:19] op_sel_hi:[1,0,1]
	ds_load_2addr_b32 v[32:33], v28 offset0:224 offset1:240
	s_wait_dscnt 0x0
	s_barrier_signal -1
	v_pk_fma_f32 v[22:23], v[52:53], v[16:17], v[22:23] op_sel_hi:[1,0,1]
	v_pk_fma_f32 v[18:19], v[52:53], v[34:35], v[18:19] op_sel_hi:[1,0,1]
	v_dual_mov_b32 v16, v41 :: v_dual_mov_b32 v34, v45
	s_barrier_wait -1
	s_delay_alu instid0(VALU_DEP_3) | instskip(NEXT) | instid1(VALU_DEP_3)
	v_pk_fma_f32 v[22:23], v[54:55], v[38:39], v[22:23] op_sel_hi:[1,0,1]
	v_pk_fma_f32 v[18:19], v[54:55], v[42:43], v[18:19] op_sel_hi:[1,0,1]
	s_delay_alu instid0(VALU_DEP_2) | instskip(NEXT) | instid1(VALU_DEP_2)
	v_pk_fma_f32 v[22:23], v[46:47], v[38:39], v[22:23] op_sel:[0,1,0]
	v_pk_fma_f32 v[18:19], v[46:47], v[42:43], v[18:19] op_sel:[0,1,0]
	s_delay_alu instid0(VALU_DEP_2) | instskip(NEXT) | instid1(VALU_DEP_2)
	v_pk_fma_f32 v[22:23], v[30:31], v[40:41], v[22:23] op_sel_hi:[1,0,1]
	v_pk_fma_f32 v[18:19], v[30:31], v[44:45], v[18:19] op_sel_hi:[1,0,1]
	s_delay_alu instid0(VALU_DEP_2) | instskip(NEXT) | instid1(VALU_DEP_2)
	v_pk_fma_f32 v[22:23], v[32:33], v[16:17], v[22:23] op_sel_hi:[1,0,1]
	v_pk_fma_f32 v[18:19], v[32:33], v[34:35], v[18:19] op_sel_hi:[1,0,1]
	s_cbranch_vccz .LBB442_15
.LBB442_9:                              ;   Parent Loop BB442_6 Depth=1
                                        ; =>  This Inner Loop Header: Depth=2
	v_mov_b32_e32 v30, 0
	s_and_saveexec_b32 s22, s0
	s_cbranch_execz .LBB442_13
; %bb.10:                               ;   in Loop: Header=BB442_9 Depth=2
	v_dual_add_nc_u32 v16, s16, v2 :: v_dual_mov_b32 v30, 0
	s_mov_b32 s23, exec_lo
	s_delay_alu instid0(VALU_DEP_1)
	v_cmpx_gt_u64_e64 s[8:9], v[16:17]
	s_cbranch_execz .LBB442_12
; %bb.11:                               ;   in Loop: Header=BB442_9 Depth=2
	v_mul_u64_e32 v[30:31], s[14:15], v[16:17]
	s_delay_alu instid0(VALU_DEP_1)
	v_lshl_add_u64 v[30:31], v[30:31], 2, v[24:25]
	flat_load_b32 v30, v[30:31]
.LBB442_12:                             ;   in Loop: Header=BB442_9 Depth=2
	s_wait_xcnt 0x0
	s_or_b32 exec_lo, exec_lo, s23
.LBB442_13:                             ;   in Loop: Header=BB442_9 Depth=2
	s_delay_alu instid0(SALU_CYCLE_1)
	s_or_b32 exec_lo, exec_lo, s22
	v_dual_mov_b32 v31, 0 :: v_dual_add_nc_u32 v16, s16, v0
	s_wait_loadcnt_dscnt 0x0
	ds_store_b32 v1, v30
	v_cmp_gt_u64_e32 vcc_lo, s[8:9], v[16:17]
	s_and_b32 s23, vcc_lo, s1
	s_delay_alu instid0(SALU_CYCLE_1)
	s_and_saveexec_b32 s22, s23
	s_cbranch_execz .LBB442_8
; %bb.14:                               ;   in Loop: Header=BB442_9 Depth=2
	v_mul_u64_e32 v[30:31], s[20:21], v[16:17]
	s_delay_alu instid0(VALU_DEP_1)
	v_lshl_add_u64 v[30:31], v[30:31], 2, v[26:27]
	flat_load_b32 v31, v[30:31]
	s_branch .LBB442_8
.LBB442_15:                             ;   in Loop: Header=BB442_6 Depth=1
	s_wait_loadcnt 0x0
	v_add_nc_u64_e32 v[20:21], s[10:11], v[20:21]
	s_delay_alu instid0(VALU_DEP_1)
	v_lshl_add_u64 v[24:25], v[8:9], 2, v[20:21]
	s_wait_xcnt 0x0
	s_and_saveexec_b32 s16, s28
	s_cbranch_execz .LBB442_19
; %bb.16:                               ;   in Loop: Header=BB442_6 Depth=1
	v_mul_f32_e32 v16, s34, v22
	v_lshl_add_u64 v[26:27], v[12:13], 2, v[24:25]
	s_and_b32 vcc_lo, exec_lo, s25
	s_cbranch_vccz .LBB442_30
; %bb.17:                               ;   in Loop: Header=BB442_6 Depth=1
	flat_load_b32 v22, v[26:27]
	s_wait_loadcnt_dscnt 0x0
	v_fma_f32 v22, s33, v22, v16
	flat_store_b32 v[26:27], v22
	s_cbranch_execnz .LBB442_19
.LBB442_18:                             ;   in Loop: Header=BB442_6 Depth=1
	flat_store_b32 v[26:27], v16
.LBB442_19:                             ;   in Loop: Header=BB442_6 Depth=1
	s_wait_xcnt 0x0
	s_or_b32 exec_lo, exec_lo, s16
	s_and_saveexec_b32 s16, s29
	s_cbranch_execz .LBB442_23
; %bb.20:                               ;   in Loop: Header=BB442_6 Depth=1
	v_mul_f32_e32 v16, s34, v23
	v_lshl_add_u64 v[22:23], v[14:15], 2, v[24:25]
	s_and_not1_b32 vcc_lo, exec_lo, s25
	s_cbranch_vccnz .LBB442_31
; %bb.21:                               ;   in Loop: Header=BB442_6 Depth=1
	flat_load_b32 v24, v[22:23]
	s_wait_loadcnt_dscnt 0x0
	v_fma_f32 v24, s33, v24, v16
	flat_store_b32 v[22:23], v24
	s_cbranch_execnz .LBB442_23
.LBB442_22:                             ;   in Loop: Header=BB442_6 Depth=1
	flat_store_b32 v[22:23], v16
.LBB442_23:                             ;   in Loop: Header=BB442_6 Depth=1
	s_wait_xcnt 0x0
	s_or_b32 exec_lo, exec_lo, s16
	v_lshl_add_u64 v[20:21], v[10:11], 2, v[20:21]
	s_and_saveexec_b32 s16, s35
	s_cbranch_execz .LBB442_27
; %bb.24:                               ;   in Loop: Header=BB442_6 Depth=1
	v_mul_f32_e32 v16, s34, v18
	s_delay_alu instid0(VALU_DEP_2)
	v_lshl_add_u64 v[22:23], v[12:13], 2, v[20:21]
	s_and_not1_b32 vcc_lo, exec_lo, s25
	s_cbranch_vccnz .LBB442_32
; %bb.25:                               ;   in Loop: Header=BB442_6 Depth=1
	flat_load_b32 v18, v[22:23]
	s_wait_loadcnt_dscnt 0x0
	v_fma_f32 v18, s33, v18, v16
	flat_store_b32 v[22:23], v18
	s_cbranch_execnz .LBB442_27
.LBB442_26:                             ;   in Loop: Header=BB442_6 Depth=1
	flat_store_b32 v[22:23], v16
.LBB442_27:                             ;   in Loop: Header=BB442_6 Depth=1
	s_wait_xcnt 0x0
	s_or_b32 exec_lo, exec_lo, s16
	s_and_saveexec_b32 s16, s36
	s_cbranch_execz .LBB442_5
; %bb.28:                               ;   in Loop: Header=BB442_6 Depth=1
	v_mul_f32_e32 v16, s34, v19
	v_lshl_add_u64 v[18:19], v[14:15], 2, v[20:21]
	s_and_not1_b32 vcc_lo, exec_lo, s25
	s_cbranch_vccnz .LBB442_33
; %bb.29:                               ;   in Loop: Header=BB442_6 Depth=1
	flat_load_b32 v20, v[18:19]
	s_wait_loadcnt_dscnt 0x0
	v_fma_f32 v20, s33, v20, v16
	flat_store_b32 v[18:19], v20
	s_cbranch_execnz .LBB442_5
	s_branch .LBB442_34
.LBB442_30:                             ;   in Loop: Header=BB442_6 Depth=1
	s_branch .LBB442_18
.LBB442_31:                             ;   in Loop: Header=BB442_6 Depth=1
	s_branch .LBB442_22
.LBB442_32:                             ;   in Loop: Header=BB442_6 Depth=1
	s_branch .LBB442_26
.LBB442_33:                             ;   in Loop: Header=BB442_6 Depth=1
.LBB442_34:                             ;   in Loop: Header=BB442_6 Depth=1
	flat_store_b32 v[18:19], v16
	s_branch .LBB442_5
.LBB442_35:
	s_endpgm
	.section	.rodata,"a",@progbits
	.p2align	6, 0x0
	.amdhsa_kernel _ZL29rocblas_internal_gemmt_kernelIlLi16ELi32ELi8ELc78ELc84ELc76ELb0ELb0EfPKfPKS1_PKPfEviT_T9_T10_S7_lS9_S7_lS8_T11_S7_li
		.amdhsa_group_segment_fixed_size 2048
		.amdhsa_private_segment_fixed_size 0
		.amdhsa_kernarg_size 108
		.amdhsa_user_sgpr_count 2
		.amdhsa_user_sgpr_dispatch_ptr 0
		.amdhsa_user_sgpr_queue_ptr 0
		.amdhsa_user_sgpr_kernarg_segment_ptr 1
		.amdhsa_user_sgpr_dispatch_id 0
		.amdhsa_user_sgpr_kernarg_preload_length 0
		.amdhsa_user_sgpr_kernarg_preload_offset 0
		.amdhsa_user_sgpr_private_segment_size 0
		.amdhsa_wavefront_size32 1
		.amdhsa_uses_dynamic_stack 0
		.amdhsa_enable_private_segment 0
		.amdhsa_system_sgpr_workgroup_id_x 1
		.amdhsa_system_sgpr_workgroup_id_y 1
		.amdhsa_system_sgpr_workgroup_id_z 1
		.amdhsa_system_sgpr_workgroup_info 0
		.amdhsa_system_vgpr_workitem_id 1
		.amdhsa_next_free_vgpr 56
		.amdhsa_next_free_sgpr 38
		.amdhsa_named_barrier_count 0
		.amdhsa_reserve_vcc 1
		.amdhsa_float_round_mode_32 0
		.amdhsa_float_round_mode_16_64 0
		.amdhsa_float_denorm_mode_32 3
		.amdhsa_float_denorm_mode_16_64 3
		.amdhsa_fp16_overflow 0
		.amdhsa_memory_ordered 1
		.amdhsa_forward_progress 1
		.amdhsa_inst_pref_size 13
		.amdhsa_round_robin_scheduling 0
		.amdhsa_exception_fp_ieee_invalid_op 0
		.amdhsa_exception_fp_denorm_src 0
		.amdhsa_exception_fp_ieee_div_zero 0
		.amdhsa_exception_fp_ieee_overflow 0
		.amdhsa_exception_fp_ieee_underflow 0
		.amdhsa_exception_fp_ieee_inexact 0
		.amdhsa_exception_int_div_zero 0
	.end_amdhsa_kernel
	.section	.text._ZL29rocblas_internal_gemmt_kernelIlLi16ELi32ELi8ELc78ELc84ELc76ELb0ELb0EfPKfPKS1_PKPfEviT_T9_T10_S7_lS9_S7_lS8_T11_S7_li,"axG",@progbits,_ZL29rocblas_internal_gemmt_kernelIlLi16ELi32ELi8ELc78ELc84ELc76ELb0ELb0EfPKfPKS1_PKPfEviT_T9_T10_S7_lS9_S7_lS8_T11_S7_li,comdat
.Lfunc_end442:
	.size	_ZL29rocblas_internal_gemmt_kernelIlLi16ELi32ELi8ELc78ELc84ELc76ELb0ELb0EfPKfPKS1_PKPfEviT_T9_T10_S7_lS9_S7_lS8_T11_S7_li, .Lfunc_end442-_ZL29rocblas_internal_gemmt_kernelIlLi16ELi32ELi8ELc78ELc84ELc76ELb0ELb0EfPKfPKS1_PKPfEviT_T9_T10_S7_lS9_S7_lS8_T11_S7_li
                                        ; -- End function
	.set _ZL29rocblas_internal_gemmt_kernelIlLi16ELi32ELi8ELc78ELc84ELc76ELb0ELb0EfPKfPKS1_PKPfEviT_T9_T10_S7_lS9_S7_lS8_T11_S7_li.num_vgpr, 56
	.set _ZL29rocblas_internal_gemmt_kernelIlLi16ELi32ELi8ELc78ELc84ELc76ELb0ELb0EfPKfPKS1_PKPfEviT_T9_T10_S7_lS9_S7_lS8_T11_S7_li.num_agpr, 0
	.set _ZL29rocblas_internal_gemmt_kernelIlLi16ELi32ELi8ELc78ELc84ELc76ELb0ELb0EfPKfPKS1_PKPfEviT_T9_T10_S7_lS9_S7_lS8_T11_S7_li.numbered_sgpr, 38
	.set _ZL29rocblas_internal_gemmt_kernelIlLi16ELi32ELi8ELc78ELc84ELc76ELb0ELb0EfPKfPKS1_PKPfEviT_T9_T10_S7_lS9_S7_lS8_T11_S7_li.num_named_barrier, 0
	.set _ZL29rocblas_internal_gemmt_kernelIlLi16ELi32ELi8ELc78ELc84ELc76ELb0ELb0EfPKfPKS1_PKPfEviT_T9_T10_S7_lS9_S7_lS8_T11_S7_li.private_seg_size, 0
	.set _ZL29rocblas_internal_gemmt_kernelIlLi16ELi32ELi8ELc78ELc84ELc76ELb0ELb0EfPKfPKS1_PKPfEviT_T9_T10_S7_lS9_S7_lS8_T11_S7_li.uses_vcc, 1
	.set _ZL29rocblas_internal_gemmt_kernelIlLi16ELi32ELi8ELc78ELc84ELc76ELb0ELb0EfPKfPKS1_PKPfEviT_T9_T10_S7_lS9_S7_lS8_T11_S7_li.uses_flat_scratch, 0
	.set _ZL29rocblas_internal_gemmt_kernelIlLi16ELi32ELi8ELc78ELc84ELc76ELb0ELb0EfPKfPKS1_PKPfEviT_T9_T10_S7_lS9_S7_lS8_T11_S7_li.has_dyn_sized_stack, 0
	.set _ZL29rocblas_internal_gemmt_kernelIlLi16ELi32ELi8ELc78ELc84ELc76ELb0ELb0EfPKfPKS1_PKPfEviT_T9_T10_S7_lS9_S7_lS8_T11_S7_li.has_recursion, 0
	.set _ZL29rocblas_internal_gemmt_kernelIlLi16ELi32ELi8ELc78ELc84ELc76ELb0ELb0EfPKfPKS1_PKPfEviT_T9_T10_S7_lS9_S7_lS8_T11_S7_li.has_indirect_call, 0
	.section	.AMDGPU.csdata,"",@progbits
; Kernel info:
; codeLenInByte = 1656
; TotalNumSgprs: 40
; NumVgprs: 56
; ScratchSize: 0
; MemoryBound: 0
; FloatMode: 240
; IeeeMode: 1
; LDSByteSize: 2048 bytes/workgroup (compile time only)
; SGPRBlocks: 0
; VGPRBlocks: 3
; NumSGPRsForWavesPerEU: 40
; NumVGPRsForWavesPerEU: 56
; NamedBarCnt: 0
; Occupancy: 16
; WaveLimiterHint : 1
; COMPUTE_PGM_RSRC2:SCRATCH_EN: 0
; COMPUTE_PGM_RSRC2:USER_SGPR: 2
; COMPUTE_PGM_RSRC2:TRAP_HANDLER: 0
; COMPUTE_PGM_RSRC2:TGID_X_EN: 1
; COMPUTE_PGM_RSRC2:TGID_Y_EN: 1
; COMPUTE_PGM_RSRC2:TGID_Z_EN: 1
; COMPUTE_PGM_RSRC2:TIDIG_COMP_CNT: 1
	.section	.text._ZL29rocblas_internal_gemmt_kernelIlLi16ELi32ELi8ELc78ELc67ELc76ELb0ELb0EfPKfPKS1_PKPfEviT_T9_T10_S7_lS9_S7_lS8_T11_S7_li,"axG",@progbits,_ZL29rocblas_internal_gemmt_kernelIlLi16ELi32ELi8ELc78ELc67ELc76ELb0ELb0EfPKfPKS1_PKPfEviT_T9_T10_S7_lS9_S7_lS8_T11_S7_li,comdat
	.globl	_ZL29rocblas_internal_gemmt_kernelIlLi16ELi32ELi8ELc78ELc67ELc76ELb0ELb0EfPKfPKS1_PKPfEviT_T9_T10_S7_lS9_S7_lS8_T11_S7_li ; -- Begin function _ZL29rocblas_internal_gemmt_kernelIlLi16ELi32ELi8ELc78ELc67ELc76ELb0ELb0EfPKfPKS1_PKPfEviT_T9_T10_S7_lS9_S7_lS8_T11_S7_li
	.p2align	8
	.type	_ZL29rocblas_internal_gemmt_kernelIlLi16ELi32ELi8ELc78ELc67ELc76ELb0ELb0EfPKfPKS1_PKPfEviT_T9_T10_S7_lS9_S7_lS8_T11_S7_li,@function
_ZL29rocblas_internal_gemmt_kernelIlLi16ELi32ELi8ELc78ELc67ELc76ELb0ELb0EfPKfPKS1_PKPfEviT_T9_T10_S7_lS9_S7_lS8_T11_S7_li: ; @_ZL29rocblas_internal_gemmt_kernelIlLi16ELi32ELi8ELc78ELc67ELc76ELb0ELb0EfPKfPKS1_PKPfEviT_T9_T10_S7_lS9_S7_lS8_T11_S7_li
; %bb.0:
	s_clause 0x1
	s_load_b256 s[24:31], s[0:1], 0x48
	s_load_b512 s[8:23], s[0:1], 0x8
	s_wait_kmcnt 0x0
	s_load_b32 s33, s[24:25], 0x0
	s_load_b32 s34, s[10:11], 0x0
	s_wait_kmcnt 0x0
	s_cmp_neq_f32 s33, 1.0
	s_cselect_b32 s2, -1, 0
	s_delay_alu instid0(SALU_CYCLE_1)
	s_and_b32 vcc_lo, exec_lo, s2
	s_cbranch_vccnz .LBB443_2
; %bb.1:
	s_cmp_lg_u64 s[8:9], 0
	s_cselect_b32 s2, -1, 0
	s_cmp_neq_f32 s34, 0
	s_cselect_b32 s3, -1, 0
	s_delay_alu instid0(SALU_CYCLE_1)
	s_and_b32 s2, s2, s3
.LBB443_2:
	s_delay_alu instid0(SALU_CYCLE_1)
	s_and_not1_b32 vcc_lo, exec_lo, s2
	s_cbranch_vccnz .LBB443_35
; %bb.3:
	s_load_b32 s24, s[0:1], 0x68
	s_bfe_u32 s2, ttmp6, 0x40014
	s_lshr_b32 s3, ttmp7, 16
	s_add_co_i32 s2, s2, 1
	s_bfe_u32 s5, ttmp6, 0x40008
	s_mul_i32 s4, s3, s2
	s_getreg_b32 s2, hwreg(HW_REG_IB_STS2, 6, 4)
	s_add_co_i32 s5, s5, s4
	s_cmp_eq_u32 s2, 0
	s_mov_b32 s7, 0
	s_cselect_b32 s6, s3, s5
	s_wait_kmcnt 0x0
	s_cmp_ge_u32 s6, s24
	s_cbranch_scc1 .LBB443_35
; %bb.4:
	s_load_b32 s4, s[0:1], 0x0
	s_wait_xcnt 0x0
	s_bfe_u32 s1, ttmp6, 0x4000c
	s_bfe_u32 s5, ttmp6, 0x40010
	s_and_b32 s3, ttmp7, 0xffff
	s_add_co_i32 s1, s1, 1
	s_add_co_i32 s5, s5, 1
	v_and_b32_e32 v13, 0x3ff, v0
	v_bfe_u32 v15, v0, 10, 10
	s_and_b32 s0, ttmp6, 15
	s_mul_i32 s1, ttmp9, s1
	s_mul_i32 s5, s3, s5
	s_bfe_u32 s10, ttmp6, 0x40004
	s_add_co_i32 s0, s0, s1
	s_add_co_i32 s10, s10, s5
	s_cmp_eq_u32 s2, 0
	v_lshl_add_u32 v1, v15, 4, v13
	s_cselect_b32 s1, s3, s10
	s_cselect_b32 s0, ttmp9, s0
	s_lshl_b32 s1, s1, 5
	s_lshl_b32 s2, s0, 5
	v_dual_add_nc_u32 v16, s1, v15 :: v_dual_bitop2_b32 v3, 31, v1 bitop3:0x40
	v_dual_lshrrev_b32 v2, 5, v1 :: v_dual_bitop2_b32 v0, 7, v0 bitop3:0x40
	s_delay_alu instid0(VALU_DEP_2) | instskip(NEXT) | instid1(VALU_DEP_3)
	v_dual_lshrrev_b32 v1, 3, v1 :: v_dual_bitop2_b32 v4, s2, v3 bitop3:0x54
	v_dual_add_nc_u32 v18, 16, v16 :: v_dual_lshlrev_b32 v3, 2, v3
	s_delay_alu instid0(VALU_DEP_2) | instskip(NEXT) | instid1(VALU_DEP_2)
	v_dual_lshlrev_b32 v5, 2, v0 :: v_dual_add_nc_u32 v6, s1, v1
	v_dual_ashrrev_i32 v17, 31, v16 :: v_dual_ashrrev_i32 v19, 31, v18
	v_add_nc_u32_e32 v12, s2, v13
	s_delay_alu instid0(VALU_DEP_3) | instskip(SKIP_1) | instid1(VALU_DEP_4)
	v_lshl_or_b32 v7, v1, 5, v5
	v_ashrrev_i32_e32 v5, 31, v4
	v_mul_u64_e32 v[8:9], s[28:29], v[16:17]
	v_mul_u64_e32 v[10:11], s[28:29], v[18:19]
	s_cmp_neq_f32 s34, 0
	v_add_nc_u32_e32 v14, 16, v12
	v_cmp_le_i32_e32 vcc_lo, v16, v12
	s_wait_kmcnt 0x0
	v_cmp_gt_i32_e64 s2, s4, v12
	s_cselect_b32 s10, -1, 0
	s_cmp_neq_f32 s33, 0
	v_cmp_gt_i64_e64 s11, s[8:9], 0
	v_cmp_gt_i32_e64 s0, s4, v4
	v_lshl_or_b32 v1, v2, 7, v3
	v_cmp_gt_i32_e64 s1, s4, v6
	v_add_nc_u32_e32 v3, 0x400, v7
	v_dual_ashrrev_i32 v7, 31, v6 :: v_dual_lshlrev_b32 v28, 2, v13
	s_cselect_b32 s25, -1, 0
	s_and_b32 s28, vcc_lo, s2
	v_cmp_le_i32_e32 vcc_lo, v18, v12
	v_ashrrev_i32_e32 v13, 31, v12
	v_cmp_le_i32_e64 s3, v16, v14
	v_cmp_gt_i32_e64 s4, s4, v14
	v_cmp_le_i32_e64 s5, v18, v14
	v_lshl_add_u32 v29, v15, 5, 0x400
	v_dual_ashrrev_i32 v15, 31, v14 :: v_dual_mov_b32 v17, 0
	s_and_b32 s29, s3, s4
	s_and_b32 s35, vcc_lo, s2
	s_and_b32 s36, s5, s4
	s_and_b32 s37, s10, s11
	s_lshl_b64 s[2:3], s[22:23], 2
	s_lshl_b64 s[4:5], s[16:17], 2
	;; [unrolled: 1-line block ×3, first 2 shown]
	s_branch .LBB443_6
.LBB443_5:                              ;   in Loop: Header=BB443_6 Depth=1
	s_wait_xcnt 0x0
	s_or_b32 exec_lo, exec_lo, s16
	s_add_co_i32 s6, s6, 0x10000
	s_delay_alu instid0(SALU_CYCLE_1)
	s_cmp_lt_u32 s6, s24
	s_cbranch_scc0 .LBB443_35
.LBB443_6:                              ; =>This Loop Header: Depth=1
                                        ;     Child Loop BB443_9 Depth 2
	v_dual_mov_b32 v16, s6 :: v_dual_mov_b32 v23, v17
	v_dual_mov_b32 v22, v17 :: v_dual_mov_b32 v19, v17
	v_mov_b32_e32 v18, v17
	global_load_b64 v[20:21], v16, s[26:27] scale_offset
	s_and_not1_b32 vcc_lo, exec_lo, s37
	s_cbranch_vccnz .LBB443_15
; %bb.7:                                ;   in Loop: Header=BB443_6 Depth=1
	s_lshl_b64 s[16:17], s[6:7], 3
	v_mov_b32_e32 v18, 0
	s_add_nc_u64 s[22:23], s[12:13], s[16:17]
	s_add_nc_u64 s[16:17], s[18:19], s[16:17]
	s_clause 0x1
	global_load_b64 v[22:23], v17, s[22:23]
	global_load_b64 v[24:25], v17, s[16:17]
	s_wait_xcnt 0x0
	s_mov_b64 s[16:17], 0
	v_mov_b32_e32 v19, v18
	s_wait_loadcnt 0x1
	v_add_nc_u64_e32 v[26:27], s[4:5], v[22:23]
	s_wait_loadcnt 0x0
	v_add_nc_u64_e32 v[30:31], s[2:3], v[24:25]
	v_dual_mov_b32 v22, v18 :: v_dual_mov_b32 v23, v18
	s_delay_alu instid0(VALU_DEP_3) | instskip(NEXT) | instid1(VALU_DEP_3)
	v_lshl_add_u64 v[24:25], v[4:5], 2, v[26:27]
	v_lshl_add_u64 v[26:27], v[6:7], 2, v[30:31]
	s_branch .LBB443_9
.LBB443_8:                              ;   in Loop: Header=BB443_9 Depth=2
	s_wait_xcnt 0x0
	s_or_b32 exec_lo, exec_lo, s22
	s_wait_loadcnt_dscnt 0x0
	ds_store_b32 v3, v31
	s_wait_dscnt 0x0
	s_barrier_signal -1
	s_barrier_wait -1
	ds_load_b128 v[30:33], v29
	ds_load_2addr_b32 v[46:47], v28 offset1:16
	ds_load_b128 v[34:37], v29 offset:512
	ds_load_2addr_b32 v[48:49], v28 offset0:32 offset1:48
	ds_load_2addr_b32 v[50:51], v28 offset0:64 offset1:80
	ds_load_2addr_b32 v[52:53], v28 offset0:96 offset1:112
	ds_load_b128 v[38:41], v29 offset:16
	ds_load_2addr_b32 v[54:55], v28 offset0:128 offset1:144
	ds_load_b128 v[42:45], v29 offset:528
	s_add_nc_u64 s[16:17], s[16:17], 8
	s_delay_alu instid0(SALU_CYCLE_1)
	v_cmp_gt_i64_e64 s22, s[8:9], s[16:17]
	s_and_b32 vcc_lo, exec_lo, s22
	s_wait_dscnt 0x8
	v_mov_b32_e32 v16, v33
	s_wait_dscnt 0x7
	v_pk_fma_f32 v[22:23], v[46:47], v[30:31], v[22:23] op_sel_hi:[1,0,1]
	s_wait_dscnt 0x6
	v_pk_fma_f32 v[18:19], v[46:47], v[34:35], v[18:19] op_sel_hi:[1,0,1]
	ds_load_2addr_b32 v[46:47], v28 offset0:160 offset1:176
	s_wait_dscnt 0x6
	v_pk_fma_f32 v[22:23], v[48:49], v[30:31], v[22:23] op_sel:[0,1,0]
	v_pk_fma_f32 v[18:19], v[48:49], v[34:35], v[18:19] op_sel:[0,1,0]
	ds_load_2addr_b32 v[30:31], v28 offset0:192 offset1:208
	v_mov_b32_e32 v34, v37
	s_wait_dscnt 0x6
	v_pk_fma_f32 v[22:23], v[50:51], v[32:33], v[22:23] op_sel_hi:[1,0,1]
	v_pk_fma_f32 v[18:19], v[50:51], v[36:37], v[18:19] op_sel_hi:[1,0,1]
	ds_load_2addr_b32 v[32:33], v28 offset0:224 offset1:240
	s_wait_dscnt 0x0
	s_barrier_signal -1
	v_pk_fma_f32 v[22:23], v[52:53], v[16:17], v[22:23] op_sel_hi:[1,0,1]
	v_pk_fma_f32 v[18:19], v[52:53], v[34:35], v[18:19] op_sel_hi:[1,0,1]
	v_dual_mov_b32 v16, v41 :: v_dual_mov_b32 v34, v45
	s_barrier_wait -1
	s_delay_alu instid0(VALU_DEP_3) | instskip(NEXT) | instid1(VALU_DEP_3)
	v_pk_fma_f32 v[22:23], v[54:55], v[38:39], v[22:23] op_sel_hi:[1,0,1]
	v_pk_fma_f32 v[18:19], v[54:55], v[42:43], v[18:19] op_sel_hi:[1,0,1]
	s_delay_alu instid0(VALU_DEP_2) | instskip(NEXT) | instid1(VALU_DEP_2)
	v_pk_fma_f32 v[22:23], v[46:47], v[38:39], v[22:23] op_sel:[0,1,0]
	v_pk_fma_f32 v[18:19], v[46:47], v[42:43], v[18:19] op_sel:[0,1,0]
	s_delay_alu instid0(VALU_DEP_2) | instskip(NEXT) | instid1(VALU_DEP_2)
	v_pk_fma_f32 v[22:23], v[30:31], v[40:41], v[22:23] op_sel_hi:[1,0,1]
	v_pk_fma_f32 v[18:19], v[30:31], v[44:45], v[18:19] op_sel_hi:[1,0,1]
	s_delay_alu instid0(VALU_DEP_2) | instskip(NEXT) | instid1(VALU_DEP_2)
	v_pk_fma_f32 v[22:23], v[32:33], v[16:17], v[22:23] op_sel_hi:[1,0,1]
	v_pk_fma_f32 v[18:19], v[32:33], v[34:35], v[18:19] op_sel_hi:[1,0,1]
	s_cbranch_vccz .LBB443_15
.LBB443_9:                              ;   Parent Loop BB443_6 Depth=1
                                        ; =>  This Inner Loop Header: Depth=2
	v_mov_b32_e32 v30, 0
	s_and_saveexec_b32 s22, s0
	s_cbranch_execz .LBB443_13
; %bb.10:                               ;   in Loop: Header=BB443_9 Depth=2
	v_dual_add_nc_u32 v16, s16, v2 :: v_dual_mov_b32 v30, 0
	s_mov_b32 s23, exec_lo
	s_delay_alu instid0(VALU_DEP_1)
	v_cmpx_gt_u64_e64 s[8:9], v[16:17]
	s_cbranch_execz .LBB443_12
; %bb.11:                               ;   in Loop: Header=BB443_9 Depth=2
	v_mul_u64_e32 v[30:31], s[14:15], v[16:17]
	s_delay_alu instid0(VALU_DEP_1)
	v_lshl_add_u64 v[30:31], v[30:31], 2, v[24:25]
	flat_load_b32 v30, v[30:31]
.LBB443_12:                             ;   in Loop: Header=BB443_9 Depth=2
	s_wait_xcnt 0x0
	s_or_b32 exec_lo, exec_lo, s23
.LBB443_13:                             ;   in Loop: Header=BB443_9 Depth=2
	s_delay_alu instid0(SALU_CYCLE_1)
	s_or_b32 exec_lo, exec_lo, s22
	v_dual_mov_b32 v31, 0 :: v_dual_add_nc_u32 v16, s16, v0
	s_wait_loadcnt_dscnt 0x0
	ds_store_b32 v1, v30
	v_cmp_gt_u64_e32 vcc_lo, s[8:9], v[16:17]
	s_and_b32 s23, vcc_lo, s1
	s_delay_alu instid0(SALU_CYCLE_1)
	s_and_saveexec_b32 s22, s23
	s_cbranch_execz .LBB443_8
; %bb.14:                               ;   in Loop: Header=BB443_9 Depth=2
	v_mul_u64_e32 v[30:31], s[20:21], v[16:17]
	s_delay_alu instid0(VALU_DEP_1)
	v_lshl_add_u64 v[30:31], v[30:31], 2, v[26:27]
	flat_load_b32 v31, v[30:31]
	s_branch .LBB443_8
.LBB443_15:                             ;   in Loop: Header=BB443_6 Depth=1
	s_wait_loadcnt 0x0
	v_add_nc_u64_e32 v[20:21], s[10:11], v[20:21]
	s_delay_alu instid0(VALU_DEP_1)
	v_lshl_add_u64 v[24:25], v[8:9], 2, v[20:21]
	s_wait_xcnt 0x0
	s_and_saveexec_b32 s16, s28
	s_cbranch_execz .LBB443_19
; %bb.16:                               ;   in Loop: Header=BB443_6 Depth=1
	v_mul_f32_e32 v16, s34, v22
	v_lshl_add_u64 v[26:27], v[12:13], 2, v[24:25]
	s_and_b32 vcc_lo, exec_lo, s25
	s_cbranch_vccz .LBB443_30
; %bb.17:                               ;   in Loop: Header=BB443_6 Depth=1
	flat_load_b32 v22, v[26:27]
	s_wait_loadcnt_dscnt 0x0
	v_fma_f32 v22, s33, v22, v16
	flat_store_b32 v[26:27], v22
	s_cbranch_execnz .LBB443_19
.LBB443_18:                             ;   in Loop: Header=BB443_6 Depth=1
	flat_store_b32 v[26:27], v16
.LBB443_19:                             ;   in Loop: Header=BB443_6 Depth=1
	s_wait_xcnt 0x0
	s_or_b32 exec_lo, exec_lo, s16
	s_and_saveexec_b32 s16, s29
	s_cbranch_execz .LBB443_23
; %bb.20:                               ;   in Loop: Header=BB443_6 Depth=1
	v_mul_f32_e32 v16, s34, v23
	v_lshl_add_u64 v[22:23], v[14:15], 2, v[24:25]
	s_and_not1_b32 vcc_lo, exec_lo, s25
	s_cbranch_vccnz .LBB443_31
; %bb.21:                               ;   in Loop: Header=BB443_6 Depth=1
	flat_load_b32 v24, v[22:23]
	s_wait_loadcnt_dscnt 0x0
	v_fma_f32 v24, s33, v24, v16
	flat_store_b32 v[22:23], v24
	s_cbranch_execnz .LBB443_23
.LBB443_22:                             ;   in Loop: Header=BB443_6 Depth=1
	flat_store_b32 v[22:23], v16
.LBB443_23:                             ;   in Loop: Header=BB443_6 Depth=1
	s_wait_xcnt 0x0
	s_or_b32 exec_lo, exec_lo, s16
	v_lshl_add_u64 v[20:21], v[10:11], 2, v[20:21]
	s_and_saveexec_b32 s16, s35
	s_cbranch_execz .LBB443_27
; %bb.24:                               ;   in Loop: Header=BB443_6 Depth=1
	v_mul_f32_e32 v16, s34, v18
	s_delay_alu instid0(VALU_DEP_2)
	v_lshl_add_u64 v[22:23], v[12:13], 2, v[20:21]
	s_and_not1_b32 vcc_lo, exec_lo, s25
	s_cbranch_vccnz .LBB443_32
; %bb.25:                               ;   in Loop: Header=BB443_6 Depth=1
	flat_load_b32 v18, v[22:23]
	s_wait_loadcnt_dscnt 0x0
	v_fma_f32 v18, s33, v18, v16
	flat_store_b32 v[22:23], v18
	s_cbranch_execnz .LBB443_27
.LBB443_26:                             ;   in Loop: Header=BB443_6 Depth=1
	flat_store_b32 v[22:23], v16
.LBB443_27:                             ;   in Loop: Header=BB443_6 Depth=1
	s_wait_xcnt 0x0
	s_or_b32 exec_lo, exec_lo, s16
	s_and_saveexec_b32 s16, s36
	s_cbranch_execz .LBB443_5
; %bb.28:                               ;   in Loop: Header=BB443_6 Depth=1
	v_mul_f32_e32 v16, s34, v19
	v_lshl_add_u64 v[18:19], v[14:15], 2, v[20:21]
	s_and_not1_b32 vcc_lo, exec_lo, s25
	s_cbranch_vccnz .LBB443_33
; %bb.29:                               ;   in Loop: Header=BB443_6 Depth=1
	flat_load_b32 v20, v[18:19]
	s_wait_loadcnt_dscnt 0x0
	v_fma_f32 v20, s33, v20, v16
	flat_store_b32 v[18:19], v20
	s_cbranch_execnz .LBB443_5
	s_branch .LBB443_34
.LBB443_30:                             ;   in Loop: Header=BB443_6 Depth=1
	s_branch .LBB443_18
.LBB443_31:                             ;   in Loop: Header=BB443_6 Depth=1
	s_branch .LBB443_22
.LBB443_32:                             ;   in Loop: Header=BB443_6 Depth=1
	s_branch .LBB443_26
.LBB443_33:                             ;   in Loop: Header=BB443_6 Depth=1
.LBB443_34:                             ;   in Loop: Header=BB443_6 Depth=1
	flat_store_b32 v[18:19], v16
	s_branch .LBB443_5
.LBB443_35:
	s_endpgm
	.section	.rodata,"a",@progbits
	.p2align	6, 0x0
	.amdhsa_kernel _ZL29rocblas_internal_gemmt_kernelIlLi16ELi32ELi8ELc78ELc67ELc76ELb0ELb0EfPKfPKS1_PKPfEviT_T9_T10_S7_lS9_S7_lS8_T11_S7_li
		.amdhsa_group_segment_fixed_size 2048
		.amdhsa_private_segment_fixed_size 0
		.amdhsa_kernarg_size 108
		.amdhsa_user_sgpr_count 2
		.amdhsa_user_sgpr_dispatch_ptr 0
		.amdhsa_user_sgpr_queue_ptr 0
		.amdhsa_user_sgpr_kernarg_segment_ptr 1
		.amdhsa_user_sgpr_dispatch_id 0
		.amdhsa_user_sgpr_kernarg_preload_length 0
		.amdhsa_user_sgpr_kernarg_preload_offset 0
		.amdhsa_user_sgpr_private_segment_size 0
		.amdhsa_wavefront_size32 1
		.amdhsa_uses_dynamic_stack 0
		.amdhsa_enable_private_segment 0
		.amdhsa_system_sgpr_workgroup_id_x 1
		.amdhsa_system_sgpr_workgroup_id_y 1
		.amdhsa_system_sgpr_workgroup_id_z 1
		.amdhsa_system_sgpr_workgroup_info 0
		.amdhsa_system_vgpr_workitem_id 1
		.amdhsa_next_free_vgpr 56
		.amdhsa_next_free_sgpr 38
		.amdhsa_named_barrier_count 0
		.amdhsa_reserve_vcc 1
		.amdhsa_float_round_mode_32 0
		.amdhsa_float_round_mode_16_64 0
		.amdhsa_float_denorm_mode_32 3
		.amdhsa_float_denorm_mode_16_64 3
		.amdhsa_fp16_overflow 0
		.amdhsa_memory_ordered 1
		.amdhsa_forward_progress 1
		.amdhsa_inst_pref_size 13
		.amdhsa_round_robin_scheduling 0
		.amdhsa_exception_fp_ieee_invalid_op 0
		.amdhsa_exception_fp_denorm_src 0
		.amdhsa_exception_fp_ieee_div_zero 0
		.amdhsa_exception_fp_ieee_overflow 0
		.amdhsa_exception_fp_ieee_underflow 0
		.amdhsa_exception_fp_ieee_inexact 0
		.amdhsa_exception_int_div_zero 0
	.end_amdhsa_kernel
	.section	.text._ZL29rocblas_internal_gemmt_kernelIlLi16ELi32ELi8ELc78ELc67ELc76ELb0ELb0EfPKfPKS1_PKPfEviT_T9_T10_S7_lS9_S7_lS8_T11_S7_li,"axG",@progbits,_ZL29rocblas_internal_gemmt_kernelIlLi16ELi32ELi8ELc78ELc67ELc76ELb0ELb0EfPKfPKS1_PKPfEviT_T9_T10_S7_lS9_S7_lS8_T11_S7_li,comdat
.Lfunc_end443:
	.size	_ZL29rocblas_internal_gemmt_kernelIlLi16ELi32ELi8ELc78ELc67ELc76ELb0ELb0EfPKfPKS1_PKPfEviT_T9_T10_S7_lS9_S7_lS8_T11_S7_li, .Lfunc_end443-_ZL29rocblas_internal_gemmt_kernelIlLi16ELi32ELi8ELc78ELc67ELc76ELb0ELb0EfPKfPKS1_PKPfEviT_T9_T10_S7_lS9_S7_lS8_T11_S7_li
                                        ; -- End function
	.set _ZL29rocblas_internal_gemmt_kernelIlLi16ELi32ELi8ELc78ELc67ELc76ELb0ELb0EfPKfPKS1_PKPfEviT_T9_T10_S7_lS9_S7_lS8_T11_S7_li.num_vgpr, 56
	.set _ZL29rocblas_internal_gemmt_kernelIlLi16ELi32ELi8ELc78ELc67ELc76ELb0ELb0EfPKfPKS1_PKPfEviT_T9_T10_S7_lS9_S7_lS8_T11_S7_li.num_agpr, 0
	.set _ZL29rocblas_internal_gemmt_kernelIlLi16ELi32ELi8ELc78ELc67ELc76ELb0ELb0EfPKfPKS1_PKPfEviT_T9_T10_S7_lS9_S7_lS8_T11_S7_li.numbered_sgpr, 38
	.set _ZL29rocblas_internal_gemmt_kernelIlLi16ELi32ELi8ELc78ELc67ELc76ELb0ELb0EfPKfPKS1_PKPfEviT_T9_T10_S7_lS9_S7_lS8_T11_S7_li.num_named_barrier, 0
	.set _ZL29rocblas_internal_gemmt_kernelIlLi16ELi32ELi8ELc78ELc67ELc76ELb0ELb0EfPKfPKS1_PKPfEviT_T9_T10_S7_lS9_S7_lS8_T11_S7_li.private_seg_size, 0
	.set _ZL29rocblas_internal_gemmt_kernelIlLi16ELi32ELi8ELc78ELc67ELc76ELb0ELb0EfPKfPKS1_PKPfEviT_T9_T10_S7_lS9_S7_lS8_T11_S7_li.uses_vcc, 1
	.set _ZL29rocblas_internal_gemmt_kernelIlLi16ELi32ELi8ELc78ELc67ELc76ELb0ELb0EfPKfPKS1_PKPfEviT_T9_T10_S7_lS9_S7_lS8_T11_S7_li.uses_flat_scratch, 0
	.set _ZL29rocblas_internal_gemmt_kernelIlLi16ELi32ELi8ELc78ELc67ELc76ELb0ELb0EfPKfPKS1_PKPfEviT_T9_T10_S7_lS9_S7_lS8_T11_S7_li.has_dyn_sized_stack, 0
	.set _ZL29rocblas_internal_gemmt_kernelIlLi16ELi32ELi8ELc78ELc67ELc76ELb0ELb0EfPKfPKS1_PKPfEviT_T9_T10_S7_lS9_S7_lS8_T11_S7_li.has_recursion, 0
	.set _ZL29rocblas_internal_gemmt_kernelIlLi16ELi32ELi8ELc78ELc67ELc76ELb0ELb0EfPKfPKS1_PKPfEviT_T9_T10_S7_lS9_S7_lS8_T11_S7_li.has_indirect_call, 0
	.section	.AMDGPU.csdata,"",@progbits
; Kernel info:
; codeLenInByte = 1656
; TotalNumSgprs: 40
; NumVgprs: 56
; ScratchSize: 0
; MemoryBound: 0
; FloatMode: 240
; IeeeMode: 1
; LDSByteSize: 2048 bytes/workgroup (compile time only)
; SGPRBlocks: 0
; VGPRBlocks: 3
; NumSGPRsForWavesPerEU: 40
; NumVGPRsForWavesPerEU: 56
; NamedBarCnt: 0
; Occupancy: 16
; WaveLimiterHint : 1
; COMPUTE_PGM_RSRC2:SCRATCH_EN: 0
; COMPUTE_PGM_RSRC2:USER_SGPR: 2
; COMPUTE_PGM_RSRC2:TRAP_HANDLER: 0
; COMPUTE_PGM_RSRC2:TGID_X_EN: 1
; COMPUTE_PGM_RSRC2:TGID_Y_EN: 1
; COMPUTE_PGM_RSRC2:TGID_Z_EN: 1
; COMPUTE_PGM_RSRC2:TIDIG_COMP_CNT: 1
	.section	.text._ZL29rocblas_internal_gemmt_kernelIlLi16ELi32ELi8ELc84ELc78ELc76ELb0ELb0EfPKfPKS1_PKPfEviT_T9_T10_S7_lS9_S7_lS8_T11_S7_li,"axG",@progbits,_ZL29rocblas_internal_gemmt_kernelIlLi16ELi32ELi8ELc84ELc78ELc76ELb0ELb0EfPKfPKS1_PKPfEviT_T9_T10_S7_lS9_S7_lS8_T11_S7_li,comdat
	.globl	_ZL29rocblas_internal_gemmt_kernelIlLi16ELi32ELi8ELc84ELc78ELc76ELb0ELb0EfPKfPKS1_PKPfEviT_T9_T10_S7_lS9_S7_lS8_T11_S7_li ; -- Begin function _ZL29rocblas_internal_gemmt_kernelIlLi16ELi32ELi8ELc84ELc78ELc76ELb0ELb0EfPKfPKS1_PKPfEviT_T9_T10_S7_lS9_S7_lS8_T11_S7_li
	.p2align	8
	.type	_ZL29rocblas_internal_gemmt_kernelIlLi16ELi32ELi8ELc84ELc78ELc76ELb0ELb0EfPKfPKS1_PKPfEviT_T9_T10_S7_lS9_S7_lS8_T11_S7_li,@function
_ZL29rocblas_internal_gemmt_kernelIlLi16ELi32ELi8ELc84ELc78ELc76ELb0ELb0EfPKfPKS1_PKPfEviT_T9_T10_S7_lS9_S7_lS8_T11_S7_li: ; @_ZL29rocblas_internal_gemmt_kernelIlLi16ELi32ELi8ELc84ELc78ELc76ELb0ELb0EfPKfPKS1_PKPfEviT_T9_T10_S7_lS9_S7_lS8_T11_S7_li
; %bb.0:
	s_clause 0x1
	s_load_b256 s[24:31], s[0:1], 0x48
	s_load_b512 s[8:23], s[0:1], 0x8
	s_wait_kmcnt 0x0
	s_load_b32 s33, s[24:25], 0x0
	s_load_b32 s34, s[10:11], 0x0
	s_wait_kmcnt 0x0
	s_cmp_neq_f32 s33, 1.0
	s_cselect_b32 s2, -1, 0
	s_delay_alu instid0(SALU_CYCLE_1)
	s_and_b32 vcc_lo, exec_lo, s2
	s_cbranch_vccnz .LBB444_2
; %bb.1:
	s_cmp_lg_u64 s[8:9], 0
	s_cselect_b32 s2, -1, 0
	s_cmp_neq_f32 s34, 0
	s_cselect_b32 s3, -1, 0
	s_delay_alu instid0(SALU_CYCLE_1)
	s_and_b32 s2, s2, s3
.LBB444_2:
	s_delay_alu instid0(SALU_CYCLE_1)
	s_and_not1_b32 vcc_lo, exec_lo, s2
	s_cbranch_vccnz .LBB444_35
; %bb.3:
	s_load_b32 s24, s[0:1], 0x68
	s_bfe_u32 s2, ttmp6, 0x40014
	s_lshr_b32 s3, ttmp7, 16
	s_add_co_i32 s2, s2, 1
	s_bfe_u32 s5, ttmp6, 0x40008
	s_mul_i32 s4, s3, s2
	s_getreg_b32 s2, hwreg(HW_REG_IB_STS2, 6, 4)
	s_add_co_i32 s5, s5, s4
	s_cmp_eq_u32 s2, 0
	s_mov_b32 s7, 0
	s_cselect_b32 s6, s3, s5
	s_wait_kmcnt 0x0
	s_cmp_ge_u32 s6, s24
	s_cbranch_scc1 .LBB444_35
; %bb.4:
	s_load_b32 s4, s[0:1], 0x0
	s_wait_xcnt 0x0
	s_bfe_u32 s1, ttmp6, 0x4000c
	s_bfe_u32 s5, ttmp6, 0x40010
	s_and_b32 s3, ttmp7, 0xffff
	s_add_co_i32 s1, s1, 1
	s_add_co_i32 s5, s5, 1
	v_and_b32_e32 v20, 0x3ff, v0
	v_bfe_u32 v21, v0, 10, 10
	s_and_b32 s0, ttmp6, 15
	s_mul_i32 s1, ttmp9, s1
	s_mul_i32 s5, s3, s5
	s_bfe_u32 s10, ttmp6, 0x40004
	s_add_co_i32 s0, s0, s1
	s_add_co_i32 s10, s10, s5
	s_cmp_eq_u32 s2, 0
	v_lshl_add_u32 v1, v21, 4, v20
	s_cselect_b32 s0, ttmp9, s0
	s_cselect_b32 s1, s3, s10
	s_lshl_b32 s2, s0, 5
	s_lshl_b32 s0, s1, 5
	v_dual_lshrrev_b32 v2, 5, v1 :: v_dual_lshrrev_b32 v3, 3, v1
	v_and_b32_e32 v1, 31, v1
	v_dual_add_nc_u32 v16, s0, v21 :: v_dual_bitop2_b32 v0, 7, v0 bitop3:0x40
	s_cmp_neq_f32 s34, 0
	s_delay_alu instid0(VALU_DEP_2) | instskip(NEXT) | instid1(VALU_DEP_2)
	v_dual_add_nc_u32 v14, s0, v3 :: v_dual_bitop2_b32 v12, s2, v1 bitop3:0x54
	v_dual_add_nc_u32 v18, 16, v16 :: v_dual_ashrrev_i32 v17, 31, v16
	s_delay_alu instid0(VALU_DEP_2) | instskip(NEXT) | instid1(VALU_DEP_2)
	v_dual_lshlrev_b32 v1, 2, v1 :: v_dual_ashrrev_i32 v15, 31, v14
	v_dual_ashrrev_i32 v13, 31, v12 :: v_dual_ashrrev_i32 v19, 31, v18
	s_delay_alu instid0(VALU_DEP_3)
	v_mul_u64_e32 v[8:9], s[28:29], v[16:17]
	s_wait_kmcnt 0x0
	v_cmp_gt_i32_e64 s0, s4, v12
	v_mul_u64_e32 v[6:7], s[20:21], v[14:15]
	v_mul_u64_e32 v[4:5], s[14:15], v[12:13]
	v_lshlrev_b32_e32 v13, 2, v0
	v_mul_u64_e32 v[10:11], s[28:29], v[18:19]
	v_dual_add_nc_u32 v12, s2, v20 :: v_dual_lshlrev_b32 v28, 2, v20
	v_cmp_gt_i32_e64 s1, s4, v14
	s_cselect_b32 s10, -1, 0
	s_cmp_neq_f32 s33, 0
	v_add_nc_u32_e32 v14, 16, v12
	v_cmp_le_i32_e32 vcc_lo, v16, v12
	v_cmp_gt_i32_e64 s2, s4, v12
	v_lshl_or_b32 v3, v3, 5, v13
	v_cmp_gt_i64_e64 s11, s[8:9], 0
	s_cselect_b32 s20, -1, 0
	v_ashrrev_i32_e32 v13, 31, v12
	v_cmp_le_i32_e64 s3, v16, v14
	v_cmp_gt_i32_e64 s4, s4, v14
	s_and_b32 s21, vcc_lo, s2
	v_cmp_le_i32_e32 vcc_lo, v18, v12
	v_cmp_le_i32_e64 s5, v18, v14
	v_lshl_or_b32 v1, v2, 7, v1
	v_add_nc_u32_e32 v3, 0x400, v3
	v_lshl_add_u32 v29, v21, 5, 0x400
	v_dual_ashrrev_i32 v15, 31, v14 :: v_dual_mov_b32 v17, 0
	s_and_b32 s25, s3, s4
	s_and_b32 s28, vcc_lo, s2
	s_and_b32 s29, s5, s4
	s_and_b32 s35, s10, s11
	s_lshl_b64 s[2:3], s[22:23], 2
	s_lshl_b64 s[4:5], s[16:17], 2
	;; [unrolled: 1-line block ×3, first 2 shown]
	s_branch .LBB444_6
.LBB444_5:                              ;   in Loop: Header=BB444_6 Depth=1
	s_wait_xcnt 0x0
	s_or_b32 exec_lo, exec_lo, s14
	s_add_co_i32 s6, s6, 0x10000
	s_delay_alu instid0(SALU_CYCLE_1)
	s_cmp_lt_u32 s6, s24
	s_cbranch_scc0 .LBB444_35
.LBB444_6:                              ; =>This Loop Header: Depth=1
                                        ;     Child Loop BB444_9 Depth 2
	v_dual_mov_b32 v16, s6 :: v_dual_mov_b32 v23, v17
	v_dual_mov_b32 v22, v17 :: v_dual_mov_b32 v19, v17
	v_mov_b32_e32 v18, v17
	global_load_b64 v[20:21], v16, s[26:27] scale_offset
	s_and_not1_b32 vcc_lo, exec_lo, s35
	s_cbranch_vccnz .LBB444_15
; %bb.7:                                ;   in Loop: Header=BB444_6 Depth=1
	s_lshl_b64 s[14:15], s[6:7], 3
	v_mov_b32_e32 v18, 0
	s_add_nc_u64 s[16:17], s[12:13], s[14:15]
	s_add_nc_u64 s[14:15], s[18:19], s[14:15]
	s_clause 0x1
	global_load_b64 v[22:23], v17, s[16:17]
	global_load_b64 v[24:25], v17, s[14:15]
	s_wait_xcnt 0x0
	s_mov_b64 s[14:15], 0
	v_mov_b32_e32 v19, v18
	s_wait_loadcnt 0x1
	v_add_nc_u64_e32 v[26:27], s[4:5], v[22:23]
	s_wait_loadcnt 0x0
	v_add_nc_u64_e32 v[30:31], s[2:3], v[24:25]
	v_dual_mov_b32 v22, v18 :: v_dual_mov_b32 v23, v18
	s_delay_alu instid0(VALU_DEP_3) | instskip(NEXT) | instid1(VALU_DEP_3)
	v_lshl_add_u64 v[24:25], v[4:5], 2, v[26:27]
	v_lshl_add_u64 v[26:27], v[6:7], 2, v[30:31]
	s_branch .LBB444_9
.LBB444_8:                              ;   in Loop: Header=BB444_9 Depth=2
	s_wait_xcnt 0x0
	s_or_b32 exec_lo, exec_lo, s16
	s_wait_loadcnt_dscnt 0x0
	ds_store_b32 v3, v31
	s_wait_dscnt 0x0
	s_barrier_signal -1
	s_barrier_wait -1
	ds_load_b128 v[30:33], v29
	ds_load_2addr_b32 v[46:47], v28 offset1:16
	ds_load_b128 v[34:37], v29 offset:512
	ds_load_2addr_b32 v[48:49], v28 offset0:32 offset1:48
	ds_load_2addr_b32 v[50:51], v28 offset0:64 offset1:80
	ds_load_2addr_b32 v[52:53], v28 offset0:96 offset1:112
	ds_load_b128 v[38:41], v29 offset:16
	ds_load_2addr_b32 v[54:55], v28 offset0:128 offset1:144
	ds_load_b128 v[42:45], v29 offset:528
	s_add_nc_u64 s[14:15], s[14:15], 8
	s_delay_alu instid0(SALU_CYCLE_1)
	v_cmp_gt_i64_e64 s16, s[8:9], s[14:15]
	s_and_b32 vcc_lo, exec_lo, s16
	s_wait_dscnt 0x8
	v_mov_b32_e32 v16, v33
	s_wait_dscnt 0x7
	v_pk_fma_f32 v[22:23], v[46:47], v[30:31], v[22:23] op_sel_hi:[1,0,1]
	s_wait_dscnt 0x6
	v_pk_fma_f32 v[18:19], v[46:47], v[34:35], v[18:19] op_sel_hi:[1,0,1]
	ds_load_2addr_b32 v[46:47], v28 offset0:160 offset1:176
	s_wait_dscnt 0x6
	v_pk_fma_f32 v[22:23], v[48:49], v[30:31], v[22:23] op_sel:[0,1,0]
	v_pk_fma_f32 v[18:19], v[48:49], v[34:35], v[18:19] op_sel:[0,1,0]
	ds_load_2addr_b32 v[30:31], v28 offset0:192 offset1:208
	v_mov_b32_e32 v34, v37
	s_wait_dscnt 0x6
	v_pk_fma_f32 v[22:23], v[50:51], v[32:33], v[22:23] op_sel_hi:[1,0,1]
	v_pk_fma_f32 v[18:19], v[50:51], v[36:37], v[18:19] op_sel_hi:[1,0,1]
	ds_load_2addr_b32 v[32:33], v28 offset0:224 offset1:240
	s_wait_dscnt 0x0
	s_barrier_signal -1
	v_pk_fma_f32 v[22:23], v[52:53], v[16:17], v[22:23] op_sel_hi:[1,0,1]
	v_pk_fma_f32 v[18:19], v[52:53], v[34:35], v[18:19] op_sel_hi:[1,0,1]
	v_dual_mov_b32 v16, v41 :: v_dual_mov_b32 v34, v45
	s_barrier_wait -1
	s_delay_alu instid0(VALU_DEP_3) | instskip(NEXT) | instid1(VALU_DEP_3)
	v_pk_fma_f32 v[22:23], v[54:55], v[38:39], v[22:23] op_sel_hi:[1,0,1]
	v_pk_fma_f32 v[18:19], v[54:55], v[42:43], v[18:19] op_sel_hi:[1,0,1]
	s_delay_alu instid0(VALU_DEP_2) | instskip(NEXT) | instid1(VALU_DEP_2)
	v_pk_fma_f32 v[22:23], v[46:47], v[38:39], v[22:23] op_sel:[0,1,0]
	v_pk_fma_f32 v[18:19], v[46:47], v[42:43], v[18:19] op_sel:[0,1,0]
	s_delay_alu instid0(VALU_DEP_2) | instskip(NEXT) | instid1(VALU_DEP_2)
	v_pk_fma_f32 v[22:23], v[30:31], v[40:41], v[22:23] op_sel_hi:[1,0,1]
	v_pk_fma_f32 v[18:19], v[30:31], v[44:45], v[18:19] op_sel_hi:[1,0,1]
	s_delay_alu instid0(VALU_DEP_2) | instskip(NEXT) | instid1(VALU_DEP_2)
	v_pk_fma_f32 v[22:23], v[32:33], v[16:17], v[22:23] op_sel_hi:[1,0,1]
	v_pk_fma_f32 v[18:19], v[32:33], v[34:35], v[18:19] op_sel_hi:[1,0,1]
	s_cbranch_vccz .LBB444_15
.LBB444_9:                              ;   Parent Loop BB444_6 Depth=1
                                        ; =>  This Inner Loop Header: Depth=2
	v_mov_b32_e32 v30, 0
	s_and_saveexec_b32 s16, s0
	s_cbranch_execz .LBB444_13
; %bb.10:                               ;   in Loop: Header=BB444_9 Depth=2
	v_dual_add_nc_u32 v16, s14, v2 :: v_dual_mov_b32 v30, 0
	s_mov_b32 s17, exec_lo
	s_delay_alu instid0(VALU_DEP_1)
	v_cmpx_gt_u64_e64 s[8:9], v[16:17]
	s_cbranch_execz .LBB444_12
; %bb.11:                               ;   in Loop: Header=BB444_9 Depth=2
	v_lshl_add_u64 v[30:31], v[16:17], 2, v[24:25]
	flat_load_b32 v30, v[30:31]
.LBB444_12:                             ;   in Loop: Header=BB444_9 Depth=2
	s_wait_xcnt 0x0
	s_or_b32 exec_lo, exec_lo, s17
.LBB444_13:                             ;   in Loop: Header=BB444_9 Depth=2
	s_delay_alu instid0(SALU_CYCLE_1)
	s_or_b32 exec_lo, exec_lo, s16
	v_dual_mov_b32 v31, 0 :: v_dual_add_nc_u32 v16, s14, v0
	s_wait_loadcnt_dscnt 0x0
	ds_store_b32 v1, v30
	v_cmp_gt_u64_e32 vcc_lo, s[8:9], v[16:17]
	s_and_b32 s17, vcc_lo, s1
	s_delay_alu instid0(SALU_CYCLE_1)
	s_and_saveexec_b32 s16, s17
	s_cbranch_execz .LBB444_8
; %bb.14:                               ;   in Loop: Header=BB444_9 Depth=2
	v_lshl_add_u64 v[30:31], v[16:17], 2, v[26:27]
	flat_load_b32 v31, v[30:31]
	s_branch .LBB444_8
.LBB444_15:                             ;   in Loop: Header=BB444_6 Depth=1
	s_wait_loadcnt 0x0
	v_add_nc_u64_e32 v[20:21], s[10:11], v[20:21]
	s_delay_alu instid0(VALU_DEP_1)
	v_lshl_add_u64 v[24:25], v[8:9], 2, v[20:21]
	s_wait_xcnt 0x0
	s_and_saveexec_b32 s14, s21
	s_cbranch_execz .LBB444_19
; %bb.16:                               ;   in Loop: Header=BB444_6 Depth=1
	v_mul_f32_e32 v16, s34, v22
	v_lshl_add_u64 v[26:27], v[12:13], 2, v[24:25]
	s_and_b32 vcc_lo, exec_lo, s20
	s_cbranch_vccz .LBB444_30
; %bb.17:                               ;   in Loop: Header=BB444_6 Depth=1
	flat_load_b32 v22, v[26:27]
	s_wait_loadcnt_dscnt 0x0
	v_fma_f32 v22, s33, v22, v16
	flat_store_b32 v[26:27], v22
	s_cbranch_execnz .LBB444_19
.LBB444_18:                             ;   in Loop: Header=BB444_6 Depth=1
	flat_store_b32 v[26:27], v16
.LBB444_19:                             ;   in Loop: Header=BB444_6 Depth=1
	s_wait_xcnt 0x0
	s_or_b32 exec_lo, exec_lo, s14
	s_and_saveexec_b32 s14, s25
	s_cbranch_execz .LBB444_23
; %bb.20:                               ;   in Loop: Header=BB444_6 Depth=1
	v_mul_f32_e32 v16, s34, v23
	v_lshl_add_u64 v[22:23], v[14:15], 2, v[24:25]
	s_and_not1_b32 vcc_lo, exec_lo, s20
	s_cbranch_vccnz .LBB444_31
; %bb.21:                               ;   in Loop: Header=BB444_6 Depth=1
	flat_load_b32 v24, v[22:23]
	s_wait_loadcnt_dscnt 0x0
	v_fma_f32 v24, s33, v24, v16
	flat_store_b32 v[22:23], v24
	s_cbranch_execnz .LBB444_23
.LBB444_22:                             ;   in Loop: Header=BB444_6 Depth=1
	flat_store_b32 v[22:23], v16
.LBB444_23:                             ;   in Loop: Header=BB444_6 Depth=1
	s_wait_xcnt 0x0
	s_or_b32 exec_lo, exec_lo, s14
	v_lshl_add_u64 v[20:21], v[10:11], 2, v[20:21]
	s_and_saveexec_b32 s14, s28
	s_cbranch_execz .LBB444_27
; %bb.24:                               ;   in Loop: Header=BB444_6 Depth=1
	v_mul_f32_e32 v16, s34, v18
	s_delay_alu instid0(VALU_DEP_2)
	v_lshl_add_u64 v[22:23], v[12:13], 2, v[20:21]
	s_and_not1_b32 vcc_lo, exec_lo, s20
	s_cbranch_vccnz .LBB444_32
; %bb.25:                               ;   in Loop: Header=BB444_6 Depth=1
	flat_load_b32 v18, v[22:23]
	s_wait_loadcnt_dscnt 0x0
	v_fma_f32 v18, s33, v18, v16
	flat_store_b32 v[22:23], v18
	s_cbranch_execnz .LBB444_27
.LBB444_26:                             ;   in Loop: Header=BB444_6 Depth=1
	flat_store_b32 v[22:23], v16
.LBB444_27:                             ;   in Loop: Header=BB444_6 Depth=1
	s_wait_xcnt 0x0
	s_or_b32 exec_lo, exec_lo, s14
	s_and_saveexec_b32 s14, s29
	s_cbranch_execz .LBB444_5
; %bb.28:                               ;   in Loop: Header=BB444_6 Depth=1
	v_mul_f32_e32 v16, s34, v19
	v_lshl_add_u64 v[18:19], v[14:15], 2, v[20:21]
	s_and_not1_b32 vcc_lo, exec_lo, s20
	s_cbranch_vccnz .LBB444_33
; %bb.29:                               ;   in Loop: Header=BB444_6 Depth=1
	flat_load_b32 v20, v[18:19]
	s_wait_loadcnt_dscnt 0x0
	v_fma_f32 v20, s33, v20, v16
	flat_store_b32 v[18:19], v20
	s_cbranch_execnz .LBB444_5
	s_branch .LBB444_34
.LBB444_30:                             ;   in Loop: Header=BB444_6 Depth=1
	s_branch .LBB444_18
.LBB444_31:                             ;   in Loop: Header=BB444_6 Depth=1
	s_branch .LBB444_22
.LBB444_32:                             ;   in Loop: Header=BB444_6 Depth=1
	s_branch .LBB444_26
.LBB444_33:                             ;   in Loop: Header=BB444_6 Depth=1
.LBB444_34:                             ;   in Loop: Header=BB444_6 Depth=1
	flat_store_b32 v[18:19], v16
	s_branch .LBB444_5
.LBB444_35:
	s_endpgm
	.section	.rodata,"a",@progbits
	.p2align	6, 0x0
	.amdhsa_kernel _ZL29rocblas_internal_gemmt_kernelIlLi16ELi32ELi8ELc84ELc78ELc76ELb0ELb0EfPKfPKS1_PKPfEviT_T9_T10_S7_lS9_S7_lS8_T11_S7_li
		.amdhsa_group_segment_fixed_size 2048
		.amdhsa_private_segment_fixed_size 0
		.amdhsa_kernarg_size 108
		.amdhsa_user_sgpr_count 2
		.amdhsa_user_sgpr_dispatch_ptr 0
		.amdhsa_user_sgpr_queue_ptr 0
		.amdhsa_user_sgpr_kernarg_segment_ptr 1
		.amdhsa_user_sgpr_dispatch_id 0
		.amdhsa_user_sgpr_kernarg_preload_length 0
		.amdhsa_user_sgpr_kernarg_preload_offset 0
		.amdhsa_user_sgpr_private_segment_size 0
		.amdhsa_wavefront_size32 1
		.amdhsa_uses_dynamic_stack 0
		.amdhsa_enable_private_segment 0
		.amdhsa_system_sgpr_workgroup_id_x 1
		.amdhsa_system_sgpr_workgroup_id_y 1
		.amdhsa_system_sgpr_workgroup_id_z 1
		.amdhsa_system_sgpr_workgroup_info 0
		.amdhsa_system_vgpr_workitem_id 1
		.amdhsa_next_free_vgpr 56
		.amdhsa_next_free_sgpr 36
		.amdhsa_named_barrier_count 0
		.amdhsa_reserve_vcc 1
		.amdhsa_float_round_mode_32 0
		.amdhsa_float_round_mode_16_64 0
		.amdhsa_float_denorm_mode_32 3
		.amdhsa_float_denorm_mode_16_64 3
		.amdhsa_fp16_overflow 0
		.amdhsa_memory_ordered 1
		.amdhsa_forward_progress 1
		.amdhsa_inst_pref_size 13
		.amdhsa_round_robin_scheduling 0
		.amdhsa_exception_fp_ieee_invalid_op 0
		.amdhsa_exception_fp_denorm_src 0
		.amdhsa_exception_fp_ieee_div_zero 0
		.amdhsa_exception_fp_ieee_overflow 0
		.amdhsa_exception_fp_ieee_underflow 0
		.amdhsa_exception_fp_ieee_inexact 0
		.amdhsa_exception_int_div_zero 0
	.end_amdhsa_kernel
	.section	.text._ZL29rocblas_internal_gemmt_kernelIlLi16ELi32ELi8ELc84ELc78ELc76ELb0ELb0EfPKfPKS1_PKPfEviT_T9_T10_S7_lS9_S7_lS8_T11_S7_li,"axG",@progbits,_ZL29rocblas_internal_gemmt_kernelIlLi16ELi32ELi8ELc84ELc78ELc76ELb0ELb0EfPKfPKS1_PKPfEviT_T9_T10_S7_lS9_S7_lS8_T11_S7_li,comdat
.Lfunc_end444:
	.size	_ZL29rocblas_internal_gemmt_kernelIlLi16ELi32ELi8ELc84ELc78ELc76ELb0ELb0EfPKfPKS1_PKPfEviT_T9_T10_S7_lS9_S7_lS8_T11_S7_li, .Lfunc_end444-_ZL29rocblas_internal_gemmt_kernelIlLi16ELi32ELi8ELc84ELc78ELc76ELb0ELb0EfPKfPKS1_PKPfEviT_T9_T10_S7_lS9_S7_lS8_T11_S7_li
                                        ; -- End function
	.set _ZL29rocblas_internal_gemmt_kernelIlLi16ELi32ELi8ELc84ELc78ELc76ELb0ELb0EfPKfPKS1_PKPfEviT_T9_T10_S7_lS9_S7_lS8_T11_S7_li.num_vgpr, 56
	.set _ZL29rocblas_internal_gemmt_kernelIlLi16ELi32ELi8ELc84ELc78ELc76ELb0ELb0EfPKfPKS1_PKPfEviT_T9_T10_S7_lS9_S7_lS8_T11_S7_li.num_agpr, 0
	.set _ZL29rocblas_internal_gemmt_kernelIlLi16ELi32ELi8ELc84ELc78ELc76ELb0ELb0EfPKfPKS1_PKPfEviT_T9_T10_S7_lS9_S7_lS8_T11_S7_li.numbered_sgpr, 36
	.set _ZL29rocblas_internal_gemmt_kernelIlLi16ELi32ELi8ELc84ELc78ELc76ELb0ELb0EfPKfPKS1_PKPfEviT_T9_T10_S7_lS9_S7_lS8_T11_S7_li.num_named_barrier, 0
	.set _ZL29rocblas_internal_gemmt_kernelIlLi16ELi32ELi8ELc84ELc78ELc76ELb0ELb0EfPKfPKS1_PKPfEviT_T9_T10_S7_lS9_S7_lS8_T11_S7_li.private_seg_size, 0
	.set _ZL29rocblas_internal_gemmt_kernelIlLi16ELi32ELi8ELc84ELc78ELc76ELb0ELb0EfPKfPKS1_PKPfEviT_T9_T10_S7_lS9_S7_lS8_T11_S7_li.uses_vcc, 1
	.set _ZL29rocblas_internal_gemmt_kernelIlLi16ELi32ELi8ELc84ELc78ELc76ELb0ELb0EfPKfPKS1_PKPfEviT_T9_T10_S7_lS9_S7_lS8_T11_S7_li.uses_flat_scratch, 0
	.set _ZL29rocblas_internal_gemmt_kernelIlLi16ELi32ELi8ELc84ELc78ELc76ELb0ELb0EfPKfPKS1_PKPfEviT_T9_T10_S7_lS9_S7_lS8_T11_S7_li.has_dyn_sized_stack, 0
	.set _ZL29rocblas_internal_gemmt_kernelIlLi16ELi32ELi8ELc84ELc78ELc76ELb0ELb0EfPKfPKS1_PKPfEviT_T9_T10_S7_lS9_S7_lS8_T11_S7_li.has_recursion, 0
	.set _ZL29rocblas_internal_gemmt_kernelIlLi16ELi32ELi8ELc84ELc78ELc76ELb0ELb0EfPKfPKS1_PKPfEviT_T9_T10_S7_lS9_S7_lS8_T11_S7_li.has_indirect_call, 0
	.section	.AMDGPU.csdata,"",@progbits
; Kernel info:
; codeLenInByte = 1648
; TotalNumSgprs: 38
; NumVgprs: 56
; ScratchSize: 0
; MemoryBound: 0
; FloatMode: 240
; IeeeMode: 1
; LDSByteSize: 2048 bytes/workgroup (compile time only)
; SGPRBlocks: 0
; VGPRBlocks: 3
; NumSGPRsForWavesPerEU: 38
; NumVGPRsForWavesPerEU: 56
; NamedBarCnt: 0
; Occupancy: 16
; WaveLimiterHint : 1
; COMPUTE_PGM_RSRC2:SCRATCH_EN: 0
; COMPUTE_PGM_RSRC2:USER_SGPR: 2
; COMPUTE_PGM_RSRC2:TRAP_HANDLER: 0
; COMPUTE_PGM_RSRC2:TGID_X_EN: 1
; COMPUTE_PGM_RSRC2:TGID_Y_EN: 1
; COMPUTE_PGM_RSRC2:TGID_Z_EN: 1
; COMPUTE_PGM_RSRC2:TIDIG_COMP_CNT: 1
	.section	.text._ZL29rocblas_internal_gemmt_kernelIlLi16ELi32ELi8ELc84ELc84ELc76ELb0ELb0EfPKfPKS1_PKPfEviT_T9_T10_S7_lS9_S7_lS8_T11_S7_li,"axG",@progbits,_ZL29rocblas_internal_gemmt_kernelIlLi16ELi32ELi8ELc84ELc84ELc76ELb0ELb0EfPKfPKS1_PKPfEviT_T9_T10_S7_lS9_S7_lS8_T11_S7_li,comdat
	.globl	_ZL29rocblas_internal_gemmt_kernelIlLi16ELi32ELi8ELc84ELc84ELc76ELb0ELb0EfPKfPKS1_PKPfEviT_T9_T10_S7_lS9_S7_lS8_T11_S7_li ; -- Begin function _ZL29rocblas_internal_gemmt_kernelIlLi16ELi32ELi8ELc84ELc84ELc76ELb0ELb0EfPKfPKS1_PKPfEviT_T9_T10_S7_lS9_S7_lS8_T11_S7_li
	.p2align	8
	.type	_ZL29rocblas_internal_gemmt_kernelIlLi16ELi32ELi8ELc84ELc84ELc76ELb0ELb0EfPKfPKS1_PKPfEviT_T9_T10_S7_lS9_S7_lS8_T11_S7_li,@function
_ZL29rocblas_internal_gemmt_kernelIlLi16ELi32ELi8ELc84ELc84ELc76ELb0ELb0EfPKfPKS1_PKPfEviT_T9_T10_S7_lS9_S7_lS8_T11_S7_li: ; @_ZL29rocblas_internal_gemmt_kernelIlLi16ELi32ELi8ELc84ELc84ELc76ELb0ELb0EfPKfPKS1_PKPfEviT_T9_T10_S7_lS9_S7_lS8_T11_S7_li
; %bb.0:
	s_clause 0x1
	s_load_b256 s[24:31], s[0:1], 0x48
	s_load_b512 s[8:23], s[0:1], 0x8
	s_wait_kmcnt 0x0
	s_load_b32 s33, s[24:25], 0x0
	s_load_b32 s34, s[10:11], 0x0
	s_wait_kmcnt 0x0
	s_cmp_neq_f32 s33, 1.0
	s_cselect_b32 s2, -1, 0
	s_delay_alu instid0(SALU_CYCLE_1)
	s_and_b32 vcc_lo, exec_lo, s2
	s_cbranch_vccnz .LBB445_2
; %bb.1:
	s_cmp_lg_u64 s[8:9], 0
	s_cselect_b32 s2, -1, 0
	s_cmp_neq_f32 s34, 0
	s_cselect_b32 s3, -1, 0
	s_delay_alu instid0(SALU_CYCLE_1)
	s_and_b32 s2, s2, s3
.LBB445_2:
	s_delay_alu instid0(SALU_CYCLE_1)
	s_and_not1_b32 vcc_lo, exec_lo, s2
	s_cbranch_vccnz .LBB445_35
; %bb.3:
	s_load_b32 s24, s[0:1], 0x68
	s_bfe_u32 s2, ttmp6, 0x40014
	s_lshr_b32 s3, ttmp7, 16
	s_add_co_i32 s2, s2, 1
	s_bfe_u32 s5, ttmp6, 0x40008
	s_mul_i32 s4, s3, s2
	s_getreg_b32 s2, hwreg(HW_REG_IB_STS2, 6, 4)
	s_add_co_i32 s5, s5, s4
	s_cmp_eq_u32 s2, 0
	s_mov_b32 s7, 0
	s_cselect_b32 s6, s3, s5
	s_wait_kmcnt 0x0
	s_cmp_ge_u32 s6, s24
	s_cbranch_scc1 .LBB445_35
; %bb.4:
	s_load_b32 s4, s[0:1], 0x0
	s_wait_xcnt 0x0
	s_bfe_u32 s1, ttmp6, 0x4000c
	s_bfe_u32 s5, ttmp6, 0x40010
	s_and_b32 s3, ttmp7, 0xffff
	s_add_co_i32 s1, s1, 1
	s_add_co_i32 s5, s5, 1
	v_and_b32_e32 v14, 0x3ff, v0
	v_bfe_u32 v15, v0, 10, 10
	s_and_b32 s0, ttmp6, 15
	s_mul_i32 s1, ttmp9, s1
	s_mul_i32 s5, s3, s5
	s_bfe_u32 s10, ttmp6, 0x40004
	s_add_co_i32 s0, s0, s1
	s_add_co_i32 s10, s10, s5
	s_cmp_eq_u32 s2, 0
	v_lshl_add_u32 v1, v15, 4, v14
	s_cselect_b32 s1, s3, s10
	s_cselect_b32 s0, ttmp9, s0
	s_lshl_b32 s1, s1, 5
	s_delay_alu instid0(VALU_DEP_1) | instskip(SKIP_3) | instid1(VALU_DEP_3)
	v_dual_lshrrev_b32 v2, 5, v1 :: v_dual_bitop2_b32 v0, 7, v0 bitop3:0x40
	v_dual_lshrrev_b32 v1, 3, v1 :: v_dual_bitop2_b32 v3, 31, v1 bitop3:0x40
	v_add_nc_u32_e32 v16, s1, v15
	s_lshl_b32 s2, s0, 5
	v_lshlrev_b32_e32 v5, 2, v0
	s_cmp_neq_f32 s34, 0
	v_dual_add_nc_u32 v4, s1, v1 :: v_dual_bitop2_b32 v12, s2, v3 bitop3:0x54
	v_dual_add_nc_u32 v18, 16, v16 :: v_dual_ashrrev_i32 v17, 31, v16
	v_dual_lshlrev_b32 v3, 2, v3 :: v_dual_lshlrev_b32 v28, 2, v14
	s_delay_alu instid0(VALU_DEP_2) | instskip(NEXT) | instid1(VALU_DEP_3)
	v_dual_ashrrev_i32 v13, 31, v12 :: v_dual_ashrrev_i32 v19, 31, v18
	v_mul_u64_e32 v[8:9], s[28:29], v[16:17]
	s_wait_kmcnt 0x0
	v_cmp_gt_i32_e64 s0, s4, v12
	s_cselect_b32 s10, -1, 0
	v_mul_u64_e32 v[6:7], s[14:15], v[12:13]
	v_mul_u64_e32 v[10:11], s[28:29], v[18:19]
	v_add_nc_u32_e32 v12, s2, v14
	v_lshl_or_b32 v5, v1, 5, v5
	v_lshl_or_b32 v1, v2, 7, v3
	s_cmp_neq_f32 s33, 0
	v_cmp_gt_i64_e64 s11, s[8:9], 0
	v_dual_add_nc_u32 v14, 16, v12 :: v_dual_ashrrev_i32 v13, 31, v12
	v_add_nc_u32_e32 v3, 0x400, v5
	v_ashrrev_i32_e32 v5, 31, v4
	v_cmp_le_i32_e32 vcc_lo, v16, v12
	v_cmp_gt_i32_e64 s2, s4, v12
	v_cmp_gt_i32_e64 s1, s4, v4
	s_cselect_b32 s25, -1, 0
	v_cmp_le_i32_e64 s3, v16, v14
	v_cmp_gt_i32_e64 s4, s4, v14
	s_and_b32 s28, vcc_lo, s2
	v_cmp_le_i32_e32 vcc_lo, v18, v12
	v_cmp_le_i32_e64 s5, v18, v14
	v_lshl_add_u32 v29, v15, 5, 0x400
	v_dual_ashrrev_i32 v15, 31, v14 :: v_dual_mov_b32 v17, 0
	s_and_b32 s29, s3, s4
	s_and_b32 s35, vcc_lo, s2
	s_and_b32 s36, s5, s4
	s_and_b32 s37, s10, s11
	s_lshl_b64 s[2:3], s[22:23], 2
	s_lshl_b64 s[4:5], s[16:17], 2
	s_lshl_b64 s[10:11], s[30:31], 2
	s_branch .LBB445_6
.LBB445_5:                              ;   in Loop: Header=BB445_6 Depth=1
	s_wait_xcnt 0x0
	s_or_b32 exec_lo, exec_lo, s14
	s_add_co_i32 s6, s6, 0x10000
	s_delay_alu instid0(SALU_CYCLE_1)
	s_cmp_lt_u32 s6, s24
	s_cbranch_scc0 .LBB445_35
.LBB445_6:                              ; =>This Loop Header: Depth=1
                                        ;     Child Loop BB445_9 Depth 2
	v_dual_mov_b32 v16, s6 :: v_dual_mov_b32 v23, v17
	v_dual_mov_b32 v22, v17 :: v_dual_mov_b32 v19, v17
	v_mov_b32_e32 v18, v17
	global_load_b64 v[20:21], v16, s[26:27] scale_offset
	s_and_not1_b32 vcc_lo, exec_lo, s37
	s_cbranch_vccnz .LBB445_15
; %bb.7:                                ;   in Loop: Header=BB445_6 Depth=1
	s_lshl_b64 s[14:15], s[6:7], 3
	v_mov_b32_e32 v18, 0
	s_add_nc_u64 s[16:17], s[12:13], s[14:15]
	s_add_nc_u64 s[14:15], s[18:19], s[14:15]
	s_clause 0x1
	global_load_b64 v[22:23], v17, s[16:17]
	global_load_b64 v[24:25], v17, s[14:15]
	s_wait_xcnt 0x0
	s_mov_b64 s[14:15], 0
	v_mov_b32_e32 v19, v18
	s_wait_loadcnt 0x1
	v_add_nc_u64_e32 v[26:27], s[4:5], v[22:23]
	s_wait_loadcnt 0x0
	v_add_nc_u64_e32 v[30:31], s[2:3], v[24:25]
	v_dual_mov_b32 v22, v18 :: v_dual_mov_b32 v23, v18
	s_delay_alu instid0(VALU_DEP_3) | instskip(NEXT) | instid1(VALU_DEP_3)
	v_lshl_add_u64 v[24:25], v[6:7], 2, v[26:27]
	v_lshl_add_u64 v[26:27], v[4:5], 2, v[30:31]
	s_branch .LBB445_9
.LBB445_8:                              ;   in Loop: Header=BB445_9 Depth=2
	s_wait_xcnt 0x0
	s_or_b32 exec_lo, exec_lo, s16
	s_wait_loadcnt_dscnt 0x0
	ds_store_b32 v3, v31
	s_wait_dscnt 0x0
	s_barrier_signal -1
	s_barrier_wait -1
	ds_load_b128 v[30:33], v29
	ds_load_2addr_b32 v[46:47], v28 offset1:16
	ds_load_b128 v[34:37], v29 offset:512
	ds_load_2addr_b32 v[48:49], v28 offset0:32 offset1:48
	ds_load_2addr_b32 v[50:51], v28 offset0:64 offset1:80
	;; [unrolled: 1-line block ×3, first 2 shown]
	ds_load_b128 v[38:41], v29 offset:16
	ds_load_2addr_b32 v[54:55], v28 offset0:128 offset1:144
	ds_load_b128 v[42:45], v29 offset:528
	s_add_nc_u64 s[14:15], s[14:15], 8
	s_delay_alu instid0(SALU_CYCLE_1)
	v_cmp_gt_i64_e64 s16, s[8:9], s[14:15]
	s_and_b32 vcc_lo, exec_lo, s16
	s_wait_dscnt 0x8
	v_mov_b32_e32 v16, v33
	s_wait_dscnt 0x7
	v_pk_fma_f32 v[22:23], v[46:47], v[30:31], v[22:23] op_sel_hi:[1,0,1]
	s_wait_dscnt 0x6
	v_pk_fma_f32 v[18:19], v[46:47], v[34:35], v[18:19] op_sel_hi:[1,0,1]
	ds_load_2addr_b32 v[46:47], v28 offset0:160 offset1:176
	s_wait_dscnt 0x6
	v_pk_fma_f32 v[22:23], v[48:49], v[30:31], v[22:23] op_sel:[0,1,0]
	v_pk_fma_f32 v[18:19], v[48:49], v[34:35], v[18:19] op_sel:[0,1,0]
	ds_load_2addr_b32 v[30:31], v28 offset0:192 offset1:208
	v_mov_b32_e32 v34, v37
	s_wait_dscnt 0x6
	v_pk_fma_f32 v[22:23], v[50:51], v[32:33], v[22:23] op_sel_hi:[1,0,1]
	v_pk_fma_f32 v[18:19], v[50:51], v[36:37], v[18:19] op_sel_hi:[1,0,1]
	ds_load_2addr_b32 v[32:33], v28 offset0:224 offset1:240
	s_wait_dscnt 0x0
	s_barrier_signal -1
	v_pk_fma_f32 v[22:23], v[52:53], v[16:17], v[22:23] op_sel_hi:[1,0,1]
	v_pk_fma_f32 v[18:19], v[52:53], v[34:35], v[18:19] op_sel_hi:[1,0,1]
	v_dual_mov_b32 v16, v41 :: v_dual_mov_b32 v34, v45
	s_barrier_wait -1
	s_delay_alu instid0(VALU_DEP_3) | instskip(NEXT) | instid1(VALU_DEP_3)
	v_pk_fma_f32 v[22:23], v[54:55], v[38:39], v[22:23] op_sel_hi:[1,0,1]
	v_pk_fma_f32 v[18:19], v[54:55], v[42:43], v[18:19] op_sel_hi:[1,0,1]
	s_delay_alu instid0(VALU_DEP_2) | instskip(NEXT) | instid1(VALU_DEP_2)
	v_pk_fma_f32 v[22:23], v[46:47], v[38:39], v[22:23] op_sel:[0,1,0]
	v_pk_fma_f32 v[18:19], v[46:47], v[42:43], v[18:19] op_sel:[0,1,0]
	s_delay_alu instid0(VALU_DEP_2) | instskip(NEXT) | instid1(VALU_DEP_2)
	v_pk_fma_f32 v[22:23], v[30:31], v[40:41], v[22:23] op_sel_hi:[1,0,1]
	v_pk_fma_f32 v[18:19], v[30:31], v[44:45], v[18:19] op_sel_hi:[1,0,1]
	s_delay_alu instid0(VALU_DEP_2) | instskip(NEXT) | instid1(VALU_DEP_2)
	v_pk_fma_f32 v[22:23], v[32:33], v[16:17], v[22:23] op_sel_hi:[1,0,1]
	v_pk_fma_f32 v[18:19], v[32:33], v[34:35], v[18:19] op_sel_hi:[1,0,1]
	s_cbranch_vccz .LBB445_15
.LBB445_9:                              ;   Parent Loop BB445_6 Depth=1
                                        ; =>  This Inner Loop Header: Depth=2
	v_mov_b32_e32 v30, 0
	s_and_saveexec_b32 s16, s0
	s_cbranch_execz .LBB445_13
; %bb.10:                               ;   in Loop: Header=BB445_9 Depth=2
	v_dual_add_nc_u32 v16, s14, v2 :: v_dual_mov_b32 v30, 0
	s_mov_b32 s17, exec_lo
	s_delay_alu instid0(VALU_DEP_1)
	v_cmpx_gt_u64_e64 s[8:9], v[16:17]
	s_cbranch_execz .LBB445_12
; %bb.11:                               ;   in Loop: Header=BB445_9 Depth=2
	v_lshl_add_u64 v[30:31], v[16:17], 2, v[24:25]
	flat_load_b32 v30, v[30:31]
.LBB445_12:                             ;   in Loop: Header=BB445_9 Depth=2
	s_wait_xcnt 0x0
	s_or_b32 exec_lo, exec_lo, s17
.LBB445_13:                             ;   in Loop: Header=BB445_9 Depth=2
	s_delay_alu instid0(SALU_CYCLE_1)
	s_or_b32 exec_lo, exec_lo, s16
	v_dual_mov_b32 v31, 0 :: v_dual_add_nc_u32 v16, s14, v0
	s_wait_loadcnt_dscnt 0x0
	ds_store_b32 v1, v30
	v_cmp_gt_u64_e32 vcc_lo, s[8:9], v[16:17]
	s_and_b32 s17, vcc_lo, s1
	s_delay_alu instid0(SALU_CYCLE_1)
	s_and_saveexec_b32 s16, s17
	s_cbranch_execz .LBB445_8
; %bb.14:                               ;   in Loop: Header=BB445_9 Depth=2
	v_mul_u64_e32 v[30:31], s[20:21], v[16:17]
	s_delay_alu instid0(VALU_DEP_1)
	v_lshl_add_u64 v[30:31], v[30:31], 2, v[26:27]
	flat_load_b32 v31, v[30:31]
	s_branch .LBB445_8
.LBB445_15:                             ;   in Loop: Header=BB445_6 Depth=1
	s_wait_loadcnt 0x0
	v_add_nc_u64_e32 v[20:21], s[10:11], v[20:21]
	s_delay_alu instid0(VALU_DEP_1)
	v_lshl_add_u64 v[24:25], v[8:9], 2, v[20:21]
	s_wait_xcnt 0x0
	s_and_saveexec_b32 s14, s28
	s_cbranch_execz .LBB445_19
; %bb.16:                               ;   in Loop: Header=BB445_6 Depth=1
	v_mul_f32_e32 v16, s34, v22
	v_lshl_add_u64 v[26:27], v[12:13], 2, v[24:25]
	s_and_b32 vcc_lo, exec_lo, s25
	s_cbranch_vccz .LBB445_30
; %bb.17:                               ;   in Loop: Header=BB445_6 Depth=1
	flat_load_b32 v22, v[26:27]
	s_wait_loadcnt_dscnt 0x0
	v_fma_f32 v22, s33, v22, v16
	flat_store_b32 v[26:27], v22
	s_cbranch_execnz .LBB445_19
.LBB445_18:                             ;   in Loop: Header=BB445_6 Depth=1
	flat_store_b32 v[26:27], v16
.LBB445_19:                             ;   in Loop: Header=BB445_6 Depth=1
	s_wait_xcnt 0x0
	s_or_b32 exec_lo, exec_lo, s14
	s_and_saveexec_b32 s14, s29
	s_cbranch_execz .LBB445_23
; %bb.20:                               ;   in Loop: Header=BB445_6 Depth=1
	v_mul_f32_e32 v16, s34, v23
	v_lshl_add_u64 v[22:23], v[14:15], 2, v[24:25]
	s_and_not1_b32 vcc_lo, exec_lo, s25
	s_cbranch_vccnz .LBB445_31
; %bb.21:                               ;   in Loop: Header=BB445_6 Depth=1
	flat_load_b32 v24, v[22:23]
	s_wait_loadcnt_dscnt 0x0
	v_fma_f32 v24, s33, v24, v16
	flat_store_b32 v[22:23], v24
	s_cbranch_execnz .LBB445_23
.LBB445_22:                             ;   in Loop: Header=BB445_6 Depth=1
	flat_store_b32 v[22:23], v16
.LBB445_23:                             ;   in Loop: Header=BB445_6 Depth=1
	s_wait_xcnt 0x0
	s_or_b32 exec_lo, exec_lo, s14
	v_lshl_add_u64 v[20:21], v[10:11], 2, v[20:21]
	s_and_saveexec_b32 s14, s35
	s_cbranch_execz .LBB445_27
; %bb.24:                               ;   in Loop: Header=BB445_6 Depth=1
	v_mul_f32_e32 v16, s34, v18
	s_delay_alu instid0(VALU_DEP_2)
	v_lshl_add_u64 v[22:23], v[12:13], 2, v[20:21]
	s_and_not1_b32 vcc_lo, exec_lo, s25
	s_cbranch_vccnz .LBB445_32
; %bb.25:                               ;   in Loop: Header=BB445_6 Depth=1
	flat_load_b32 v18, v[22:23]
	s_wait_loadcnt_dscnt 0x0
	v_fma_f32 v18, s33, v18, v16
	flat_store_b32 v[22:23], v18
	s_cbranch_execnz .LBB445_27
.LBB445_26:                             ;   in Loop: Header=BB445_6 Depth=1
	flat_store_b32 v[22:23], v16
.LBB445_27:                             ;   in Loop: Header=BB445_6 Depth=1
	s_wait_xcnt 0x0
	s_or_b32 exec_lo, exec_lo, s14
	s_and_saveexec_b32 s14, s36
	s_cbranch_execz .LBB445_5
; %bb.28:                               ;   in Loop: Header=BB445_6 Depth=1
	v_mul_f32_e32 v16, s34, v19
	v_lshl_add_u64 v[18:19], v[14:15], 2, v[20:21]
	s_and_not1_b32 vcc_lo, exec_lo, s25
	s_cbranch_vccnz .LBB445_33
; %bb.29:                               ;   in Loop: Header=BB445_6 Depth=1
	flat_load_b32 v20, v[18:19]
	s_wait_loadcnt_dscnt 0x0
	v_fma_f32 v20, s33, v20, v16
	flat_store_b32 v[18:19], v20
	s_cbranch_execnz .LBB445_5
	s_branch .LBB445_34
.LBB445_30:                             ;   in Loop: Header=BB445_6 Depth=1
	s_branch .LBB445_18
.LBB445_31:                             ;   in Loop: Header=BB445_6 Depth=1
	s_branch .LBB445_22
.LBB445_32:                             ;   in Loop: Header=BB445_6 Depth=1
	s_branch .LBB445_26
.LBB445_33:                             ;   in Loop: Header=BB445_6 Depth=1
.LBB445_34:                             ;   in Loop: Header=BB445_6 Depth=1
	flat_store_b32 v[18:19], v16
	s_branch .LBB445_5
.LBB445_35:
	s_endpgm
	.section	.rodata,"a",@progbits
	.p2align	6, 0x0
	.amdhsa_kernel _ZL29rocblas_internal_gemmt_kernelIlLi16ELi32ELi8ELc84ELc84ELc76ELb0ELb0EfPKfPKS1_PKPfEviT_T9_T10_S7_lS9_S7_lS8_T11_S7_li
		.amdhsa_group_segment_fixed_size 2048
		.amdhsa_private_segment_fixed_size 0
		.amdhsa_kernarg_size 108
		.amdhsa_user_sgpr_count 2
		.amdhsa_user_sgpr_dispatch_ptr 0
		.amdhsa_user_sgpr_queue_ptr 0
		.amdhsa_user_sgpr_kernarg_segment_ptr 1
		.amdhsa_user_sgpr_dispatch_id 0
		.amdhsa_user_sgpr_kernarg_preload_length 0
		.amdhsa_user_sgpr_kernarg_preload_offset 0
		.amdhsa_user_sgpr_private_segment_size 0
		.amdhsa_wavefront_size32 1
		.amdhsa_uses_dynamic_stack 0
		.amdhsa_enable_private_segment 0
		.amdhsa_system_sgpr_workgroup_id_x 1
		.amdhsa_system_sgpr_workgroup_id_y 1
		.amdhsa_system_sgpr_workgroup_id_z 1
		.amdhsa_system_sgpr_workgroup_info 0
		.amdhsa_system_vgpr_workitem_id 1
		.amdhsa_next_free_vgpr 56
		.amdhsa_next_free_sgpr 38
		.amdhsa_named_barrier_count 0
		.amdhsa_reserve_vcc 1
		.amdhsa_float_round_mode_32 0
		.amdhsa_float_round_mode_16_64 0
		.amdhsa_float_denorm_mode_32 3
		.amdhsa_float_denorm_mode_16_64 3
		.amdhsa_fp16_overflow 0
		.amdhsa_memory_ordered 1
		.amdhsa_forward_progress 1
		.amdhsa_inst_pref_size 13
		.amdhsa_round_robin_scheduling 0
		.amdhsa_exception_fp_ieee_invalid_op 0
		.amdhsa_exception_fp_denorm_src 0
		.amdhsa_exception_fp_ieee_div_zero 0
		.amdhsa_exception_fp_ieee_overflow 0
		.amdhsa_exception_fp_ieee_underflow 0
		.amdhsa_exception_fp_ieee_inexact 0
		.amdhsa_exception_int_div_zero 0
	.end_amdhsa_kernel
	.section	.text._ZL29rocblas_internal_gemmt_kernelIlLi16ELi32ELi8ELc84ELc84ELc76ELb0ELb0EfPKfPKS1_PKPfEviT_T9_T10_S7_lS9_S7_lS8_T11_S7_li,"axG",@progbits,_ZL29rocblas_internal_gemmt_kernelIlLi16ELi32ELi8ELc84ELc84ELc76ELb0ELb0EfPKfPKS1_PKPfEviT_T9_T10_S7_lS9_S7_lS8_T11_S7_li,comdat
.Lfunc_end445:
	.size	_ZL29rocblas_internal_gemmt_kernelIlLi16ELi32ELi8ELc84ELc84ELc76ELb0ELb0EfPKfPKS1_PKPfEviT_T9_T10_S7_lS9_S7_lS8_T11_S7_li, .Lfunc_end445-_ZL29rocblas_internal_gemmt_kernelIlLi16ELi32ELi8ELc84ELc84ELc76ELb0ELb0EfPKfPKS1_PKPfEviT_T9_T10_S7_lS9_S7_lS8_T11_S7_li
                                        ; -- End function
	.set _ZL29rocblas_internal_gemmt_kernelIlLi16ELi32ELi8ELc84ELc84ELc76ELb0ELb0EfPKfPKS1_PKPfEviT_T9_T10_S7_lS9_S7_lS8_T11_S7_li.num_vgpr, 56
	.set _ZL29rocblas_internal_gemmt_kernelIlLi16ELi32ELi8ELc84ELc84ELc76ELb0ELb0EfPKfPKS1_PKPfEviT_T9_T10_S7_lS9_S7_lS8_T11_S7_li.num_agpr, 0
	.set _ZL29rocblas_internal_gemmt_kernelIlLi16ELi32ELi8ELc84ELc84ELc76ELb0ELb0EfPKfPKS1_PKPfEviT_T9_T10_S7_lS9_S7_lS8_T11_S7_li.numbered_sgpr, 38
	.set _ZL29rocblas_internal_gemmt_kernelIlLi16ELi32ELi8ELc84ELc84ELc76ELb0ELb0EfPKfPKS1_PKPfEviT_T9_T10_S7_lS9_S7_lS8_T11_S7_li.num_named_barrier, 0
	.set _ZL29rocblas_internal_gemmt_kernelIlLi16ELi32ELi8ELc84ELc84ELc76ELb0ELb0EfPKfPKS1_PKPfEviT_T9_T10_S7_lS9_S7_lS8_T11_S7_li.private_seg_size, 0
	.set _ZL29rocblas_internal_gemmt_kernelIlLi16ELi32ELi8ELc84ELc84ELc76ELb0ELb0EfPKfPKS1_PKPfEviT_T9_T10_S7_lS9_S7_lS8_T11_S7_li.uses_vcc, 1
	.set _ZL29rocblas_internal_gemmt_kernelIlLi16ELi32ELi8ELc84ELc84ELc76ELb0ELb0EfPKfPKS1_PKPfEviT_T9_T10_S7_lS9_S7_lS8_T11_S7_li.uses_flat_scratch, 0
	.set _ZL29rocblas_internal_gemmt_kernelIlLi16ELi32ELi8ELc84ELc84ELc76ELb0ELb0EfPKfPKS1_PKPfEviT_T9_T10_S7_lS9_S7_lS8_T11_S7_li.has_dyn_sized_stack, 0
	.set _ZL29rocblas_internal_gemmt_kernelIlLi16ELi32ELi8ELc84ELc84ELc76ELb0ELb0EfPKfPKS1_PKPfEviT_T9_T10_S7_lS9_S7_lS8_T11_S7_li.has_recursion, 0
	.set _ZL29rocblas_internal_gemmt_kernelIlLi16ELi32ELi8ELc84ELc84ELc76ELb0ELb0EfPKfPKS1_PKPfEviT_T9_T10_S7_lS9_S7_lS8_T11_S7_li.has_indirect_call, 0
	.section	.AMDGPU.csdata,"",@progbits
; Kernel info:
; codeLenInByte = 1648
; TotalNumSgprs: 40
; NumVgprs: 56
; ScratchSize: 0
; MemoryBound: 0
; FloatMode: 240
; IeeeMode: 1
; LDSByteSize: 2048 bytes/workgroup (compile time only)
; SGPRBlocks: 0
; VGPRBlocks: 3
; NumSGPRsForWavesPerEU: 40
; NumVGPRsForWavesPerEU: 56
; NamedBarCnt: 0
; Occupancy: 16
; WaveLimiterHint : 1
; COMPUTE_PGM_RSRC2:SCRATCH_EN: 0
; COMPUTE_PGM_RSRC2:USER_SGPR: 2
; COMPUTE_PGM_RSRC2:TRAP_HANDLER: 0
; COMPUTE_PGM_RSRC2:TGID_X_EN: 1
; COMPUTE_PGM_RSRC2:TGID_Y_EN: 1
; COMPUTE_PGM_RSRC2:TGID_Z_EN: 1
; COMPUTE_PGM_RSRC2:TIDIG_COMP_CNT: 1
	.section	.text._ZL29rocblas_internal_gemmt_kernelIlLi16ELi32ELi8ELc84ELc67ELc76ELb0ELb0EfPKfPKS1_PKPfEviT_T9_T10_S7_lS9_S7_lS8_T11_S7_li,"axG",@progbits,_ZL29rocblas_internal_gemmt_kernelIlLi16ELi32ELi8ELc84ELc67ELc76ELb0ELb0EfPKfPKS1_PKPfEviT_T9_T10_S7_lS9_S7_lS8_T11_S7_li,comdat
	.globl	_ZL29rocblas_internal_gemmt_kernelIlLi16ELi32ELi8ELc84ELc67ELc76ELb0ELb0EfPKfPKS1_PKPfEviT_T9_T10_S7_lS9_S7_lS8_T11_S7_li ; -- Begin function _ZL29rocblas_internal_gemmt_kernelIlLi16ELi32ELi8ELc84ELc67ELc76ELb0ELb0EfPKfPKS1_PKPfEviT_T9_T10_S7_lS9_S7_lS8_T11_S7_li
	.p2align	8
	.type	_ZL29rocblas_internal_gemmt_kernelIlLi16ELi32ELi8ELc84ELc67ELc76ELb0ELb0EfPKfPKS1_PKPfEviT_T9_T10_S7_lS9_S7_lS8_T11_S7_li,@function
_ZL29rocblas_internal_gemmt_kernelIlLi16ELi32ELi8ELc84ELc67ELc76ELb0ELb0EfPKfPKS1_PKPfEviT_T9_T10_S7_lS9_S7_lS8_T11_S7_li: ; @_ZL29rocblas_internal_gemmt_kernelIlLi16ELi32ELi8ELc84ELc67ELc76ELb0ELb0EfPKfPKS1_PKPfEviT_T9_T10_S7_lS9_S7_lS8_T11_S7_li
; %bb.0:
	s_clause 0x1
	s_load_b256 s[24:31], s[0:1], 0x48
	s_load_b512 s[8:23], s[0:1], 0x8
	s_wait_kmcnt 0x0
	s_load_b32 s33, s[24:25], 0x0
	s_load_b32 s34, s[10:11], 0x0
	s_wait_kmcnt 0x0
	s_cmp_neq_f32 s33, 1.0
	s_cselect_b32 s2, -1, 0
	s_delay_alu instid0(SALU_CYCLE_1)
	s_and_b32 vcc_lo, exec_lo, s2
	s_cbranch_vccnz .LBB446_2
; %bb.1:
	s_cmp_lg_u64 s[8:9], 0
	s_cselect_b32 s2, -1, 0
	s_cmp_neq_f32 s34, 0
	s_cselect_b32 s3, -1, 0
	s_delay_alu instid0(SALU_CYCLE_1)
	s_and_b32 s2, s2, s3
.LBB446_2:
	s_delay_alu instid0(SALU_CYCLE_1)
	s_and_not1_b32 vcc_lo, exec_lo, s2
	s_cbranch_vccnz .LBB446_35
; %bb.3:
	s_load_b32 s24, s[0:1], 0x68
	s_bfe_u32 s2, ttmp6, 0x40014
	s_lshr_b32 s3, ttmp7, 16
	s_add_co_i32 s2, s2, 1
	s_bfe_u32 s5, ttmp6, 0x40008
	s_mul_i32 s4, s3, s2
	s_getreg_b32 s2, hwreg(HW_REG_IB_STS2, 6, 4)
	s_add_co_i32 s5, s5, s4
	s_cmp_eq_u32 s2, 0
	s_mov_b32 s7, 0
	s_cselect_b32 s6, s3, s5
	s_wait_kmcnt 0x0
	s_cmp_ge_u32 s6, s24
	s_cbranch_scc1 .LBB446_35
; %bb.4:
	s_load_b32 s4, s[0:1], 0x0
	s_wait_xcnt 0x0
	s_bfe_u32 s1, ttmp6, 0x4000c
	s_bfe_u32 s5, ttmp6, 0x40010
	s_and_b32 s3, ttmp7, 0xffff
	s_add_co_i32 s1, s1, 1
	s_add_co_i32 s5, s5, 1
	v_and_b32_e32 v14, 0x3ff, v0
	v_bfe_u32 v15, v0, 10, 10
	s_and_b32 s0, ttmp6, 15
	s_mul_i32 s1, ttmp9, s1
	s_mul_i32 s5, s3, s5
	s_bfe_u32 s10, ttmp6, 0x40004
	s_add_co_i32 s0, s0, s1
	s_add_co_i32 s10, s10, s5
	s_cmp_eq_u32 s2, 0
	v_lshl_add_u32 v1, v15, 4, v14
	s_cselect_b32 s1, s3, s10
	s_cselect_b32 s0, ttmp9, s0
	s_lshl_b32 s1, s1, 5
	s_delay_alu instid0(VALU_DEP_1) | instskip(SKIP_3) | instid1(VALU_DEP_3)
	v_dual_lshrrev_b32 v2, 5, v1 :: v_dual_bitop2_b32 v0, 7, v0 bitop3:0x40
	v_dual_lshrrev_b32 v1, 3, v1 :: v_dual_bitop2_b32 v3, 31, v1 bitop3:0x40
	v_add_nc_u32_e32 v16, s1, v15
	s_lshl_b32 s2, s0, 5
	v_lshlrev_b32_e32 v5, 2, v0
	s_cmp_neq_f32 s34, 0
	v_dual_add_nc_u32 v4, s1, v1 :: v_dual_bitop2_b32 v12, s2, v3 bitop3:0x54
	v_dual_add_nc_u32 v18, 16, v16 :: v_dual_ashrrev_i32 v17, 31, v16
	v_dual_lshlrev_b32 v3, 2, v3 :: v_dual_lshlrev_b32 v28, 2, v14
	s_delay_alu instid0(VALU_DEP_2) | instskip(NEXT) | instid1(VALU_DEP_3)
	v_dual_ashrrev_i32 v13, 31, v12 :: v_dual_ashrrev_i32 v19, 31, v18
	v_mul_u64_e32 v[8:9], s[28:29], v[16:17]
	s_wait_kmcnt 0x0
	v_cmp_gt_i32_e64 s0, s4, v12
	s_cselect_b32 s10, -1, 0
	v_mul_u64_e32 v[6:7], s[14:15], v[12:13]
	v_mul_u64_e32 v[10:11], s[28:29], v[18:19]
	v_add_nc_u32_e32 v12, s2, v14
	v_lshl_or_b32 v5, v1, 5, v5
	v_lshl_or_b32 v1, v2, 7, v3
	s_cmp_neq_f32 s33, 0
	v_cmp_gt_i64_e64 s11, s[8:9], 0
	v_dual_add_nc_u32 v14, 16, v12 :: v_dual_ashrrev_i32 v13, 31, v12
	v_add_nc_u32_e32 v3, 0x400, v5
	v_ashrrev_i32_e32 v5, 31, v4
	v_cmp_le_i32_e32 vcc_lo, v16, v12
	v_cmp_gt_i32_e64 s2, s4, v12
	v_cmp_gt_i32_e64 s1, s4, v4
	s_cselect_b32 s25, -1, 0
	v_cmp_le_i32_e64 s3, v16, v14
	v_cmp_gt_i32_e64 s4, s4, v14
	s_and_b32 s28, vcc_lo, s2
	v_cmp_le_i32_e32 vcc_lo, v18, v12
	v_cmp_le_i32_e64 s5, v18, v14
	v_lshl_add_u32 v29, v15, 5, 0x400
	v_dual_ashrrev_i32 v15, 31, v14 :: v_dual_mov_b32 v17, 0
	s_and_b32 s29, s3, s4
	s_and_b32 s35, vcc_lo, s2
	s_and_b32 s36, s5, s4
	s_and_b32 s37, s10, s11
	s_lshl_b64 s[2:3], s[22:23], 2
	s_lshl_b64 s[4:5], s[16:17], 2
	;; [unrolled: 1-line block ×3, first 2 shown]
	s_branch .LBB446_6
.LBB446_5:                              ;   in Loop: Header=BB446_6 Depth=1
	s_wait_xcnt 0x0
	s_or_b32 exec_lo, exec_lo, s14
	s_add_co_i32 s6, s6, 0x10000
	s_delay_alu instid0(SALU_CYCLE_1)
	s_cmp_lt_u32 s6, s24
	s_cbranch_scc0 .LBB446_35
.LBB446_6:                              ; =>This Loop Header: Depth=1
                                        ;     Child Loop BB446_9 Depth 2
	v_dual_mov_b32 v16, s6 :: v_dual_mov_b32 v23, v17
	v_dual_mov_b32 v22, v17 :: v_dual_mov_b32 v19, v17
	v_mov_b32_e32 v18, v17
	global_load_b64 v[20:21], v16, s[26:27] scale_offset
	s_and_not1_b32 vcc_lo, exec_lo, s37
	s_cbranch_vccnz .LBB446_15
; %bb.7:                                ;   in Loop: Header=BB446_6 Depth=1
	s_lshl_b64 s[14:15], s[6:7], 3
	v_mov_b32_e32 v18, 0
	s_add_nc_u64 s[16:17], s[12:13], s[14:15]
	s_add_nc_u64 s[14:15], s[18:19], s[14:15]
	s_clause 0x1
	global_load_b64 v[22:23], v17, s[16:17]
	global_load_b64 v[24:25], v17, s[14:15]
	s_wait_xcnt 0x0
	s_mov_b64 s[14:15], 0
	v_mov_b32_e32 v19, v18
	s_wait_loadcnt 0x1
	v_add_nc_u64_e32 v[26:27], s[4:5], v[22:23]
	s_wait_loadcnt 0x0
	v_add_nc_u64_e32 v[30:31], s[2:3], v[24:25]
	v_dual_mov_b32 v22, v18 :: v_dual_mov_b32 v23, v18
	s_delay_alu instid0(VALU_DEP_3) | instskip(NEXT) | instid1(VALU_DEP_3)
	v_lshl_add_u64 v[24:25], v[6:7], 2, v[26:27]
	v_lshl_add_u64 v[26:27], v[4:5], 2, v[30:31]
	s_branch .LBB446_9
.LBB446_8:                              ;   in Loop: Header=BB446_9 Depth=2
	s_wait_xcnt 0x0
	s_or_b32 exec_lo, exec_lo, s16
	s_wait_loadcnt_dscnt 0x0
	ds_store_b32 v3, v31
	s_wait_dscnt 0x0
	s_barrier_signal -1
	s_barrier_wait -1
	ds_load_b128 v[30:33], v29
	ds_load_2addr_b32 v[46:47], v28 offset1:16
	ds_load_b128 v[34:37], v29 offset:512
	ds_load_2addr_b32 v[48:49], v28 offset0:32 offset1:48
	ds_load_2addr_b32 v[50:51], v28 offset0:64 offset1:80
	;; [unrolled: 1-line block ×3, first 2 shown]
	ds_load_b128 v[38:41], v29 offset:16
	ds_load_2addr_b32 v[54:55], v28 offset0:128 offset1:144
	ds_load_b128 v[42:45], v29 offset:528
	s_add_nc_u64 s[14:15], s[14:15], 8
	s_delay_alu instid0(SALU_CYCLE_1)
	v_cmp_gt_i64_e64 s16, s[8:9], s[14:15]
	s_and_b32 vcc_lo, exec_lo, s16
	s_wait_dscnt 0x8
	v_mov_b32_e32 v16, v33
	s_wait_dscnt 0x7
	v_pk_fma_f32 v[22:23], v[46:47], v[30:31], v[22:23] op_sel_hi:[1,0,1]
	s_wait_dscnt 0x6
	v_pk_fma_f32 v[18:19], v[46:47], v[34:35], v[18:19] op_sel_hi:[1,0,1]
	ds_load_2addr_b32 v[46:47], v28 offset0:160 offset1:176
	s_wait_dscnt 0x6
	v_pk_fma_f32 v[22:23], v[48:49], v[30:31], v[22:23] op_sel:[0,1,0]
	v_pk_fma_f32 v[18:19], v[48:49], v[34:35], v[18:19] op_sel:[0,1,0]
	ds_load_2addr_b32 v[30:31], v28 offset0:192 offset1:208
	v_mov_b32_e32 v34, v37
	s_wait_dscnt 0x6
	v_pk_fma_f32 v[22:23], v[50:51], v[32:33], v[22:23] op_sel_hi:[1,0,1]
	v_pk_fma_f32 v[18:19], v[50:51], v[36:37], v[18:19] op_sel_hi:[1,0,1]
	ds_load_2addr_b32 v[32:33], v28 offset0:224 offset1:240
	s_wait_dscnt 0x0
	s_barrier_signal -1
	v_pk_fma_f32 v[22:23], v[52:53], v[16:17], v[22:23] op_sel_hi:[1,0,1]
	v_pk_fma_f32 v[18:19], v[52:53], v[34:35], v[18:19] op_sel_hi:[1,0,1]
	v_dual_mov_b32 v16, v41 :: v_dual_mov_b32 v34, v45
	s_barrier_wait -1
	s_delay_alu instid0(VALU_DEP_3) | instskip(NEXT) | instid1(VALU_DEP_3)
	v_pk_fma_f32 v[22:23], v[54:55], v[38:39], v[22:23] op_sel_hi:[1,0,1]
	v_pk_fma_f32 v[18:19], v[54:55], v[42:43], v[18:19] op_sel_hi:[1,0,1]
	s_delay_alu instid0(VALU_DEP_2) | instskip(NEXT) | instid1(VALU_DEP_2)
	v_pk_fma_f32 v[22:23], v[46:47], v[38:39], v[22:23] op_sel:[0,1,0]
	v_pk_fma_f32 v[18:19], v[46:47], v[42:43], v[18:19] op_sel:[0,1,0]
	s_delay_alu instid0(VALU_DEP_2) | instskip(NEXT) | instid1(VALU_DEP_2)
	v_pk_fma_f32 v[22:23], v[30:31], v[40:41], v[22:23] op_sel_hi:[1,0,1]
	v_pk_fma_f32 v[18:19], v[30:31], v[44:45], v[18:19] op_sel_hi:[1,0,1]
	s_delay_alu instid0(VALU_DEP_2) | instskip(NEXT) | instid1(VALU_DEP_2)
	v_pk_fma_f32 v[22:23], v[32:33], v[16:17], v[22:23] op_sel_hi:[1,0,1]
	v_pk_fma_f32 v[18:19], v[32:33], v[34:35], v[18:19] op_sel_hi:[1,0,1]
	s_cbranch_vccz .LBB446_15
.LBB446_9:                              ;   Parent Loop BB446_6 Depth=1
                                        ; =>  This Inner Loop Header: Depth=2
	v_mov_b32_e32 v30, 0
	s_and_saveexec_b32 s16, s0
	s_cbranch_execz .LBB446_13
; %bb.10:                               ;   in Loop: Header=BB446_9 Depth=2
	v_dual_add_nc_u32 v16, s14, v2 :: v_dual_mov_b32 v30, 0
	s_mov_b32 s17, exec_lo
	s_delay_alu instid0(VALU_DEP_1)
	v_cmpx_gt_u64_e64 s[8:9], v[16:17]
	s_cbranch_execz .LBB446_12
; %bb.11:                               ;   in Loop: Header=BB446_9 Depth=2
	v_lshl_add_u64 v[30:31], v[16:17], 2, v[24:25]
	flat_load_b32 v30, v[30:31]
.LBB446_12:                             ;   in Loop: Header=BB446_9 Depth=2
	s_wait_xcnt 0x0
	s_or_b32 exec_lo, exec_lo, s17
.LBB446_13:                             ;   in Loop: Header=BB446_9 Depth=2
	s_delay_alu instid0(SALU_CYCLE_1)
	s_or_b32 exec_lo, exec_lo, s16
	v_dual_mov_b32 v31, 0 :: v_dual_add_nc_u32 v16, s14, v0
	s_wait_loadcnt_dscnt 0x0
	ds_store_b32 v1, v30
	v_cmp_gt_u64_e32 vcc_lo, s[8:9], v[16:17]
	s_and_b32 s17, vcc_lo, s1
	s_delay_alu instid0(SALU_CYCLE_1)
	s_and_saveexec_b32 s16, s17
	s_cbranch_execz .LBB446_8
; %bb.14:                               ;   in Loop: Header=BB446_9 Depth=2
	v_mul_u64_e32 v[30:31], s[20:21], v[16:17]
	s_delay_alu instid0(VALU_DEP_1)
	v_lshl_add_u64 v[30:31], v[30:31], 2, v[26:27]
	flat_load_b32 v31, v[30:31]
	s_branch .LBB446_8
.LBB446_15:                             ;   in Loop: Header=BB446_6 Depth=1
	s_wait_loadcnt 0x0
	v_add_nc_u64_e32 v[20:21], s[10:11], v[20:21]
	s_delay_alu instid0(VALU_DEP_1)
	v_lshl_add_u64 v[24:25], v[8:9], 2, v[20:21]
	s_wait_xcnt 0x0
	s_and_saveexec_b32 s14, s28
	s_cbranch_execz .LBB446_19
; %bb.16:                               ;   in Loop: Header=BB446_6 Depth=1
	v_mul_f32_e32 v16, s34, v22
	v_lshl_add_u64 v[26:27], v[12:13], 2, v[24:25]
	s_and_b32 vcc_lo, exec_lo, s25
	s_cbranch_vccz .LBB446_30
; %bb.17:                               ;   in Loop: Header=BB446_6 Depth=1
	flat_load_b32 v22, v[26:27]
	s_wait_loadcnt_dscnt 0x0
	v_fma_f32 v22, s33, v22, v16
	flat_store_b32 v[26:27], v22
	s_cbranch_execnz .LBB446_19
.LBB446_18:                             ;   in Loop: Header=BB446_6 Depth=1
	flat_store_b32 v[26:27], v16
.LBB446_19:                             ;   in Loop: Header=BB446_6 Depth=1
	s_wait_xcnt 0x0
	s_or_b32 exec_lo, exec_lo, s14
	s_and_saveexec_b32 s14, s29
	s_cbranch_execz .LBB446_23
; %bb.20:                               ;   in Loop: Header=BB446_6 Depth=1
	v_mul_f32_e32 v16, s34, v23
	v_lshl_add_u64 v[22:23], v[14:15], 2, v[24:25]
	s_and_not1_b32 vcc_lo, exec_lo, s25
	s_cbranch_vccnz .LBB446_31
; %bb.21:                               ;   in Loop: Header=BB446_6 Depth=1
	flat_load_b32 v24, v[22:23]
	s_wait_loadcnt_dscnt 0x0
	v_fma_f32 v24, s33, v24, v16
	flat_store_b32 v[22:23], v24
	s_cbranch_execnz .LBB446_23
.LBB446_22:                             ;   in Loop: Header=BB446_6 Depth=1
	flat_store_b32 v[22:23], v16
.LBB446_23:                             ;   in Loop: Header=BB446_6 Depth=1
	s_wait_xcnt 0x0
	s_or_b32 exec_lo, exec_lo, s14
	v_lshl_add_u64 v[20:21], v[10:11], 2, v[20:21]
	s_and_saveexec_b32 s14, s35
	s_cbranch_execz .LBB446_27
; %bb.24:                               ;   in Loop: Header=BB446_6 Depth=1
	v_mul_f32_e32 v16, s34, v18
	s_delay_alu instid0(VALU_DEP_2)
	v_lshl_add_u64 v[22:23], v[12:13], 2, v[20:21]
	s_and_not1_b32 vcc_lo, exec_lo, s25
	s_cbranch_vccnz .LBB446_32
; %bb.25:                               ;   in Loop: Header=BB446_6 Depth=1
	flat_load_b32 v18, v[22:23]
	s_wait_loadcnt_dscnt 0x0
	v_fma_f32 v18, s33, v18, v16
	flat_store_b32 v[22:23], v18
	s_cbranch_execnz .LBB446_27
.LBB446_26:                             ;   in Loop: Header=BB446_6 Depth=1
	flat_store_b32 v[22:23], v16
.LBB446_27:                             ;   in Loop: Header=BB446_6 Depth=1
	s_wait_xcnt 0x0
	s_or_b32 exec_lo, exec_lo, s14
	s_and_saveexec_b32 s14, s36
	s_cbranch_execz .LBB446_5
; %bb.28:                               ;   in Loop: Header=BB446_6 Depth=1
	v_mul_f32_e32 v16, s34, v19
	v_lshl_add_u64 v[18:19], v[14:15], 2, v[20:21]
	s_and_not1_b32 vcc_lo, exec_lo, s25
	s_cbranch_vccnz .LBB446_33
; %bb.29:                               ;   in Loop: Header=BB446_6 Depth=1
	flat_load_b32 v20, v[18:19]
	s_wait_loadcnt_dscnt 0x0
	v_fma_f32 v20, s33, v20, v16
	flat_store_b32 v[18:19], v20
	s_cbranch_execnz .LBB446_5
	s_branch .LBB446_34
.LBB446_30:                             ;   in Loop: Header=BB446_6 Depth=1
	s_branch .LBB446_18
.LBB446_31:                             ;   in Loop: Header=BB446_6 Depth=1
	s_branch .LBB446_22
.LBB446_32:                             ;   in Loop: Header=BB446_6 Depth=1
	s_branch .LBB446_26
.LBB446_33:                             ;   in Loop: Header=BB446_6 Depth=1
.LBB446_34:                             ;   in Loop: Header=BB446_6 Depth=1
	flat_store_b32 v[18:19], v16
	s_branch .LBB446_5
.LBB446_35:
	s_endpgm
	.section	.rodata,"a",@progbits
	.p2align	6, 0x0
	.amdhsa_kernel _ZL29rocblas_internal_gemmt_kernelIlLi16ELi32ELi8ELc84ELc67ELc76ELb0ELb0EfPKfPKS1_PKPfEviT_T9_T10_S7_lS9_S7_lS8_T11_S7_li
		.amdhsa_group_segment_fixed_size 2048
		.amdhsa_private_segment_fixed_size 0
		.amdhsa_kernarg_size 108
		.amdhsa_user_sgpr_count 2
		.amdhsa_user_sgpr_dispatch_ptr 0
		.amdhsa_user_sgpr_queue_ptr 0
		.amdhsa_user_sgpr_kernarg_segment_ptr 1
		.amdhsa_user_sgpr_dispatch_id 0
		.amdhsa_user_sgpr_kernarg_preload_length 0
		.amdhsa_user_sgpr_kernarg_preload_offset 0
		.amdhsa_user_sgpr_private_segment_size 0
		.amdhsa_wavefront_size32 1
		.amdhsa_uses_dynamic_stack 0
		.amdhsa_enable_private_segment 0
		.amdhsa_system_sgpr_workgroup_id_x 1
		.amdhsa_system_sgpr_workgroup_id_y 1
		.amdhsa_system_sgpr_workgroup_id_z 1
		.amdhsa_system_sgpr_workgroup_info 0
		.amdhsa_system_vgpr_workitem_id 1
		.amdhsa_next_free_vgpr 56
		.amdhsa_next_free_sgpr 38
		.amdhsa_named_barrier_count 0
		.amdhsa_reserve_vcc 1
		.amdhsa_float_round_mode_32 0
		.amdhsa_float_round_mode_16_64 0
		.amdhsa_float_denorm_mode_32 3
		.amdhsa_float_denorm_mode_16_64 3
		.amdhsa_fp16_overflow 0
		.amdhsa_memory_ordered 1
		.amdhsa_forward_progress 1
		.amdhsa_inst_pref_size 13
		.amdhsa_round_robin_scheduling 0
		.amdhsa_exception_fp_ieee_invalid_op 0
		.amdhsa_exception_fp_denorm_src 0
		.amdhsa_exception_fp_ieee_div_zero 0
		.amdhsa_exception_fp_ieee_overflow 0
		.amdhsa_exception_fp_ieee_underflow 0
		.amdhsa_exception_fp_ieee_inexact 0
		.amdhsa_exception_int_div_zero 0
	.end_amdhsa_kernel
	.section	.text._ZL29rocblas_internal_gemmt_kernelIlLi16ELi32ELi8ELc84ELc67ELc76ELb0ELb0EfPKfPKS1_PKPfEviT_T9_T10_S7_lS9_S7_lS8_T11_S7_li,"axG",@progbits,_ZL29rocblas_internal_gemmt_kernelIlLi16ELi32ELi8ELc84ELc67ELc76ELb0ELb0EfPKfPKS1_PKPfEviT_T9_T10_S7_lS9_S7_lS8_T11_S7_li,comdat
.Lfunc_end446:
	.size	_ZL29rocblas_internal_gemmt_kernelIlLi16ELi32ELi8ELc84ELc67ELc76ELb0ELb0EfPKfPKS1_PKPfEviT_T9_T10_S7_lS9_S7_lS8_T11_S7_li, .Lfunc_end446-_ZL29rocblas_internal_gemmt_kernelIlLi16ELi32ELi8ELc84ELc67ELc76ELb0ELb0EfPKfPKS1_PKPfEviT_T9_T10_S7_lS9_S7_lS8_T11_S7_li
                                        ; -- End function
	.set _ZL29rocblas_internal_gemmt_kernelIlLi16ELi32ELi8ELc84ELc67ELc76ELb0ELb0EfPKfPKS1_PKPfEviT_T9_T10_S7_lS9_S7_lS8_T11_S7_li.num_vgpr, 56
	.set _ZL29rocblas_internal_gemmt_kernelIlLi16ELi32ELi8ELc84ELc67ELc76ELb0ELb0EfPKfPKS1_PKPfEviT_T9_T10_S7_lS9_S7_lS8_T11_S7_li.num_agpr, 0
	.set _ZL29rocblas_internal_gemmt_kernelIlLi16ELi32ELi8ELc84ELc67ELc76ELb0ELb0EfPKfPKS1_PKPfEviT_T9_T10_S7_lS9_S7_lS8_T11_S7_li.numbered_sgpr, 38
	.set _ZL29rocblas_internal_gemmt_kernelIlLi16ELi32ELi8ELc84ELc67ELc76ELb0ELb0EfPKfPKS1_PKPfEviT_T9_T10_S7_lS9_S7_lS8_T11_S7_li.num_named_barrier, 0
	.set _ZL29rocblas_internal_gemmt_kernelIlLi16ELi32ELi8ELc84ELc67ELc76ELb0ELb0EfPKfPKS1_PKPfEviT_T9_T10_S7_lS9_S7_lS8_T11_S7_li.private_seg_size, 0
	.set _ZL29rocblas_internal_gemmt_kernelIlLi16ELi32ELi8ELc84ELc67ELc76ELb0ELb0EfPKfPKS1_PKPfEviT_T9_T10_S7_lS9_S7_lS8_T11_S7_li.uses_vcc, 1
	.set _ZL29rocblas_internal_gemmt_kernelIlLi16ELi32ELi8ELc84ELc67ELc76ELb0ELb0EfPKfPKS1_PKPfEviT_T9_T10_S7_lS9_S7_lS8_T11_S7_li.uses_flat_scratch, 0
	.set _ZL29rocblas_internal_gemmt_kernelIlLi16ELi32ELi8ELc84ELc67ELc76ELb0ELb0EfPKfPKS1_PKPfEviT_T9_T10_S7_lS9_S7_lS8_T11_S7_li.has_dyn_sized_stack, 0
	.set _ZL29rocblas_internal_gemmt_kernelIlLi16ELi32ELi8ELc84ELc67ELc76ELb0ELb0EfPKfPKS1_PKPfEviT_T9_T10_S7_lS9_S7_lS8_T11_S7_li.has_recursion, 0
	.set _ZL29rocblas_internal_gemmt_kernelIlLi16ELi32ELi8ELc84ELc67ELc76ELb0ELb0EfPKfPKS1_PKPfEviT_T9_T10_S7_lS9_S7_lS8_T11_S7_li.has_indirect_call, 0
	.section	.AMDGPU.csdata,"",@progbits
; Kernel info:
; codeLenInByte = 1648
; TotalNumSgprs: 40
; NumVgprs: 56
; ScratchSize: 0
; MemoryBound: 0
; FloatMode: 240
; IeeeMode: 1
; LDSByteSize: 2048 bytes/workgroup (compile time only)
; SGPRBlocks: 0
; VGPRBlocks: 3
; NumSGPRsForWavesPerEU: 40
; NumVGPRsForWavesPerEU: 56
; NamedBarCnt: 0
; Occupancy: 16
; WaveLimiterHint : 1
; COMPUTE_PGM_RSRC2:SCRATCH_EN: 0
; COMPUTE_PGM_RSRC2:USER_SGPR: 2
; COMPUTE_PGM_RSRC2:TRAP_HANDLER: 0
; COMPUTE_PGM_RSRC2:TGID_X_EN: 1
; COMPUTE_PGM_RSRC2:TGID_Y_EN: 1
; COMPUTE_PGM_RSRC2:TGID_Z_EN: 1
; COMPUTE_PGM_RSRC2:TIDIG_COMP_CNT: 1
	.section	.text._ZL29rocblas_internal_gemmt_kernelIlLi16ELi32ELi8ELc67ELc78ELc76ELb0ELb0EfPKfPKS1_PKPfEviT_T9_T10_S7_lS9_S7_lS8_T11_S7_li,"axG",@progbits,_ZL29rocblas_internal_gemmt_kernelIlLi16ELi32ELi8ELc67ELc78ELc76ELb0ELb0EfPKfPKS1_PKPfEviT_T9_T10_S7_lS9_S7_lS8_T11_S7_li,comdat
	.globl	_ZL29rocblas_internal_gemmt_kernelIlLi16ELi32ELi8ELc67ELc78ELc76ELb0ELb0EfPKfPKS1_PKPfEviT_T9_T10_S7_lS9_S7_lS8_T11_S7_li ; -- Begin function _ZL29rocblas_internal_gemmt_kernelIlLi16ELi32ELi8ELc67ELc78ELc76ELb0ELb0EfPKfPKS1_PKPfEviT_T9_T10_S7_lS9_S7_lS8_T11_S7_li
	.p2align	8
	.type	_ZL29rocblas_internal_gemmt_kernelIlLi16ELi32ELi8ELc67ELc78ELc76ELb0ELb0EfPKfPKS1_PKPfEviT_T9_T10_S7_lS9_S7_lS8_T11_S7_li,@function
_ZL29rocblas_internal_gemmt_kernelIlLi16ELi32ELi8ELc67ELc78ELc76ELb0ELb0EfPKfPKS1_PKPfEviT_T9_T10_S7_lS9_S7_lS8_T11_S7_li: ; @_ZL29rocblas_internal_gemmt_kernelIlLi16ELi32ELi8ELc67ELc78ELc76ELb0ELb0EfPKfPKS1_PKPfEviT_T9_T10_S7_lS9_S7_lS8_T11_S7_li
; %bb.0:
	s_clause 0x1
	s_load_b256 s[24:31], s[0:1], 0x48
	s_load_b512 s[8:23], s[0:1], 0x8
	s_wait_kmcnt 0x0
	s_load_b32 s33, s[24:25], 0x0
	s_load_b32 s34, s[10:11], 0x0
	s_wait_kmcnt 0x0
	s_cmp_neq_f32 s33, 1.0
	s_cselect_b32 s2, -1, 0
	s_delay_alu instid0(SALU_CYCLE_1)
	s_and_b32 vcc_lo, exec_lo, s2
	s_cbranch_vccnz .LBB447_2
; %bb.1:
	s_cmp_lg_u64 s[8:9], 0
	s_cselect_b32 s2, -1, 0
	s_cmp_neq_f32 s34, 0
	s_cselect_b32 s3, -1, 0
	s_delay_alu instid0(SALU_CYCLE_1)
	s_and_b32 s2, s2, s3
.LBB447_2:
	s_delay_alu instid0(SALU_CYCLE_1)
	s_and_not1_b32 vcc_lo, exec_lo, s2
	s_cbranch_vccnz .LBB447_35
; %bb.3:
	s_load_b32 s24, s[0:1], 0x68
	s_bfe_u32 s2, ttmp6, 0x40014
	s_lshr_b32 s3, ttmp7, 16
	s_add_co_i32 s2, s2, 1
	s_bfe_u32 s5, ttmp6, 0x40008
	s_mul_i32 s4, s3, s2
	s_getreg_b32 s2, hwreg(HW_REG_IB_STS2, 6, 4)
	s_add_co_i32 s5, s5, s4
	s_cmp_eq_u32 s2, 0
	s_mov_b32 s7, 0
	s_cselect_b32 s6, s3, s5
	s_wait_kmcnt 0x0
	s_cmp_ge_u32 s6, s24
	s_cbranch_scc1 .LBB447_35
; %bb.4:
	s_load_b32 s4, s[0:1], 0x0
	s_wait_xcnt 0x0
	s_bfe_u32 s1, ttmp6, 0x4000c
	s_bfe_u32 s5, ttmp6, 0x40010
	s_and_b32 s3, ttmp7, 0xffff
	s_add_co_i32 s1, s1, 1
	s_add_co_i32 s5, s5, 1
	v_and_b32_e32 v20, 0x3ff, v0
	v_bfe_u32 v21, v0, 10, 10
	s_and_b32 s0, ttmp6, 15
	s_mul_i32 s1, ttmp9, s1
	s_mul_i32 s5, s3, s5
	s_bfe_u32 s10, ttmp6, 0x40004
	s_add_co_i32 s0, s0, s1
	s_add_co_i32 s10, s10, s5
	s_cmp_eq_u32 s2, 0
	v_lshl_add_u32 v1, v21, 4, v20
	s_cselect_b32 s0, ttmp9, s0
	s_cselect_b32 s1, s3, s10
	s_lshl_b32 s2, s0, 5
	s_lshl_b32 s0, s1, 5
	v_dual_lshrrev_b32 v2, 5, v1 :: v_dual_lshrrev_b32 v3, 3, v1
	v_and_b32_e32 v1, 31, v1
	v_dual_add_nc_u32 v16, s0, v21 :: v_dual_bitop2_b32 v0, 7, v0 bitop3:0x40
	s_cmp_neq_f32 s34, 0
	s_delay_alu instid0(VALU_DEP_2) | instskip(NEXT) | instid1(VALU_DEP_2)
	v_dual_add_nc_u32 v14, s0, v3 :: v_dual_bitop2_b32 v12, s2, v1 bitop3:0x54
	v_dual_add_nc_u32 v18, 16, v16 :: v_dual_ashrrev_i32 v17, 31, v16
	s_delay_alu instid0(VALU_DEP_2) | instskip(NEXT) | instid1(VALU_DEP_2)
	v_dual_lshlrev_b32 v1, 2, v1 :: v_dual_ashrrev_i32 v15, 31, v14
	v_dual_ashrrev_i32 v13, 31, v12 :: v_dual_ashrrev_i32 v19, 31, v18
	s_delay_alu instid0(VALU_DEP_3)
	v_mul_u64_e32 v[8:9], s[28:29], v[16:17]
	s_wait_kmcnt 0x0
	v_cmp_gt_i32_e64 s0, s4, v12
	v_mul_u64_e32 v[6:7], s[20:21], v[14:15]
	v_mul_u64_e32 v[4:5], s[14:15], v[12:13]
	v_lshlrev_b32_e32 v13, 2, v0
	v_mul_u64_e32 v[10:11], s[28:29], v[18:19]
	v_dual_add_nc_u32 v12, s2, v20 :: v_dual_lshlrev_b32 v28, 2, v20
	v_cmp_gt_i32_e64 s1, s4, v14
	s_cselect_b32 s10, -1, 0
	s_cmp_neq_f32 s33, 0
	v_add_nc_u32_e32 v14, 16, v12
	v_cmp_le_i32_e32 vcc_lo, v16, v12
	v_cmp_gt_i32_e64 s2, s4, v12
	v_lshl_or_b32 v3, v3, 5, v13
	v_cmp_gt_i64_e64 s11, s[8:9], 0
	s_cselect_b32 s20, -1, 0
	v_ashrrev_i32_e32 v13, 31, v12
	v_cmp_le_i32_e64 s3, v16, v14
	v_cmp_gt_i32_e64 s4, s4, v14
	s_and_b32 s21, vcc_lo, s2
	v_cmp_le_i32_e32 vcc_lo, v18, v12
	v_cmp_le_i32_e64 s5, v18, v14
	v_lshl_or_b32 v1, v2, 7, v1
	v_add_nc_u32_e32 v3, 0x400, v3
	v_lshl_add_u32 v29, v21, 5, 0x400
	v_dual_ashrrev_i32 v15, 31, v14 :: v_dual_mov_b32 v17, 0
	s_and_b32 s25, s3, s4
	s_and_b32 s28, vcc_lo, s2
	s_and_b32 s29, s5, s4
	s_and_b32 s35, s10, s11
	s_lshl_b64 s[2:3], s[22:23], 2
	s_lshl_b64 s[4:5], s[16:17], 2
	;; [unrolled: 1-line block ×3, first 2 shown]
	s_branch .LBB447_6
.LBB447_5:                              ;   in Loop: Header=BB447_6 Depth=1
	s_wait_xcnt 0x0
	s_or_b32 exec_lo, exec_lo, s14
	s_add_co_i32 s6, s6, 0x10000
	s_delay_alu instid0(SALU_CYCLE_1)
	s_cmp_lt_u32 s6, s24
	s_cbranch_scc0 .LBB447_35
.LBB447_6:                              ; =>This Loop Header: Depth=1
                                        ;     Child Loop BB447_9 Depth 2
	v_dual_mov_b32 v16, s6 :: v_dual_mov_b32 v23, v17
	v_dual_mov_b32 v22, v17 :: v_dual_mov_b32 v19, v17
	v_mov_b32_e32 v18, v17
	global_load_b64 v[20:21], v16, s[26:27] scale_offset
	s_and_not1_b32 vcc_lo, exec_lo, s35
	s_cbranch_vccnz .LBB447_15
; %bb.7:                                ;   in Loop: Header=BB447_6 Depth=1
	s_lshl_b64 s[14:15], s[6:7], 3
	v_mov_b32_e32 v18, 0
	s_add_nc_u64 s[16:17], s[12:13], s[14:15]
	s_add_nc_u64 s[14:15], s[18:19], s[14:15]
	s_clause 0x1
	global_load_b64 v[22:23], v17, s[16:17]
	global_load_b64 v[24:25], v17, s[14:15]
	s_wait_xcnt 0x0
	s_mov_b64 s[14:15], 0
	v_mov_b32_e32 v19, v18
	s_wait_loadcnt 0x1
	v_add_nc_u64_e32 v[26:27], s[4:5], v[22:23]
	s_wait_loadcnt 0x0
	v_add_nc_u64_e32 v[30:31], s[2:3], v[24:25]
	v_dual_mov_b32 v22, v18 :: v_dual_mov_b32 v23, v18
	s_delay_alu instid0(VALU_DEP_3) | instskip(NEXT) | instid1(VALU_DEP_3)
	v_lshl_add_u64 v[24:25], v[4:5], 2, v[26:27]
	v_lshl_add_u64 v[26:27], v[6:7], 2, v[30:31]
	s_branch .LBB447_9
.LBB447_8:                              ;   in Loop: Header=BB447_9 Depth=2
	s_wait_xcnt 0x0
	s_or_b32 exec_lo, exec_lo, s16
	s_wait_loadcnt_dscnt 0x0
	ds_store_b32 v3, v31
	s_wait_dscnt 0x0
	s_barrier_signal -1
	s_barrier_wait -1
	ds_load_b128 v[30:33], v29
	ds_load_2addr_b32 v[46:47], v28 offset1:16
	ds_load_b128 v[34:37], v29 offset:512
	ds_load_2addr_b32 v[48:49], v28 offset0:32 offset1:48
	ds_load_2addr_b32 v[50:51], v28 offset0:64 offset1:80
	;; [unrolled: 1-line block ×3, first 2 shown]
	ds_load_b128 v[38:41], v29 offset:16
	ds_load_2addr_b32 v[54:55], v28 offset0:128 offset1:144
	ds_load_b128 v[42:45], v29 offset:528
	s_add_nc_u64 s[14:15], s[14:15], 8
	s_delay_alu instid0(SALU_CYCLE_1)
	v_cmp_gt_i64_e64 s16, s[8:9], s[14:15]
	s_and_b32 vcc_lo, exec_lo, s16
	s_wait_dscnt 0x8
	v_mov_b32_e32 v16, v33
	s_wait_dscnt 0x7
	v_pk_fma_f32 v[22:23], v[46:47], v[30:31], v[22:23] op_sel_hi:[1,0,1]
	s_wait_dscnt 0x6
	v_pk_fma_f32 v[18:19], v[46:47], v[34:35], v[18:19] op_sel_hi:[1,0,1]
	ds_load_2addr_b32 v[46:47], v28 offset0:160 offset1:176
	s_wait_dscnt 0x6
	v_pk_fma_f32 v[22:23], v[48:49], v[30:31], v[22:23] op_sel:[0,1,0]
	v_pk_fma_f32 v[18:19], v[48:49], v[34:35], v[18:19] op_sel:[0,1,0]
	ds_load_2addr_b32 v[30:31], v28 offset0:192 offset1:208
	v_mov_b32_e32 v34, v37
	s_wait_dscnt 0x6
	v_pk_fma_f32 v[22:23], v[50:51], v[32:33], v[22:23] op_sel_hi:[1,0,1]
	v_pk_fma_f32 v[18:19], v[50:51], v[36:37], v[18:19] op_sel_hi:[1,0,1]
	ds_load_2addr_b32 v[32:33], v28 offset0:224 offset1:240
	s_wait_dscnt 0x0
	s_barrier_signal -1
	v_pk_fma_f32 v[22:23], v[52:53], v[16:17], v[22:23] op_sel_hi:[1,0,1]
	v_pk_fma_f32 v[18:19], v[52:53], v[34:35], v[18:19] op_sel_hi:[1,0,1]
	v_dual_mov_b32 v16, v41 :: v_dual_mov_b32 v34, v45
	s_barrier_wait -1
	s_delay_alu instid0(VALU_DEP_3) | instskip(NEXT) | instid1(VALU_DEP_3)
	v_pk_fma_f32 v[22:23], v[54:55], v[38:39], v[22:23] op_sel_hi:[1,0,1]
	v_pk_fma_f32 v[18:19], v[54:55], v[42:43], v[18:19] op_sel_hi:[1,0,1]
	s_delay_alu instid0(VALU_DEP_2) | instskip(NEXT) | instid1(VALU_DEP_2)
	v_pk_fma_f32 v[22:23], v[46:47], v[38:39], v[22:23] op_sel:[0,1,0]
	v_pk_fma_f32 v[18:19], v[46:47], v[42:43], v[18:19] op_sel:[0,1,0]
	s_delay_alu instid0(VALU_DEP_2) | instskip(NEXT) | instid1(VALU_DEP_2)
	v_pk_fma_f32 v[22:23], v[30:31], v[40:41], v[22:23] op_sel_hi:[1,0,1]
	v_pk_fma_f32 v[18:19], v[30:31], v[44:45], v[18:19] op_sel_hi:[1,0,1]
	s_delay_alu instid0(VALU_DEP_2) | instskip(NEXT) | instid1(VALU_DEP_2)
	v_pk_fma_f32 v[22:23], v[32:33], v[16:17], v[22:23] op_sel_hi:[1,0,1]
	v_pk_fma_f32 v[18:19], v[32:33], v[34:35], v[18:19] op_sel_hi:[1,0,1]
	s_cbranch_vccz .LBB447_15
.LBB447_9:                              ;   Parent Loop BB447_6 Depth=1
                                        ; =>  This Inner Loop Header: Depth=2
	v_mov_b32_e32 v30, 0
	s_and_saveexec_b32 s16, s0
	s_cbranch_execz .LBB447_13
; %bb.10:                               ;   in Loop: Header=BB447_9 Depth=2
	v_dual_add_nc_u32 v16, s14, v2 :: v_dual_mov_b32 v30, 0
	s_mov_b32 s17, exec_lo
	s_delay_alu instid0(VALU_DEP_1)
	v_cmpx_gt_u64_e64 s[8:9], v[16:17]
	s_cbranch_execz .LBB447_12
; %bb.11:                               ;   in Loop: Header=BB447_9 Depth=2
	v_lshl_add_u64 v[30:31], v[16:17], 2, v[24:25]
	flat_load_b32 v30, v[30:31]
.LBB447_12:                             ;   in Loop: Header=BB447_9 Depth=2
	s_wait_xcnt 0x0
	s_or_b32 exec_lo, exec_lo, s17
.LBB447_13:                             ;   in Loop: Header=BB447_9 Depth=2
	s_delay_alu instid0(SALU_CYCLE_1)
	s_or_b32 exec_lo, exec_lo, s16
	v_dual_mov_b32 v31, 0 :: v_dual_add_nc_u32 v16, s14, v0
	s_wait_loadcnt_dscnt 0x0
	ds_store_b32 v1, v30
	v_cmp_gt_u64_e32 vcc_lo, s[8:9], v[16:17]
	s_and_b32 s17, vcc_lo, s1
	s_delay_alu instid0(SALU_CYCLE_1)
	s_and_saveexec_b32 s16, s17
	s_cbranch_execz .LBB447_8
; %bb.14:                               ;   in Loop: Header=BB447_9 Depth=2
	v_lshl_add_u64 v[30:31], v[16:17], 2, v[26:27]
	flat_load_b32 v31, v[30:31]
	s_branch .LBB447_8
.LBB447_15:                             ;   in Loop: Header=BB447_6 Depth=1
	s_wait_loadcnt 0x0
	v_add_nc_u64_e32 v[20:21], s[10:11], v[20:21]
	s_delay_alu instid0(VALU_DEP_1)
	v_lshl_add_u64 v[24:25], v[8:9], 2, v[20:21]
	s_wait_xcnt 0x0
	s_and_saveexec_b32 s14, s21
	s_cbranch_execz .LBB447_19
; %bb.16:                               ;   in Loop: Header=BB447_6 Depth=1
	v_mul_f32_e32 v16, s34, v22
	v_lshl_add_u64 v[26:27], v[12:13], 2, v[24:25]
	s_and_b32 vcc_lo, exec_lo, s20
	s_cbranch_vccz .LBB447_30
; %bb.17:                               ;   in Loop: Header=BB447_6 Depth=1
	flat_load_b32 v22, v[26:27]
	s_wait_loadcnt_dscnt 0x0
	v_fma_f32 v22, s33, v22, v16
	flat_store_b32 v[26:27], v22
	s_cbranch_execnz .LBB447_19
.LBB447_18:                             ;   in Loop: Header=BB447_6 Depth=1
	flat_store_b32 v[26:27], v16
.LBB447_19:                             ;   in Loop: Header=BB447_6 Depth=1
	s_wait_xcnt 0x0
	s_or_b32 exec_lo, exec_lo, s14
	s_and_saveexec_b32 s14, s25
	s_cbranch_execz .LBB447_23
; %bb.20:                               ;   in Loop: Header=BB447_6 Depth=1
	v_mul_f32_e32 v16, s34, v23
	v_lshl_add_u64 v[22:23], v[14:15], 2, v[24:25]
	s_and_not1_b32 vcc_lo, exec_lo, s20
	s_cbranch_vccnz .LBB447_31
; %bb.21:                               ;   in Loop: Header=BB447_6 Depth=1
	flat_load_b32 v24, v[22:23]
	s_wait_loadcnt_dscnt 0x0
	v_fma_f32 v24, s33, v24, v16
	flat_store_b32 v[22:23], v24
	s_cbranch_execnz .LBB447_23
.LBB447_22:                             ;   in Loop: Header=BB447_6 Depth=1
	flat_store_b32 v[22:23], v16
.LBB447_23:                             ;   in Loop: Header=BB447_6 Depth=1
	s_wait_xcnt 0x0
	s_or_b32 exec_lo, exec_lo, s14
	v_lshl_add_u64 v[20:21], v[10:11], 2, v[20:21]
	s_and_saveexec_b32 s14, s28
	s_cbranch_execz .LBB447_27
; %bb.24:                               ;   in Loop: Header=BB447_6 Depth=1
	v_mul_f32_e32 v16, s34, v18
	s_delay_alu instid0(VALU_DEP_2)
	v_lshl_add_u64 v[22:23], v[12:13], 2, v[20:21]
	s_and_not1_b32 vcc_lo, exec_lo, s20
	s_cbranch_vccnz .LBB447_32
; %bb.25:                               ;   in Loop: Header=BB447_6 Depth=1
	flat_load_b32 v18, v[22:23]
	s_wait_loadcnt_dscnt 0x0
	v_fma_f32 v18, s33, v18, v16
	flat_store_b32 v[22:23], v18
	s_cbranch_execnz .LBB447_27
.LBB447_26:                             ;   in Loop: Header=BB447_6 Depth=1
	flat_store_b32 v[22:23], v16
.LBB447_27:                             ;   in Loop: Header=BB447_6 Depth=1
	s_wait_xcnt 0x0
	s_or_b32 exec_lo, exec_lo, s14
	s_and_saveexec_b32 s14, s29
	s_cbranch_execz .LBB447_5
; %bb.28:                               ;   in Loop: Header=BB447_6 Depth=1
	v_mul_f32_e32 v16, s34, v19
	v_lshl_add_u64 v[18:19], v[14:15], 2, v[20:21]
	s_and_not1_b32 vcc_lo, exec_lo, s20
	s_cbranch_vccnz .LBB447_33
; %bb.29:                               ;   in Loop: Header=BB447_6 Depth=1
	flat_load_b32 v20, v[18:19]
	s_wait_loadcnt_dscnt 0x0
	v_fma_f32 v20, s33, v20, v16
	flat_store_b32 v[18:19], v20
	s_cbranch_execnz .LBB447_5
	s_branch .LBB447_34
.LBB447_30:                             ;   in Loop: Header=BB447_6 Depth=1
	s_branch .LBB447_18
.LBB447_31:                             ;   in Loop: Header=BB447_6 Depth=1
	s_branch .LBB447_22
.LBB447_32:                             ;   in Loop: Header=BB447_6 Depth=1
	s_branch .LBB447_26
.LBB447_33:                             ;   in Loop: Header=BB447_6 Depth=1
.LBB447_34:                             ;   in Loop: Header=BB447_6 Depth=1
	flat_store_b32 v[18:19], v16
	s_branch .LBB447_5
.LBB447_35:
	s_endpgm
	.section	.rodata,"a",@progbits
	.p2align	6, 0x0
	.amdhsa_kernel _ZL29rocblas_internal_gemmt_kernelIlLi16ELi32ELi8ELc67ELc78ELc76ELb0ELb0EfPKfPKS1_PKPfEviT_T9_T10_S7_lS9_S7_lS8_T11_S7_li
		.amdhsa_group_segment_fixed_size 2048
		.amdhsa_private_segment_fixed_size 0
		.amdhsa_kernarg_size 108
		.amdhsa_user_sgpr_count 2
		.amdhsa_user_sgpr_dispatch_ptr 0
		.amdhsa_user_sgpr_queue_ptr 0
		.amdhsa_user_sgpr_kernarg_segment_ptr 1
		.amdhsa_user_sgpr_dispatch_id 0
		.amdhsa_user_sgpr_kernarg_preload_length 0
		.amdhsa_user_sgpr_kernarg_preload_offset 0
		.amdhsa_user_sgpr_private_segment_size 0
		.amdhsa_wavefront_size32 1
		.amdhsa_uses_dynamic_stack 0
		.amdhsa_enable_private_segment 0
		.amdhsa_system_sgpr_workgroup_id_x 1
		.amdhsa_system_sgpr_workgroup_id_y 1
		.amdhsa_system_sgpr_workgroup_id_z 1
		.amdhsa_system_sgpr_workgroup_info 0
		.amdhsa_system_vgpr_workitem_id 1
		.amdhsa_next_free_vgpr 56
		.amdhsa_next_free_sgpr 36
		.amdhsa_named_barrier_count 0
		.amdhsa_reserve_vcc 1
		.amdhsa_float_round_mode_32 0
		.amdhsa_float_round_mode_16_64 0
		.amdhsa_float_denorm_mode_32 3
		.amdhsa_float_denorm_mode_16_64 3
		.amdhsa_fp16_overflow 0
		.amdhsa_memory_ordered 1
		.amdhsa_forward_progress 1
		.amdhsa_inst_pref_size 13
		.amdhsa_round_robin_scheduling 0
		.amdhsa_exception_fp_ieee_invalid_op 0
		.amdhsa_exception_fp_denorm_src 0
		.amdhsa_exception_fp_ieee_div_zero 0
		.amdhsa_exception_fp_ieee_overflow 0
		.amdhsa_exception_fp_ieee_underflow 0
		.amdhsa_exception_fp_ieee_inexact 0
		.amdhsa_exception_int_div_zero 0
	.end_amdhsa_kernel
	.section	.text._ZL29rocblas_internal_gemmt_kernelIlLi16ELi32ELi8ELc67ELc78ELc76ELb0ELb0EfPKfPKS1_PKPfEviT_T9_T10_S7_lS9_S7_lS8_T11_S7_li,"axG",@progbits,_ZL29rocblas_internal_gemmt_kernelIlLi16ELi32ELi8ELc67ELc78ELc76ELb0ELb0EfPKfPKS1_PKPfEviT_T9_T10_S7_lS9_S7_lS8_T11_S7_li,comdat
.Lfunc_end447:
	.size	_ZL29rocblas_internal_gemmt_kernelIlLi16ELi32ELi8ELc67ELc78ELc76ELb0ELb0EfPKfPKS1_PKPfEviT_T9_T10_S7_lS9_S7_lS8_T11_S7_li, .Lfunc_end447-_ZL29rocblas_internal_gemmt_kernelIlLi16ELi32ELi8ELc67ELc78ELc76ELb0ELb0EfPKfPKS1_PKPfEviT_T9_T10_S7_lS9_S7_lS8_T11_S7_li
                                        ; -- End function
	.set _ZL29rocblas_internal_gemmt_kernelIlLi16ELi32ELi8ELc67ELc78ELc76ELb0ELb0EfPKfPKS1_PKPfEviT_T9_T10_S7_lS9_S7_lS8_T11_S7_li.num_vgpr, 56
	.set _ZL29rocblas_internal_gemmt_kernelIlLi16ELi32ELi8ELc67ELc78ELc76ELb0ELb0EfPKfPKS1_PKPfEviT_T9_T10_S7_lS9_S7_lS8_T11_S7_li.num_agpr, 0
	.set _ZL29rocblas_internal_gemmt_kernelIlLi16ELi32ELi8ELc67ELc78ELc76ELb0ELb0EfPKfPKS1_PKPfEviT_T9_T10_S7_lS9_S7_lS8_T11_S7_li.numbered_sgpr, 36
	.set _ZL29rocblas_internal_gemmt_kernelIlLi16ELi32ELi8ELc67ELc78ELc76ELb0ELb0EfPKfPKS1_PKPfEviT_T9_T10_S7_lS9_S7_lS8_T11_S7_li.num_named_barrier, 0
	.set _ZL29rocblas_internal_gemmt_kernelIlLi16ELi32ELi8ELc67ELc78ELc76ELb0ELb0EfPKfPKS1_PKPfEviT_T9_T10_S7_lS9_S7_lS8_T11_S7_li.private_seg_size, 0
	.set _ZL29rocblas_internal_gemmt_kernelIlLi16ELi32ELi8ELc67ELc78ELc76ELb0ELb0EfPKfPKS1_PKPfEviT_T9_T10_S7_lS9_S7_lS8_T11_S7_li.uses_vcc, 1
	.set _ZL29rocblas_internal_gemmt_kernelIlLi16ELi32ELi8ELc67ELc78ELc76ELb0ELb0EfPKfPKS1_PKPfEviT_T9_T10_S7_lS9_S7_lS8_T11_S7_li.uses_flat_scratch, 0
	.set _ZL29rocblas_internal_gemmt_kernelIlLi16ELi32ELi8ELc67ELc78ELc76ELb0ELb0EfPKfPKS1_PKPfEviT_T9_T10_S7_lS9_S7_lS8_T11_S7_li.has_dyn_sized_stack, 0
	.set _ZL29rocblas_internal_gemmt_kernelIlLi16ELi32ELi8ELc67ELc78ELc76ELb0ELb0EfPKfPKS1_PKPfEviT_T9_T10_S7_lS9_S7_lS8_T11_S7_li.has_recursion, 0
	.set _ZL29rocblas_internal_gemmt_kernelIlLi16ELi32ELi8ELc67ELc78ELc76ELb0ELb0EfPKfPKS1_PKPfEviT_T9_T10_S7_lS9_S7_lS8_T11_S7_li.has_indirect_call, 0
	.section	.AMDGPU.csdata,"",@progbits
; Kernel info:
; codeLenInByte = 1648
; TotalNumSgprs: 38
; NumVgprs: 56
; ScratchSize: 0
; MemoryBound: 0
; FloatMode: 240
; IeeeMode: 1
; LDSByteSize: 2048 bytes/workgroup (compile time only)
; SGPRBlocks: 0
; VGPRBlocks: 3
; NumSGPRsForWavesPerEU: 38
; NumVGPRsForWavesPerEU: 56
; NamedBarCnt: 0
; Occupancy: 16
; WaveLimiterHint : 1
; COMPUTE_PGM_RSRC2:SCRATCH_EN: 0
; COMPUTE_PGM_RSRC2:USER_SGPR: 2
; COMPUTE_PGM_RSRC2:TRAP_HANDLER: 0
; COMPUTE_PGM_RSRC2:TGID_X_EN: 1
; COMPUTE_PGM_RSRC2:TGID_Y_EN: 1
; COMPUTE_PGM_RSRC2:TGID_Z_EN: 1
; COMPUTE_PGM_RSRC2:TIDIG_COMP_CNT: 1
	.section	.text._ZL29rocblas_internal_gemmt_kernelIlLi16ELi32ELi8ELc67ELc84ELc76ELb0ELb0EfPKfPKS1_PKPfEviT_T9_T10_S7_lS9_S7_lS8_T11_S7_li,"axG",@progbits,_ZL29rocblas_internal_gemmt_kernelIlLi16ELi32ELi8ELc67ELc84ELc76ELb0ELb0EfPKfPKS1_PKPfEviT_T9_T10_S7_lS9_S7_lS8_T11_S7_li,comdat
	.globl	_ZL29rocblas_internal_gemmt_kernelIlLi16ELi32ELi8ELc67ELc84ELc76ELb0ELb0EfPKfPKS1_PKPfEviT_T9_T10_S7_lS9_S7_lS8_T11_S7_li ; -- Begin function _ZL29rocblas_internal_gemmt_kernelIlLi16ELi32ELi8ELc67ELc84ELc76ELb0ELb0EfPKfPKS1_PKPfEviT_T9_T10_S7_lS9_S7_lS8_T11_S7_li
	.p2align	8
	.type	_ZL29rocblas_internal_gemmt_kernelIlLi16ELi32ELi8ELc67ELc84ELc76ELb0ELb0EfPKfPKS1_PKPfEviT_T9_T10_S7_lS9_S7_lS8_T11_S7_li,@function
_ZL29rocblas_internal_gemmt_kernelIlLi16ELi32ELi8ELc67ELc84ELc76ELb0ELb0EfPKfPKS1_PKPfEviT_T9_T10_S7_lS9_S7_lS8_T11_S7_li: ; @_ZL29rocblas_internal_gemmt_kernelIlLi16ELi32ELi8ELc67ELc84ELc76ELb0ELb0EfPKfPKS1_PKPfEviT_T9_T10_S7_lS9_S7_lS8_T11_S7_li
; %bb.0:
	s_clause 0x1
	s_load_b256 s[24:31], s[0:1], 0x48
	s_load_b512 s[8:23], s[0:1], 0x8
	s_wait_kmcnt 0x0
	s_load_b32 s33, s[24:25], 0x0
	s_load_b32 s34, s[10:11], 0x0
	s_wait_kmcnt 0x0
	s_cmp_neq_f32 s33, 1.0
	s_cselect_b32 s2, -1, 0
	s_delay_alu instid0(SALU_CYCLE_1)
	s_and_b32 vcc_lo, exec_lo, s2
	s_cbranch_vccnz .LBB448_2
; %bb.1:
	s_cmp_lg_u64 s[8:9], 0
	s_cselect_b32 s2, -1, 0
	s_cmp_neq_f32 s34, 0
	s_cselect_b32 s3, -1, 0
	s_delay_alu instid0(SALU_CYCLE_1)
	s_and_b32 s2, s2, s3
.LBB448_2:
	s_delay_alu instid0(SALU_CYCLE_1)
	s_and_not1_b32 vcc_lo, exec_lo, s2
	s_cbranch_vccnz .LBB448_35
; %bb.3:
	s_load_b32 s24, s[0:1], 0x68
	s_bfe_u32 s2, ttmp6, 0x40014
	s_lshr_b32 s3, ttmp7, 16
	s_add_co_i32 s2, s2, 1
	s_bfe_u32 s5, ttmp6, 0x40008
	s_mul_i32 s4, s3, s2
	s_getreg_b32 s2, hwreg(HW_REG_IB_STS2, 6, 4)
	s_add_co_i32 s5, s5, s4
	s_cmp_eq_u32 s2, 0
	s_mov_b32 s7, 0
	s_cselect_b32 s6, s3, s5
	s_wait_kmcnt 0x0
	s_cmp_ge_u32 s6, s24
	s_cbranch_scc1 .LBB448_35
; %bb.4:
	s_load_b32 s4, s[0:1], 0x0
	s_wait_xcnt 0x0
	s_bfe_u32 s1, ttmp6, 0x4000c
	s_bfe_u32 s5, ttmp6, 0x40010
	s_and_b32 s3, ttmp7, 0xffff
	s_add_co_i32 s1, s1, 1
	s_add_co_i32 s5, s5, 1
	v_and_b32_e32 v14, 0x3ff, v0
	v_bfe_u32 v15, v0, 10, 10
	s_and_b32 s0, ttmp6, 15
	s_mul_i32 s1, ttmp9, s1
	s_mul_i32 s5, s3, s5
	s_bfe_u32 s10, ttmp6, 0x40004
	s_add_co_i32 s0, s0, s1
	s_add_co_i32 s10, s10, s5
	s_cmp_eq_u32 s2, 0
	v_lshl_add_u32 v1, v15, 4, v14
	s_cselect_b32 s1, s3, s10
	s_cselect_b32 s0, ttmp9, s0
	s_lshl_b32 s1, s1, 5
	s_delay_alu instid0(VALU_DEP_1) | instskip(SKIP_3) | instid1(VALU_DEP_3)
	v_dual_lshrrev_b32 v2, 5, v1 :: v_dual_bitop2_b32 v0, 7, v0 bitop3:0x40
	v_dual_lshrrev_b32 v1, 3, v1 :: v_dual_bitop2_b32 v3, 31, v1 bitop3:0x40
	v_add_nc_u32_e32 v16, s1, v15
	s_lshl_b32 s2, s0, 5
	v_lshlrev_b32_e32 v5, 2, v0
	s_cmp_neq_f32 s34, 0
	v_dual_add_nc_u32 v4, s1, v1 :: v_dual_bitop2_b32 v12, s2, v3 bitop3:0x54
	v_dual_add_nc_u32 v18, 16, v16 :: v_dual_ashrrev_i32 v17, 31, v16
	v_dual_lshlrev_b32 v3, 2, v3 :: v_dual_lshlrev_b32 v28, 2, v14
	s_delay_alu instid0(VALU_DEP_2) | instskip(NEXT) | instid1(VALU_DEP_3)
	v_dual_ashrrev_i32 v13, 31, v12 :: v_dual_ashrrev_i32 v19, 31, v18
	v_mul_u64_e32 v[8:9], s[28:29], v[16:17]
	s_wait_kmcnt 0x0
	v_cmp_gt_i32_e64 s0, s4, v12
	s_cselect_b32 s10, -1, 0
	v_mul_u64_e32 v[6:7], s[14:15], v[12:13]
	v_mul_u64_e32 v[10:11], s[28:29], v[18:19]
	v_add_nc_u32_e32 v12, s2, v14
	v_lshl_or_b32 v5, v1, 5, v5
	v_lshl_or_b32 v1, v2, 7, v3
	s_cmp_neq_f32 s33, 0
	v_cmp_gt_i64_e64 s11, s[8:9], 0
	v_dual_add_nc_u32 v14, 16, v12 :: v_dual_ashrrev_i32 v13, 31, v12
	v_add_nc_u32_e32 v3, 0x400, v5
	v_ashrrev_i32_e32 v5, 31, v4
	v_cmp_le_i32_e32 vcc_lo, v16, v12
	v_cmp_gt_i32_e64 s2, s4, v12
	v_cmp_gt_i32_e64 s1, s4, v4
	s_cselect_b32 s25, -1, 0
	v_cmp_le_i32_e64 s3, v16, v14
	v_cmp_gt_i32_e64 s4, s4, v14
	s_and_b32 s28, vcc_lo, s2
	v_cmp_le_i32_e32 vcc_lo, v18, v12
	v_cmp_le_i32_e64 s5, v18, v14
	v_lshl_add_u32 v29, v15, 5, 0x400
	v_dual_ashrrev_i32 v15, 31, v14 :: v_dual_mov_b32 v17, 0
	s_and_b32 s29, s3, s4
	s_and_b32 s35, vcc_lo, s2
	s_and_b32 s36, s5, s4
	s_and_b32 s37, s10, s11
	s_lshl_b64 s[2:3], s[22:23], 2
	s_lshl_b64 s[4:5], s[16:17], 2
	;; [unrolled: 1-line block ×3, first 2 shown]
	s_branch .LBB448_6
.LBB448_5:                              ;   in Loop: Header=BB448_6 Depth=1
	s_wait_xcnt 0x0
	s_or_b32 exec_lo, exec_lo, s14
	s_add_co_i32 s6, s6, 0x10000
	s_delay_alu instid0(SALU_CYCLE_1)
	s_cmp_lt_u32 s6, s24
	s_cbranch_scc0 .LBB448_35
.LBB448_6:                              ; =>This Loop Header: Depth=1
                                        ;     Child Loop BB448_9 Depth 2
	v_dual_mov_b32 v16, s6 :: v_dual_mov_b32 v23, v17
	v_dual_mov_b32 v22, v17 :: v_dual_mov_b32 v19, v17
	v_mov_b32_e32 v18, v17
	global_load_b64 v[20:21], v16, s[26:27] scale_offset
	s_and_not1_b32 vcc_lo, exec_lo, s37
	s_cbranch_vccnz .LBB448_15
; %bb.7:                                ;   in Loop: Header=BB448_6 Depth=1
	s_lshl_b64 s[14:15], s[6:7], 3
	v_mov_b32_e32 v18, 0
	s_add_nc_u64 s[16:17], s[12:13], s[14:15]
	s_add_nc_u64 s[14:15], s[18:19], s[14:15]
	s_clause 0x1
	global_load_b64 v[22:23], v17, s[16:17]
	global_load_b64 v[24:25], v17, s[14:15]
	s_wait_xcnt 0x0
	s_mov_b64 s[14:15], 0
	v_mov_b32_e32 v19, v18
	s_wait_loadcnt 0x1
	v_add_nc_u64_e32 v[26:27], s[4:5], v[22:23]
	s_wait_loadcnt 0x0
	v_add_nc_u64_e32 v[30:31], s[2:3], v[24:25]
	v_dual_mov_b32 v22, v18 :: v_dual_mov_b32 v23, v18
	s_delay_alu instid0(VALU_DEP_3) | instskip(NEXT) | instid1(VALU_DEP_3)
	v_lshl_add_u64 v[24:25], v[6:7], 2, v[26:27]
	v_lshl_add_u64 v[26:27], v[4:5], 2, v[30:31]
	s_branch .LBB448_9
.LBB448_8:                              ;   in Loop: Header=BB448_9 Depth=2
	s_wait_xcnt 0x0
	s_or_b32 exec_lo, exec_lo, s16
	s_wait_loadcnt_dscnt 0x0
	ds_store_b32 v3, v31
	s_wait_dscnt 0x0
	s_barrier_signal -1
	s_barrier_wait -1
	ds_load_b128 v[30:33], v29
	ds_load_2addr_b32 v[46:47], v28 offset1:16
	ds_load_b128 v[34:37], v29 offset:512
	ds_load_2addr_b32 v[48:49], v28 offset0:32 offset1:48
	ds_load_2addr_b32 v[50:51], v28 offset0:64 offset1:80
	;; [unrolled: 1-line block ×3, first 2 shown]
	ds_load_b128 v[38:41], v29 offset:16
	ds_load_2addr_b32 v[54:55], v28 offset0:128 offset1:144
	ds_load_b128 v[42:45], v29 offset:528
	s_add_nc_u64 s[14:15], s[14:15], 8
	s_delay_alu instid0(SALU_CYCLE_1)
	v_cmp_gt_i64_e64 s16, s[8:9], s[14:15]
	s_and_b32 vcc_lo, exec_lo, s16
	s_wait_dscnt 0x8
	v_mov_b32_e32 v16, v33
	s_wait_dscnt 0x7
	v_pk_fma_f32 v[22:23], v[46:47], v[30:31], v[22:23] op_sel_hi:[1,0,1]
	s_wait_dscnt 0x6
	v_pk_fma_f32 v[18:19], v[46:47], v[34:35], v[18:19] op_sel_hi:[1,0,1]
	ds_load_2addr_b32 v[46:47], v28 offset0:160 offset1:176
	s_wait_dscnt 0x6
	v_pk_fma_f32 v[22:23], v[48:49], v[30:31], v[22:23] op_sel:[0,1,0]
	v_pk_fma_f32 v[18:19], v[48:49], v[34:35], v[18:19] op_sel:[0,1,0]
	ds_load_2addr_b32 v[30:31], v28 offset0:192 offset1:208
	v_mov_b32_e32 v34, v37
	s_wait_dscnt 0x6
	v_pk_fma_f32 v[22:23], v[50:51], v[32:33], v[22:23] op_sel_hi:[1,0,1]
	v_pk_fma_f32 v[18:19], v[50:51], v[36:37], v[18:19] op_sel_hi:[1,0,1]
	ds_load_2addr_b32 v[32:33], v28 offset0:224 offset1:240
	s_wait_dscnt 0x0
	s_barrier_signal -1
	v_pk_fma_f32 v[22:23], v[52:53], v[16:17], v[22:23] op_sel_hi:[1,0,1]
	v_pk_fma_f32 v[18:19], v[52:53], v[34:35], v[18:19] op_sel_hi:[1,0,1]
	v_dual_mov_b32 v16, v41 :: v_dual_mov_b32 v34, v45
	s_barrier_wait -1
	s_delay_alu instid0(VALU_DEP_3) | instskip(NEXT) | instid1(VALU_DEP_3)
	v_pk_fma_f32 v[22:23], v[54:55], v[38:39], v[22:23] op_sel_hi:[1,0,1]
	v_pk_fma_f32 v[18:19], v[54:55], v[42:43], v[18:19] op_sel_hi:[1,0,1]
	s_delay_alu instid0(VALU_DEP_2) | instskip(NEXT) | instid1(VALU_DEP_2)
	v_pk_fma_f32 v[22:23], v[46:47], v[38:39], v[22:23] op_sel:[0,1,0]
	v_pk_fma_f32 v[18:19], v[46:47], v[42:43], v[18:19] op_sel:[0,1,0]
	s_delay_alu instid0(VALU_DEP_2) | instskip(NEXT) | instid1(VALU_DEP_2)
	v_pk_fma_f32 v[22:23], v[30:31], v[40:41], v[22:23] op_sel_hi:[1,0,1]
	v_pk_fma_f32 v[18:19], v[30:31], v[44:45], v[18:19] op_sel_hi:[1,0,1]
	s_delay_alu instid0(VALU_DEP_2) | instskip(NEXT) | instid1(VALU_DEP_2)
	v_pk_fma_f32 v[22:23], v[32:33], v[16:17], v[22:23] op_sel_hi:[1,0,1]
	v_pk_fma_f32 v[18:19], v[32:33], v[34:35], v[18:19] op_sel_hi:[1,0,1]
	s_cbranch_vccz .LBB448_15
.LBB448_9:                              ;   Parent Loop BB448_6 Depth=1
                                        ; =>  This Inner Loop Header: Depth=2
	v_mov_b32_e32 v30, 0
	s_and_saveexec_b32 s16, s0
	s_cbranch_execz .LBB448_13
; %bb.10:                               ;   in Loop: Header=BB448_9 Depth=2
	v_dual_add_nc_u32 v16, s14, v2 :: v_dual_mov_b32 v30, 0
	s_mov_b32 s17, exec_lo
	s_delay_alu instid0(VALU_DEP_1)
	v_cmpx_gt_u64_e64 s[8:9], v[16:17]
	s_cbranch_execz .LBB448_12
; %bb.11:                               ;   in Loop: Header=BB448_9 Depth=2
	v_lshl_add_u64 v[30:31], v[16:17], 2, v[24:25]
	flat_load_b32 v30, v[30:31]
.LBB448_12:                             ;   in Loop: Header=BB448_9 Depth=2
	s_wait_xcnt 0x0
	s_or_b32 exec_lo, exec_lo, s17
.LBB448_13:                             ;   in Loop: Header=BB448_9 Depth=2
	s_delay_alu instid0(SALU_CYCLE_1)
	s_or_b32 exec_lo, exec_lo, s16
	v_dual_mov_b32 v31, 0 :: v_dual_add_nc_u32 v16, s14, v0
	s_wait_loadcnt_dscnt 0x0
	ds_store_b32 v1, v30
	v_cmp_gt_u64_e32 vcc_lo, s[8:9], v[16:17]
	s_and_b32 s17, vcc_lo, s1
	s_delay_alu instid0(SALU_CYCLE_1)
	s_and_saveexec_b32 s16, s17
	s_cbranch_execz .LBB448_8
; %bb.14:                               ;   in Loop: Header=BB448_9 Depth=2
	v_mul_u64_e32 v[30:31], s[20:21], v[16:17]
	s_delay_alu instid0(VALU_DEP_1)
	v_lshl_add_u64 v[30:31], v[30:31], 2, v[26:27]
	flat_load_b32 v31, v[30:31]
	s_branch .LBB448_8
.LBB448_15:                             ;   in Loop: Header=BB448_6 Depth=1
	s_wait_loadcnt 0x0
	v_add_nc_u64_e32 v[20:21], s[10:11], v[20:21]
	s_delay_alu instid0(VALU_DEP_1)
	v_lshl_add_u64 v[24:25], v[8:9], 2, v[20:21]
	s_wait_xcnt 0x0
	s_and_saveexec_b32 s14, s28
	s_cbranch_execz .LBB448_19
; %bb.16:                               ;   in Loop: Header=BB448_6 Depth=1
	v_mul_f32_e32 v16, s34, v22
	v_lshl_add_u64 v[26:27], v[12:13], 2, v[24:25]
	s_and_b32 vcc_lo, exec_lo, s25
	s_cbranch_vccz .LBB448_30
; %bb.17:                               ;   in Loop: Header=BB448_6 Depth=1
	flat_load_b32 v22, v[26:27]
	s_wait_loadcnt_dscnt 0x0
	v_fma_f32 v22, s33, v22, v16
	flat_store_b32 v[26:27], v22
	s_cbranch_execnz .LBB448_19
.LBB448_18:                             ;   in Loop: Header=BB448_6 Depth=1
	flat_store_b32 v[26:27], v16
.LBB448_19:                             ;   in Loop: Header=BB448_6 Depth=1
	s_wait_xcnt 0x0
	s_or_b32 exec_lo, exec_lo, s14
	s_and_saveexec_b32 s14, s29
	s_cbranch_execz .LBB448_23
; %bb.20:                               ;   in Loop: Header=BB448_6 Depth=1
	v_mul_f32_e32 v16, s34, v23
	v_lshl_add_u64 v[22:23], v[14:15], 2, v[24:25]
	s_and_not1_b32 vcc_lo, exec_lo, s25
	s_cbranch_vccnz .LBB448_31
; %bb.21:                               ;   in Loop: Header=BB448_6 Depth=1
	flat_load_b32 v24, v[22:23]
	s_wait_loadcnt_dscnt 0x0
	v_fma_f32 v24, s33, v24, v16
	flat_store_b32 v[22:23], v24
	s_cbranch_execnz .LBB448_23
.LBB448_22:                             ;   in Loop: Header=BB448_6 Depth=1
	flat_store_b32 v[22:23], v16
.LBB448_23:                             ;   in Loop: Header=BB448_6 Depth=1
	s_wait_xcnt 0x0
	s_or_b32 exec_lo, exec_lo, s14
	v_lshl_add_u64 v[20:21], v[10:11], 2, v[20:21]
	s_and_saveexec_b32 s14, s35
	s_cbranch_execz .LBB448_27
; %bb.24:                               ;   in Loop: Header=BB448_6 Depth=1
	v_mul_f32_e32 v16, s34, v18
	s_delay_alu instid0(VALU_DEP_2)
	v_lshl_add_u64 v[22:23], v[12:13], 2, v[20:21]
	s_and_not1_b32 vcc_lo, exec_lo, s25
	s_cbranch_vccnz .LBB448_32
; %bb.25:                               ;   in Loop: Header=BB448_6 Depth=1
	flat_load_b32 v18, v[22:23]
	s_wait_loadcnt_dscnt 0x0
	v_fma_f32 v18, s33, v18, v16
	flat_store_b32 v[22:23], v18
	s_cbranch_execnz .LBB448_27
.LBB448_26:                             ;   in Loop: Header=BB448_6 Depth=1
	flat_store_b32 v[22:23], v16
.LBB448_27:                             ;   in Loop: Header=BB448_6 Depth=1
	s_wait_xcnt 0x0
	s_or_b32 exec_lo, exec_lo, s14
	s_and_saveexec_b32 s14, s36
	s_cbranch_execz .LBB448_5
; %bb.28:                               ;   in Loop: Header=BB448_6 Depth=1
	v_mul_f32_e32 v16, s34, v19
	v_lshl_add_u64 v[18:19], v[14:15], 2, v[20:21]
	s_and_not1_b32 vcc_lo, exec_lo, s25
	s_cbranch_vccnz .LBB448_33
; %bb.29:                               ;   in Loop: Header=BB448_6 Depth=1
	flat_load_b32 v20, v[18:19]
	s_wait_loadcnt_dscnt 0x0
	v_fma_f32 v20, s33, v20, v16
	flat_store_b32 v[18:19], v20
	s_cbranch_execnz .LBB448_5
	s_branch .LBB448_34
.LBB448_30:                             ;   in Loop: Header=BB448_6 Depth=1
	s_branch .LBB448_18
.LBB448_31:                             ;   in Loop: Header=BB448_6 Depth=1
	s_branch .LBB448_22
.LBB448_32:                             ;   in Loop: Header=BB448_6 Depth=1
	s_branch .LBB448_26
.LBB448_33:                             ;   in Loop: Header=BB448_6 Depth=1
.LBB448_34:                             ;   in Loop: Header=BB448_6 Depth=1
	flat_store_b32 v[18:19], v16
	s_branch .LBB448_5
.LBB448_35:
	s_endpgm
	.section	.rodata,"a",@progbits
	.p2align	6, 0x0
	.amdhsa_kernel _ZL29rocblas_internal_gemmt_kernelIlLi16ELi32ELi8ELc67ELc84ELc76ELb0ELb0EfPKfPKS1_PKPfEviT_T9_T10_S7_lS9_S7_lS8_T11_S7_li
		.amdhsa_group_segment_fixed_size 2048
		.amdhsa_private_segment_fixed_size 0
		.amdhsa_kernarg_size 108
		.amdhsa_user_sgpr_count 2
		.amdhsa_user_sgpr_dispatch_ptr 0
		.amdhsa_user_sgpr_queue_ptr 0
		.amdhsa_user_sgpr_kernarg_segment_ptr 1
		.amdhsa_user_sgpr_dispatch_id 0
		.amdhsa_user_sgpr_kernarg_preload_length 0
		.amdhsa_user_sgpr_kernarg_preload_offset 0
		.amdhsa_user_sgpr_private_segment_size 0
		.amdhsa_wavefront_size32 1
		.amdhsa_uses_dynamic_stack 0
		.amdhsa_enable_private_segment 0
		.amdhsa_system_sgpr_workgroup_id_x 1
		.amdhsa_system_sgpr_workgroup_id_y 1
		.amdhsa_system_sgpr_workgroup_id_z 1
		.amdhsa_system_sgpr_workgroup_info 0
		.amdhsa_system_vgpr_workitem_id 1
		.amdhsa_next_free_vgpr 56
		.amdhsa_next_free_sgpr 38
		.amdhsa_named_barrier_count 0
		.amdhsa_reserve_vcc 1
		.amdhsa_float_round_mode_32 0
		.amdhsa_float_round_mode_16_64 0
		.amdhsa_float_denorm_mode_32 3
		.amdhsa_float_denorm_mode_16_64 3
		.amdhsa_fp16_overflow 0
		.amdhsa_memory_ordered 1
		.amdhsa_forward_progress 1
		.amdhsa_inst_pref_size 13
		.amdhsa_round_robin_scheduling 0
		.amdhsa_exception_fp_ieee_invalid_op 0
		.amdhsa_exception_fp_denorm_src 0
		.amdhsa_exception_fp_ieee_div_zero 0
		.amdhsa_exception_fp_ieee_overflow 0
		.amdhsa_exception_fp_ieee_underflow 0
		.amdhsa_exception_fp_ieee_inexact 0
		.amdhsa_exception_int_div_zero 0
	.end_amdhsa_kernel
	.section	.text._ZL29rocblas_internal_gemmt_kernelIlLi16ELi32ELi8ELc67ELc84ELc76ELb0ELb0EfPKfPKS1_PKPfEviT_T9_T10_S7_lS9_S7_lS8_T11_S7_li,"axG",@progbits,_ZL29rocblas_internal_gemmt_kernelIlLi16ELi32ELi8ELc67ELc84ELc76ELb0ELb0EfPKfPKS1_PKPfEviT_T9_T10_S7_lS9_S7_lS8_T11_S7_li,comdat
.Lfunc_end448:
	.size	_ZL29rocblas_internal_gemmt_kernelIlLi16ELi32ELi8ELc67ELc84ELc76ELb0ELb0EfPKfPKS1_PKPfEviT_T9_T10_S7_lS9_S7_lS8_T11_S7_li, .Lfunc_end448-_ZL29rocblas_internal_gemmt_kernelIlLi16ELi32ELi8ELc67ELc84ELc76ELb0ELb0EfPKfPKS1_PKPfEviT_T9_T10_S7_lS9_S7_lS8_T11_S7_li
                                        ; -- End function
	.set _ZL29rocblas_internal_gemmt_kernelIlLi16ELi32ELi8ELc67ELc84ELc76ELb0ELb0EfPKfPKS1_PKPfEviT_T9_T10_S7_lS9_S7_lS8_T11_S7_li.num_vgpr, 56
	.set _ZL29rocblas_internal_gemmt_kernelIlLi16ELi32ELi8ELc67ELc84ELc76ELb0ELb0EfPKfPKS1_PKPfEviT_T9_T10_S7_lS9_S7_lS8_T11_S7_li.num_agpr, 0
	.set _ZL29rocblas_internal_gemmt_kernelIlLi16ELi32ELi8ELc67ELc84ELc76ELb0ELb0EfPKfPKS1_PKPfEviT_T9_T10_S7_lS9_S7_lS8_T11_S7_li.numbered_sgpr, 38
	.set _ZL29rocblas_internal_gemmt_kernelIlLi16ELi32ELi8ELc67ELc84ELc76ELb0ELb0EfPKfPKS1_PKPfEviT_T9_T10_S7_lS9_S7_lS8_T11_S7_li.num_named_barrier, 0
	.set _ZL29rocblas_internal_gemmt_kernelIlLi16ELi32ELi8ELc67ELc84ELc76ELb0ELb0EfPKfPKS1_PKPfEviT_T9_T10_S7_lS9_S7_lS8_T11_S7_li.private_seg_size, 0
	.set _ZL29rocblas_internal_gemmt_kernelIlLi16ELi32ELi8ELc67ELc84ELc76ELb0ELb0EfPKfPKS1_PKPfEviT_T9_T10_S7_lS9_S7_lS8_T11_S7_li.uses_vcc, 1
	.set _ZL29rocblas_internal_gemmt_kernelIlLi16ELi32ELi8ELc67ELc84ELc76ELb0ELb0EfPKfPKS1_PKPfEviT_T9_T10_S7_lS9_S7_lS8_T11_S7_li.uses_flat_scratch, 0
	.set _ZL29rocblas_internal_gemmt_kernelIlLi16ELi32ELi8ELc67ELc84ELc76ELb0ELb0EfPKfPKS1_PKPfEviT_T9_T10_S7_lS9_S7_lS8_T11_S7_li.has_dyn_sized_stack, 0
	.set _ZL29rocblas_internal_gemmt_kernelIlLi16ELi32ELi8ELc67ELc84ELc76ELb0ELb0EfPKfPKS1_PKPfEviT_T9_T10_S7_lS9_S7_lS8_T11_S7_li.has_recursion, 0
	.set _ZL29rocblas_internal_gemmt_kernelIlLi16ELi32ELi8ELc67ELc84ELc76ELb0ELb0EfPKfPKS1_PKPfEviT_T9_T10_S7_lS9_S7_lS8_T11_S7_li.has_indirect_call, 0
	.section	.AMDGPU.csdata,"",@progbits
; Kernel info:
; codeLenInByte = 1648
; TotalNumSgprs: 40
; NumVgprs: 56
; ScratchSize: 0
; MemoryBound: 0
; FloatMode: 240
; IeeeMode: 1
; LDSByteSize: 2048 bytes/workgroup (compile time only)
; SGPRBlocks: 0
; VGPRBlocks: 3
; NumSGPRsForWavesPerEU: 40
; NumVGPRsForWavesPerEU: 56
; NamedBarCnt: 0
; Occupancy: 16
; WaveLimiterHint : 1
; COMPUTE_PGM_RSRC2:SCRATCH_EN: 0
; COMPUTE_PGM_RSRC2:USER_SGPR: 2
; COMPUTE_PGM_RSRC2:TRAP_HANDLER: 0
; COMPUTE_PGM_RSRC2:TGID_X_EN: 1
; COMPUTE_PGM_RSRC2:TGID_Y_EN: 1
; COMPUTE_PGM_RSRC2:TGID_Z_EN: 1
; COMPUTE_PGM_RSRC2:TIDIG_COMP_CNT: 1
	.section	.text._ZL29rocblas_internal_gemmt_kernelIlLi16ELi32ELi8ELc67ELc67ELc76ELb0ELb0EfPKfPKS1_PKPfEviT_T9_T10_S7_lS9_S7_lS8_T11_S7_li,"axG",@progbits,_ZL29rocblas_internal_gemmt_kernelIlLi16ELi32ELi8ELc67ELc67ELc76ELb0ELb0EfPKfPKS1_PKPfEviT_T9_T10_S7_lS9_S7_lS8_T11_S7_li,comdat
	.globl	_ZL29rocblas_internal_gemmt_kernelIlLi16ELi32ELi8ELc67ELc67ELc76ELb0ELb0EfPKfPKS1_PKPfEviT_T9_T10_S7_lS9_S7_lS8_T11_S7_li ; -- Begin function _ZL29rocblas_internal_gemmt_kernelIlLi16ELi32ELi8ELc67ELc67ELc76ELb0ELb0EfPKfPKS1_PKPfEviT_T9_T10_S7_lS9_S7_lS8_T11_S7_li
	.p2align	8
	.type	_ZL29rocblas_internal_gemmt_kernelIlLi16ELi32ELi8ELc67ELc67ELc76ELb0ELb0EfPKfPKS1_PKPfEviT_T9_T10_S7_lS9_S7_lS8_T11_S7_li,@function
_ZL29rocblas_internal_gemmt_kernelIlLi16ELi32ELi8ELc67ELc67ELc76ELb0ELb0EfPKfPKS1_PKPfEviT_T9_T10_S7_lS9_S7_lS8_T11_S7_li: ; @_ZL29rocblas_internal_gemmt_kernelIlLi16ELi32ELi8ELc67ELc67ELc76ELb0ELb0EfPKfPKS1_PKPfEviT_T9_T10_S7_lS9_S7_lS8_T11_S7_li
; %bb.0:
	s_clause 0x1
	s_load_b256 s[24:31], s[0:1], 0x48
	s_load_b512 s[8:23], s[0:1], 0x8
	s_wait_kmcnt 0x0
	s_load_b32 s33, s[24:25], 0x0
	s_load_b32 s34, s[10:11], 0x0
	s_wait_kmcnt 0x0
	s_cmp_neq_f32 s33, 1.0
	s_cselect_b32 s2, -1, 0
	s_delay_alu instid0(SALU_CYCLE_1)
	s_and_b32 vcc_lo, exec_lo, s2
	s_cbranch_vccnz .LBB449_2
; %bb.1:
	s_cmp_lg_u64 s[8:9], 0
	s_cselect_b32 s2, -1, 0
	s_cmp_neq_f32 s34, 0
	s_cselect_b32 s3, -1, 0
	s_delay_alu instid0(SALU_CYCLE_1)
	s_and_b32 s2, s2, s3
.LBB449_2:
	s_delay_alu instid0(SALU_CYCLE_1)
	s_and_not1_b32 vcc_lo, exec_lo, s2
	s_cbranch_vccnz .LBB449_35
; %bb.3:
	s_load_b32 s24, s[0:1], 0x68
	s_bfe_u32 s2, ttmp6, 0x40014
	s_lshr_b32 s3, ttmp7, 16
	s_add_co_i32 s2, s2, 1
	s_bfe_u32 s5, ttmp6, 0x40008
	s_mul_i32 s4, s3, s2
	s_getreg_b32 s2, hwreg(HW_REG_IB_STS2, 6, 4)
	s_add_co_i32 s5, s5, s4
	s_cmp_eq_u32 s2, 0
	s_mov_b32 s7, 0
	s_cselect_b32 s6, s3, s5
	s_wait_kmcnt 0x0
	s_cmp_ge_u32 s6, s24
	s_cbranch_scc1 .LBB449_35
; %bb.4:
	s_load_b32 s4, s[0:1], 0x0
	s_wait_xcnt 0x0
	s_bfe_u32 s1, ttmp6, 0x4000c
	s_bfe_u32 s5, ttmp6, 0x40010
	s_and_b32 s3, ttmp7, 0xffff
	s_add_co_i32 s1, s1, 1
	s_add_co_i32 s5, s5, 1
	v_and_b32_e32 v14, 0x3ff, v0
	v_bfe_u32 v15, v0, 10, 10
	s_and_b32 s0, ttmp6, 15
	s_mul_i32 s1, ttmp9, s1
	s_mul_i32 s5, s3, s5
	s_bfe_u32 s10, ttmp6, 0x40004
	s_add_co_i32 s0, s0, s1
	s_add_co_i32 s10, s10, s5
	s_cmp_eq_u32 s2, 0
	v_lshl_add_u32 v1, v15, 4, v14
	s_cselect_b32 s1, s3, s10
	s_cselect_b32 s0, ttmp9, s0
	s_lshl_b32 s1, s1, 5
	s_delay_alu instid0(VALU_DEP_1) | instskip(SKIP_3) | instid1(VALU_DEP_3)
	v_dual_lshrrev_b32 v2, 5, v1 :: v_dual_bitop2_b32 v0, 7, v0 bitop3:0x40
	v_dual_lshrrev_b32 v1, 3, v1 :: v_dual_bitop2_b32 v3, 31, v1 bitop3:0x40
	v_add_nc_u32_e32 v16, s1, v15
	s_lshl_b32 s2, s0, 5
	v_lshlrev_b32_e32 v5, 2, v0
	s_cmp_neq_f32 s34, 0
	v_dual_add_nc_u32 v4, s1, v1 :: v_dual_bitop2_b32 v12, s2, v3 bitop3:0x54
	v_dual_add_nc_u32 v18, 16, v16 :: v_dual_ashrrev_i32 v17, 31, v16
	v_dual_lshlrev_b32 v3, 2, v3 :: v_dual_lshlrev_b32 v28, 2, v14
	s_delay_alu instid0(VALU_DEP_2) | instskip(NEXT) | instid1(VALU_DEP_3)
	v_dual_ashrrev_i32 v13, 31, v12 :: v_dual_ashrrev_i32 v19, 31, v18
	v_mul_u64_e32 v[8:9], s[28:29], v[16:17]
	s_wait_kmcnt 0x0
	v_cmp_gt_i32_e64 s0, s4, v12
	s_cselect_b32 s10, -1, 0
	v_mul_u64_e32 v[6:7], s[14:15], v[12:13]
	v_mul_u64_e32 v[10:11], s[28:29], v[18:19]
	v_add_nc_u32_e32 v12, s2, v14
	v_lshl_or_b32 v5, v1, 5, v5
	v_lshl_or_b32 v1, v2, 7, v3
	s_cmp_neq_f32 s33, 0
	v_cmp_gt_i64_e64 s11, s[8:9], 0
	v_dual_add_nc_u32 v14, 16, v12 :: v_dual_ashrrev_i32 v13, 31, v12
	v_add_nc_u32_e32 v3, 0x400, v5
	v_ashrrev_i32_e32 v5, 31, v4
	v_cmp_le_i32_e32 vcc_lo, v16, v12
	v_cmp_gt_i32_e64 s2, s4, v12
	v_cmp_gt_i32_e64 s1, s4, v4
	s_cselect_b32 s25, -1, 0
	v_cmp_le_i32_e64 s3, v16, v14
	v_cmp_gt_i32_e64 s4, s4, v14
	s_and_b32 s28, vcc_lo, s2
	v_cmp_le_i32_e32 vcc_lo, v18, v12
	v_cmp_le_i32_e64 s5, v18, v14
	v_lshl_add_u32 v29, v15, 5, 0x400
	v_dual_ashrrev_i32 v15, 31, v14 :: v_dual_mov_b32 v17, 0
	s_and_b32 s29, s3, s4
	s_and_b32 s35, vcc_lo, s2
	s_and_b32 s36, s5, s4
	s_and_b32 s37, s10, s11
	s_lshl_b64 s[2:3], s[22:23], 2
	s_lshl_b64 s[4:5], s[16:17], 2
	;; [unrolled: 1-line block ×3, first 2 shown]
	s_branch .LBB449_6
.LBB449_5:                              ;   in Loop: Header=BB449_6 Depth=1
	s_wait_xcnt 0x0
	s_or_b32 exec_lo, exec_lo, s14
	s_add_co_i32 s6, s6, 0x10000
	s_delay_alu instid0(SALU_CYCLE_1)
	s_cmp_lt_u32 s6, s24
	s_cbranch_scc0 .LBB449_35
.LBB449_6:                              ; =>This Loop Header: Depth=1
                                        ;     Child Loop BB449_9 Depth 2
	v_dual_mov_b32 v16, s6 :: v_dual_mov_b32 v23, v17
	v_dual_mov_b32 v22, v17 :: v_dual_mov_b32 v19, v17
	v_mov_b32_e32 v18, v17
	global_load_b64 v[20:21], v16, s[26:27] scale_offset
	s_and_not1_b32 vcc_lo, exec_lo, s37
	s_cbranch_vccnz .LBB449_15
; %bb.7:                                ;   in Loop: Header=BB449_6 Depth=1
	s_lshl_b64 s[14:15], s[6:7], 3
	v_mov_b32_e32 v18, 0
	s_add_nc_u64 s[16:17], s[12:13], s[14:15]
	s_add_nc_u64 s[14:15], s[18:19], s[14:15]
	s_clause 0x1
	global_load_b64 v[22:23], v17, s[16:17]
	global_load_b64 v[24:25], v17, s[14:15]
	s_wait_xcnt 0x0
	s_mov_b64 s[14:15], 0
	v_mov_b32_e32 v19, v18
	s_wait_loadcnt 0x1
	v_add_nc_u64_e32 v[26:27], s[4:5], v[22:23]
	s_wait_loadcnt 0x0
	v_add_nc_u64_e32 v[30:31], s[2:3], v[24:25]
	v_dual_mov_b32 v22, v18 :: v_dual_mov_b32 v23, v18
	s_delay_alu instid0(VALU_DEP_3) | instskip(NEXT) | instid1(VALU_DEP_3)
	v_lshl_add_u64 v[24:25], v[6:7], 2, v[26:27]
	v_lshl_add_u64 v[26:27], v[4:5], 2, v[30:31]
	s_branch .LBB449_9
.LBB449_8:                              ;   in Loop: Header=BB449_9 Depth=2
	s_wait_xcnt 0x0
	s_or_b32 exec_lo, exec_lo, s16
	s_wait_loadcnt_dscnt 0x0
	ds_store_b32 v3, v31
	s_wait_dscnt 0x0
	s_barrier_signal -1
	s_barrier_wait -1
	ds_load_b128 v[30:33], v29
	ds_load_2addr_b32 v[46:47], v28 offset1:16
	ds_load_b128 v[34:37], v29 offset:512
	ds_load_2addr_b32 v[48:49], v28 offset0:32 offset1:48
	ds_load_2addr_b32 v[50:51], v28 offset0:64 offset1:80
	;; [unrolled: 1-line block ×3, first 2 shown]
	ds_load_b128 v[38:41], v29 offset:16
	ds_load_2addr_b32 v[54:55], v28 offset0:128 offset1:144
	ds_load_b128 v[42:45], v29 offset:528
	s_add_nc_u64 s[14:15], s[14:15], 8
	s_delay_alu instid0(SALU_CYCLE_1)
	v_cmp_gt_i64_e64 s16, s[8:9], s[14:15]
	s_and_b32 vcc_lo, exec_lo, s16
	s_wait_dscnt 0x8
	v_mov_b32_e32 v16, v33
	s_wait_dscnt 0x7
	v_pk_fma_f32 v[22:23], v[46:47], v[30:31], v[22:23] op_sel_hi:[1,0,1]
	s_wait_dscnt 0x6
	v_pk_fma_f32 v[18:19], v[46:47], v[34:35], v[18:19] op_sel_hi:[1,0,1]
	ds_load_2addr_b32 v[46:47], v28 offset0:160 offset1:176
	s_wait_dscnt 0x6
	v_pk_fma_f32 v[22:23], v[48:49], v[30:31], v[22:23] op_sel:[0,1,0]
	v_pk_fma_f32 v[18:19], v[48:49], v[34:35], v[18:19] op_sel:[0,1,0]
	ds_load_2addr_b32 v[30:31], v28 offset0:192 offset1:208
	v_mov_b32_e32 v34, v37
	s_wait_dscnt 0x6
	v_pk_fma_f32 v[22:23], v[50:51], v[32:33], v[22:23] op_sel_hi:[1,0,1]
	v_pk_fma_f32 v[18:19], v[50:51], v[36:37], v[18:19] op_sel_hi:[1,0,1]
	ds_load_2addr_b32 v[32:33], v28 offset0:224 offset1:240
	s_wait_dscnt 0x0
	s_barrier_signal -1
	v_pk_fma_f32 v[22:23], v[52:53], v[16:17], v[22:23] op_sel_hi:[1,0,1]
	v_pk_fma_f32 v[18:19], v[52:53], v[34:35], v[18:19] op_sel_hi:[1,0,1]
	v_dual_mov_b32 v16, v41 :: v_dual_mov_b32 v34, v45
	s_barrier_wait -1
	s_delay_alu instid0(VALU_DEP_3) | instskip(NEXT) | instid1(VALU_DEP_3)
	v_pk_fma_f32 v[22:23], v[54:55], v[38:39], v[22:23] op_sel_hi:[1,0,1]
	v_pk_fma_f32 v[18:19], v[54:55], v[42:43], v[18:19] op_sel_hi:[1,0,1]
	s_delay_alu instid0(VALU_DEP_2) | instskip(NEXT) | instid1(VALU_DEP_2)
	v_pk_fma_f32 v[22:23], v[46:47], v[38:39], v[22:23] op_sel:[0,1,0]
	v_pk_fma_f32 v[18:19], v[46:47], v[42:43], v[18:19] op_sel:[0,1,0]
	s_delay_alu instid0(VALU_DEP_2) | instskip(NEXT) | instid1(VALU_DEP_2)
	v_pk_fma_f32 v[22:23], v[30:31], v[40:41], v[22:23] op_sel_hi:[1,0,1]
	v_pk_fma_f32 v[18:19], v[30:31], v[44:45], v[18:19] op_sel_hi:[1,0,1]
	s_delay_alu instid0(VALU_DEP_2) | instskip(NEXT) | instid1(VALU_DEP_2)
	v_pk_fma_f32 v[22:23], v[32:33], v[16:17], v[22:23] op_sel_hi:[1,0,1]
	v_pk_fma_f32 v[18:19], v[32:33], v[34:35], v[18:19] op_sel_hi:[1,0,1]
	s_cbranch_vccz .LBB449_15
.LBB449_9:                              ;   Parent Loop BB449_6 Depth=1
                                        ; =>  This Inner Loop Header: Depth=2
	v_mov_b32_e32 v30, 0
	s_and_saveexec_b32 s16, s0
	s_cbranch_execz .LBB449_13
; %bb.10:                               ;   in Loop: Header=BB449_9 Depth=2
	v_dual_add_nc_u32 v16, s14, v2 :: v_dual_mov_b32 v30, 0
	s_mov_b32 s17, exec_lo
	s_delay_alu instid0(VALU_DEP_1)
	v_cmpx_gt_u64_e64 s[8:9], v[16:17]
	s_cbranch_execz .LBB449_12
; %bb.11:                               ;   in Loop: Header=BB449_9 Depth=2
	v_lshl_add_u64 v[30:31], v[16:17], 2, v[24:25]
	flat_load_b32 v30, v[30:31]
.LBB449_12:                             ;   in Loop: Header=BB449_9 Depth=2
	s_wait_xcnt 0x0
	s_or_b32 exec_lo, exec_lo, s17
.LBB449_13:                             ;   in Loop: Header=BB449_9 Depth=2
	s_delay_alu instid0(SALU_CYCLE_1)
	s_or_b32 exec_lo, exec_lo, s16
	v_dual_mov_b32 v31, 0 :: v_dual_add_nc_u32 v16, s14, v0
	s_wait_loadcnt_dscnt 0x0
	ds_store_b32 v1, v30
	v_cmp_gt_u64_e32 vcc_lo, s[8:9], v[16:17]
	s_and_b32 s17, vcc_lo, s1
	s_delay_alu instid0(SALU_CYCLE_1)
	s_and_saveexec_b32 s16, s17
	s_cbranch_execz .LBB449_8
; %bb.14:                               ;   in Loop: Header=BB449_9 Depth=2
	v_mul_u64_e32 v[30:31], s[20:21], v[16:17]
	s_delay_alu instid0(VALU_DEP_1)
	v_lshl_add_u64 v[30:31], v[30:31], 2, v[26:27]
	flat_load_b32 v31, v[30:31]
	s_branch .LBB449_8
.LBB449_15:                             ;   in Loop: Header=BB449_6 Depth=1
	s_wait_loadcnt 0x0
	v_add_nc_u64_e32 v[20:21], s[10:11], v[20:21]
	s_delay_alu instid0(VALU_DEP_1)
	v_lshl_add_u64 v[24:25], v[8:9], 2, v[20:21]
	s_wait_xcnt 0x0
	s_and_saveexec_b32 s14, s28
	s_cbranch_execz .LBB449_19
; %bb.16:                               ;   in Loop: Header=BB449_6 Depth=1
	v_mul_f32_e32 v16, s34, v22
	v_lshl_add_u64 v[26:27], v[12:13], 2, v[24:25]
	s_and_b32 vcc_lo, exec_lo, s25
	s_cbranch_vccz .LBB449_30
; %bb.17:                               ;   in Loop: Header=BB449_6 Depth=1
	flat_load_b32 v22, v[26:27]
	s_wait_loadcnt_dscnt 0x0
	v_fma_f32 v22, s33, v22, v16
	flat_store_b32 v[26:27], v22
	s_cbranch_execnz .LBB449_19
.LBB449_18:                             ;   in Loop: Header=BB449_6 Depth=1
	flat_store_b32 v[26:27], v16
.LBB449_19:                             ;   in Loop: Header=BB449_6 Depth=1
	s_wait_xcnt 0x0
	s_or_b32 exec_lo, exec_lo, s14
	s_and_saveexec_b32 s14, s29
	s_cbranch_execz .LBB449_23
; %bb.20:                               ;   in Loop: Header=BB449_6 Depth=1
	v_mul_f32_e32 v16, s34, v23
	v_lshl_add_u64 v[22:23], v[14:15], 2, v[24:25]
	s_and_not1_b32 vcc_lo, exec_lo, s25
	s_cbranch_vccnz .LBB449_31
; %bb.21:                               ;   in Loop: Header=BB449_6 Depth=1
	flat_load_b32 v24, v[22:23]
	s_wait_loadcnt_dscnt 0x0
	v_fma_f32 v24, s33, v24, v16
	flat_store_b32 v[22:23], v24
	s_cbranch_execnz .LBB449_23
.LBB449_22:                             ;   in Loop: Header=BB449_6 Depth=1
	flat_store_b32 v[22:23], v16
.LBB449_23:                             ;   in Loop: Header=BB449_6 Depth=1
	s_wait_xcnt 0x0
	s_or_b32 exec_lo, exec_lo, s14
	v_lshl_add_u64 v[20:21], v[10:11], 2, v[20:21]
	s_and_saveexec_b32 s14, s35
	s_cbranch_execz .LBB449_27
; %bb.24:                               ;   in Loop: Header=BB449_6 Depth=1
	v_mul_f32_e32 v16, s34, v18
	s_delay_alu instid0(VALU_DEP_2)
	v_lshl_add_u64 v[22:23], v[12:13], 2, v[20:21]
	s_and_not1_b32 vcc_lo, exec_lo, s25
	s_cbranch_vccnz .LBB449_32
; %bb.25:                               ;   in Loop: Header=BB449_6 Depth=1
	flat_load_b32 v18, v[22:23]
	s_wait_loadcnt_dscnt 0x0
	v_fma_f32 v18, s33, v18, v16
	flat_store_b32 v[22:23], v18
	s_cbranch_execnz .LBB449_27
.LBB449_26:                             ;   in Loop: Header=BB449_6 Depth=1
	flat_store_b32 v[22:23], v16
.LBB449_27:                             ;   in Loop: Header=BB449_6 Depth=1
	s_wait_xcnt 0x0
	s_or_b32 exec_lo, exec_lo, s14
	s_and_saveexec_b32 s14, s36
	s_cbranch_execz .LBB449_5
; %bb.28:                               ;   in Loop: Header=BB449_6 Depth=1
	v_mul_f32_e32 v16, s34, v19
	v_lshl_add_u64 v[18:19], v[14:15], 2, v[20:21]
	s_and_not1_b32 vcc_lo, exec_lo, s25
	s_cbranch_vccnz .LBB449_33
; %bb.29:                               ;   in Loop: Header=BB449_6 Depth=1
	flat_load_b32 v20, v[18:19]
	s_wait_loadcnt_dscnt 0x0
	v_fma_f32 v20, s33, v20, v16
	flat_store_b32 v[18:19], v20
	s_cbranch_execnz .LBB449_5
	s_branch .LBB449_34
.LBB449_30:                             ;   in Loop: Header=BB449_6 Depth=1
	s_branch .LBB449_18
.LBB449_31:                             ;   in Loop: Header=BB449_6 Depth=1
	s_branch .LBB449_22
.LBB449_32:                             ;   in Loop: Header=BB449_6 Depth=1
	s_branch .LBB449_26
.LBB449_33:                             ;   in Loop: Header=BB449_6 Depth=1
.LBB449_34:                             ;   in Loop: Header=BB449_6 Depth=1
	flat_store_b32 v[18:19], v16
	s_branch .LBB449_5
.LBB449_35:
	s_endpgm
	.section	.rodata,"a",@progbits
	.p2align	6, 0x0
	.amdhsa_kernel _ZL29rocblas_internal_gemmt_kernelIlLi16ELi32ELi8ELc67ELc67ELc76ELb0ELb0EfPKfPKS1_PKPfEviT_T9_T10_S7_lS9_S7_lS8_T11_S7_li
		.amdhsa_group_segment_fixed_size 2048
		.amdhsa_private_segment_fixed_size 0
		.amdhsa_kernarg_size 108
		.amdhsa_user_sgpr_count 2
		.amdhsa_user_sgpr_dispatch_ptr 0
		.amdhsa_user_sgpr_queue_ptr 0
		.amdhsa_user_sgpr_kernarg_segment_ptr 1
		.amdhsa_user_sgpr_dispatch_id 0
		.amdhsa_user_sgpr_kernarg_preload_length 0
		.amdhsa_user_sgpr_kernarg_preload_offset 0
		.amdhsa_user_sgpr_private_segment_size 0
		.amdhsa_wavefront_size32 1
		.amdhsa_uses_dynamic_stack 0
		.amdhsa_enable_private_segment 0
		.amdhsa_system_sgpr_workgroup_id_x 1
		.amdhsa_system_sgpr_workgroup_id_y 1
		.amdhsa_system_sgpr_workgroup_id_z 1
		.amdhsa_system_sgpr_workgroup_info 0
		.amdhsa_system_vgpr_workitem_id 1
		.amdhsa_next_free_vgpr 56
		.amdhsa_next_free_sgpr 38
		.amdhsa_named_barrier_count 0
		.amdhsa_reserve_vcc 1
		.amdhsa_float_round_mode_32 0
		.amdhsa_float_round_mode_16_64 0
		.amdhsa_float_denorm_mode_32 3
		.amdhsa_float_denorm_mode_16_64 3
		.amdhsa_fp16_overflow 0
		.amdhsa_memory_ordered 1
		.amdhsa_forward_progress 1
		.amdhsa_inst_pref_size 13
		.amdhsa_round_robin_scheduling 0
		.amdhsa_exception_fp_ieee_invalid_op 0
		.amdhsa_exception_fp_denorm_src 0
		.amdhsa_exception_fp_ieee_div_zero 0
		.amdhsa_exception_fp_ieee_overflow 0
		.amdhsa_exception_fp_ieee_underflow 0
		.amdhsa_exception_fp_ieee_inexact 0
		.amdhsa_exception_int_div_zero 0
	.end_amdhsa_kernel
	.section	.text._ZL29rocblas_internal_gemmt_kernelIlLi16ELi32ELi8ELc67ELc67ELc76ELb0ELb0EfPKfPKS1_PKPfEviT_T9_T10_S7_lS9_S7_lS8_T11_S7_li,"axG",@progbits,_ZL29rocblas_internal_gemmt_kernelIlLi16ELi32ELi8ELc67ELc67ELc76ELb0ELb0EfPKfPKS1_PKPfEviT_T9_T10_S7_lS9_S7_lS8_T11_S7_li,comdat
.Lfunc_end449:
	.size	_ZL29rocblas_internal_gemmt_kernelIlLi16ELi32ELi8ELc67ELc67ELc76ELb0ELb0EfPKfPKS1_PKPfEviT_T9_T10_S7_lS9_S7_lS8_T11_S7_li, .Lfunc_end449-_ZL29rocblas_internal_gemmt_kernelIlLi16ELi32ELi8ELc67ELc67ELc76ELb0ELb0EfPKfPKS1_PKPfEviT_T9_T10_S7_lS9_S7_lS8_T11_S7_li
                                        ; -- End function
	.set _ZL29rocblas_internal_gemmt_kernelIlLi16ELi32ELi8ELc67ELc67ELc76ELb0ELb0EfPKfPKS1_PKPfEviT_T9_T10_S7_lS9_S7_lS8_T11_S7_li.num_vgpr, 56
	.set _ZL29rocblas_internal_gemmt_kernelIlLi16ELi32ELi8ELc67ELc67ELc76ELb0ELb0EfPKfPKS1_PKPfEviT_T9_T10_S7_lS9_S7_lS8_T11_S7_li.num_agpr, 0
	.set _ZL29rocblas_internal_gemmt_kernelIlLi16ELi32ELi8ELc67ELc67ELc76ELb0ELb0EfPKfPKS1_PKPfEviT_T9_T10_S7_lS9_S7_lS8_T11_S7_li.numbered_sgpr, 38
	.set _ZL29rocblas_internal_gemmt_kernelIlLi16ELi32ELi8ELc67ELc67ELc76ELb0ELb0EfPKfPKS1_PKPfEviT_T9_T10_S7_lS9_S7_lS8_T11_S7_li.num_named_barrier, 0
	.set _ZL29rocblas_internal_gemmt_kernelIlLi16ELi32ELi8ELc67ELc67ELc76ELb0ELb0EfPKfPKS1_PKPfEviT_T9_T10_S7_lS9_S7_lS8_T11_S7_li.private_seg_size, 0
	.set _ZL29rocblas_internal_gemmt_kernelIlLi16ELi32ELi8ELc67ELc67ELc76ELb0ELb0EfPKfPKS1_PKPfEviT_T9_T10_S7_lS9_S7_lS8_T11_S7_li.uses_vcc, 1
	.set _ZL29rocblas_internal_gemmt_kernelIlLi16ELi32ELi8ELc67ELc67ELc76ELb0ELb0EfPKfPKS1_PKPfEviT_T9_T10_S7_lS9_S7_lS8_T11_S7_li.uses_flat_scratch, 0
	.set _ZL29rocblas_internal_gemmt_kernelIlLi16ELi32ELi8ELc67ELc67ELc76ELb0ELb0EfPKfPKS1_PKPfEviT_T9_T10_S7_lS9_S7_lS8_T11_S7_li.has_dyn_sized_stack, 0
	.set _ZL29rocblas_internal_gemmt_kernelIlLi16ELi32ELi8ELc67ELc67ELc76ELb0ELb0EfPKfPKS1_PKPfEviT_T9_T10_S7_lS9_S7_lS8_T11_S7_li.has_recursion, 0
	.set _ZL29rocblas_internal_gemmt_kernelIlLi16ELi32ELi8ELc67ELc67ELc76ELb0ELb0EfPKfPKS1_PKPfEviT_T9_T10_S7_lS9_S7_lS8_T11_S7_li.has_indirect_call, 0
	.section	.AMDGPU.csdata,"",@progbits
; Kernel info:
; codeLenInByte = 1648
; TotalNumSgprs: 40
; NumVgprs: 56
; ScratchSize: 0
; MemoryBound: 0
; FloatMode: 240
; IeeeMode: 1
; LDSByteSize: 2048 bytes/workgroup (compile time only)
; SGPRBlocks: 0
; VGPRBlocks: 3
; NumSGPRsForWavesPerEU: 40
; NumVGPRsForWavesPerEU: 56
; NamedBarCnt: 0
; Occupancy: 16
; WaveLimiterHint : 1
; COMPUTE_PGM_RSRC2:SCRATCH_EN: 0
; COMPUTE_PGM_RSRC2:USER_SGPR: 2
; COMPUTE_PGM_RSRC2:TRAP_HANDLER: 0
; COMPUTE_PGM_RSRC2:TGID_X_EN: 1
; COMPUTE_PGM_RSRC2:TGID_Y_EN: 1
; COMPUTE_PGM_RSRC2:TGID_Z_EN: 1
; COMPUTE_PGM_RSRC2:TIDIG_COMP_CNT: 1
	.section	.text._ZL29rocblas_internal_gemmt_kernelIlLi16ELi32ELi8ELc78ELc78ELc85ELb0ELb0EffPKPKfPKPfEviT_T9_T10_S7_lS9_S7_lS8_T11_S7_li,"axG",@progbits,_ZL29rocblas_internal_gemmt_kernelIlLi16ELi32ELi8ELc78ELc78ELc85ELb0ELb0EffPKPKfPKPfEviT_T9_T10_S7_lS9_S7_lS8_T11_S7_li,comdat
	.globl	_ZL29rocblas_internal_gemmt_kernelIlLi16ELi32ELi8ELc78ELc78ELc85ELb0ELb0EffPKPKfPKPfEviT_T9_T10_S7_lS9_S7_lS8_T11_S7_li ; -- Begin function _ZL29rocblas_internal_gemmt_kernelIlLi16ELi32ELi8ELc78ELc78ELc85ELb0ELb0EffPKPKfPKPfEviT_T9_T10_S7_lS9_S7_lS8_T11_S7_li
	.p2align	8
	.type	_ZL29rocblas_internal_gemmt_kernelIlLi16ELi32ELi8ELc78ELc78ELc85ELb0ELb0EffPKPKfPKPfEviT_T9_T10_S7_lS9_S7_lS8_T11_S7_li,@function
_ZL29rocblas_internal_gemmt_kernelIlLi16ELi32ELi8ELc78ELc78ELc85ELb0ELb0EffPKPKfPKPfEviT_T9_T10_S7_lS9_S7_lS8_T11_S7_li: ; @_ZL29rocblas_internal_gemmt_kernelIlLi16ELi32ELi8ELc78ELc78ELc85ELb0ELb0EffPKPKfPKPfEviT_T9_T10_S7_lS9_S7_lS8_T11_S7_li
; %bb.0:
	s_clause 0x1
	s_load_b32 s23, s[0:1], 0x48
	s_load_b96 s[20:22], s[0:1], 0x8
	s_wait_kmcnt 0x0
	s_cmp_neq_f32 s23, 1.0
	s_cselect_b32 s2, -1, 0
	s_delay_alu instid0(SALU_CYCLE_1)
	s_and_b32 vcc_lo, exec_lo, s2
	s_cbranch_vccnz .LBB450_2
; %bb.1:
	s_cmp_lg_u64 s[20:21], 0
	s_cselect_b32 s2, -1, 0
	s_cmp_neq_f32 s22, 0
	s_cselect_b32 s3, -1, 0
	s_delay_alu instid0(SALU_CYCLE_1)
	s_and_b32 s2, s2, s3
.LBB450_2:
	s_delay_alu instid0(SALU_CYCLE_1)
	s_and_not1_b32 vcc_lo, exec_lo, s2
	s_cbranch_vccnz .LBB450_35
; %bb.3:
	s_load_b32 s28, s[0:1], 0x68
	s_bfe_u32 s2, ttmp6, 0x40014
	s_lshr_b32 s3, ttmp7, 16
	s_add_co_i32 s2, s2, 1
	s_bfe_u32 s5, ttmp6, 0x40008
	s_mul_i32 s4, s3, s2
	s_getreg_b32 s2, hwreg(HW_REG_IB_STS2, 6, 4)
	s_add_co_i32 s5, s5, s4
	s_cmp_eq_u32 s2, 0
	s_mov_b32 s25, 0
	s_cselect_b32 s24, s3, s5
	s_wait_kmcnt 0x0
	s_cmp_ge_u32 s24, s28
	s_cbranch_scc1 .LBB450_35
; %bb.4:
	s_clause 0x4
	s_load_b32 s3, s[0:1], 0x0
	s_load_b256 s[8:15], s[0:1], 0x18
	s_load_b64 s[26:27], s[0:1], 0x60
	s_load_b128 s[4:7], s[0:1], 0x38
	s_load_b128 s[16:19], s[0:1], 0x50
	s_wait_xcnt 0x0
	s_bfe_u32 s0, ttmp6, 0x4000c
	s_bfe_u32 s29, ttmp6, 0x40010
	s_add_co_i32 s0, s0, 1
	s_and_b32 s30, ttmp7, 0xffff
	s_add_co_i32 s29, s29, 1
	v_and_b32_e32 v13, 0x3ff, v0
	v_bfe_u32 v20, v0, 10, 10
	s_and_b32 s1, ttmp6, 15
	s_mul_i32 s0, ttmp9, s0
	s_mul_i32 s29, s30, s29
	s_bfe_u32 s31, ttmp6, 0x40004
	s_add_co_i32 s1, s1, s0
	s_add_co_i32 s31, s31, s29
	s_cmp_eq_u32 s2, 0
	v_lshl_add_u32 v1, v20, 4, v13
	s_cselect_b32 s0, s30, s31
	s_cselect_b32 s1, ttmp9, s1
	s_lshl_b32 s0, s0, 5
	s_delay_alu instid0(VALU_DEP_1)
	v_dual_lshrrev_b32 v2, 5, v1 :: v_dual_bitop2_b32 v0, 7, v0 bitop3:0x40
	v_dual_lshrrev_b32 v3, 3, v1 :: v_dual_bitop2_b32 v1, 31, v1 bitop3:0x40
	v_add_nc_u32_e32 v16, s0, v20
	s_lshl_b32 s1, s1, 5
	s_delay_alu instid0(VALU_DEP_3) | instid1(SALU_CYCLE_1)
	v_dual_lshlrev_b32 v5, 2, v0 :: v_dual_add_nc_u32 v12, s1, v13
	s_delay_alu instid0(VALU_DEP_3) | instskip(NEXT) | instid1(VALU_DEP_3)
	v_dual_add_nc_u32 v14, s0, v3 :: v_dual_bitop2_b32 v4, s1, v1 bitop3:0x54
	v_dual_add_nc_u32 v18, 16, v16 :: v_dual_ashrrev_i32 v17, 31, v16
	s_delay_alu instid0(VALU_DEP_2) | instskip(SKIP_1) | instid1(VALU_DEP_2)
	v_dual_lshlrev_b32 v1, 2, v1 :: v_dual_ashrrev_i32 v15, 31, v14
	s_cmp_neq_f32 s22, 0
	v_ashrrev_i32_e32 v19, 31, v18
	s_wait_kmcnt 0x0
	v_mul_u64_e32 v[8:9], s[18:19], v[16:17]
	v_cmp_gt_i32_e64 s1, s3, v14
	v_mul_u64_e32 v[6:7], s[4:5], v[14:15]
	v_cmp_gt_i32_e32 vcc_lo, s3, v16
	v_mul_u64_e32 v[10:11], s[18:19], v[18:19]
	v_cmp_le_i32_e64 s2, v12, v16
	v_add_nc_u32_e32 v14, 16, v12
	s_cselect_b32 s33, -1, 0
	s_cmp_neq_f32 s23, 0
	v_lshl_or_b32 v3, v3, 5, v5
	v_cmp_gt_i64_e64 s34, s[20:21], 0
	v_cmp_gt_i32_e64 s0, s3, v4
	v_dual_ashrrev_i32 v5, 31, v4 :: v_dual_lshlrev_b32 v28, 2, v13
	s_cselect_b32 s18, -1, 0
	s_and_b32 s19, vcc_lo, s2
	v_cmp_gt_i32_e64 s3, s3, v18
	v_cmp_le_i32_e64 s4, v12, v18
	v_ashrrev_i32_e32 v13, 31, v12
	v_cmp_le_i32_e64 s2, v14, v16
	v_cmp_le_i32_e64 s5, v14, v18
	v_lshl_or_b32 v1, v2, 7, v1
	v_add_nc_u32_e32 v3, 0x400, v3
	v_lshl_add_u32 v29, v20, 5, 0x400
	v_dual_ashrrev_i32 v15, 31, v14 :: v_dual_mov_b32 v17, 0
	s_and_b32 s29, vcc_lo, s2
	s_and_b32 s30, s3, s4
	s_and_b32 s31, s3, s5
	;; [unrolled: 1-line block ×3, first 2 shown]
	s_lshl_b64 s[2:3], s[6:7], 2
	s_lshl_b64 s[4:5], s[12:13], 2
	;; [unrolled: 1-line block ×3, first 2 shown]
	s_branch .LBB450_6
.LBB450_5:                              ;   in Loop: Header=BB450_6 Depth=1
	s_wait_xcnt 0x0
	s_or_b32 exec_lo, exec_lo, s12
	s_add_co_i32 s24, s24, 0x10000
	s_delay_alu instid0(SALU_CYCLE_1)
	s_cmp_lt_u32 s24, s28
	s_cbranch_scc0 .LBB450_35
.LBB450_6:                              ; =>This Loop Header: Depth=1
                                        ;     Child Loop BB450_9 Depth 2
	v_dual_mov_b32 v16, s24 :: v_dual_mov_b32 v23, v17
	v_dual_mov_b32 v22, v17 :: v_dual_mov_b32 v19, v17
	v_mov_b32_e32 v18, v17
	global_load_b64 v[20:21], v16, s[16:17] scale_offset
	s_and_not1_b32 vcc_lo, exec_lo, s33
	s_cbranch_vccnz .LBB450_15
; %bb.7:                                ;   in Loop: Header=BB450_6 Depth=1
	s_lshl_b64 s[12:13], s[24:25], 3
	v_mov_b32_e32 v18, 0
	s_add_nc_u64 s[26:27], s[8:9], s[12:13]
	s_add_nc_u64 s[12:13], s[14:15], s[12:13]
	s_clause 0x1
	global_load_b64 v[22:23], v17, s[26:27]
	global_load_b64 v[24:25], v17, s[12:13]
	s_wait_xcnt 0x0
	s_mov_b64 s[12:13], 0
	v_mov_b32_e32 v19, v18
	s_wait_loadcnt 0x1
	v_add_nc_u64_e32 v[26:27], s[4:5], v[22:23]
	s_wait_loadcnt 0x0
	v_add_nc_u64_e32 v[30:31], s[2:3], v[24:25]
	v_dual_mov_b32 v22, v18 :: v_dual_mov_b32 v23, v18
	s_delay_alu instid0(VALU_DEP_3) | instskip(NEXT) | instid1(VALU_DEP_3)
	v_lshl_add_u64 v[24:25], v[4:5], 2, v[26:27]
	v_lshl_add_u64 v[26:27], v[6:7], 2, v[30:31]
	s_branch .LBB450_9
.LBB450_8:                              ;   in Loop: Header=BB450_9 Depth=2
	s_wait_xcnt 0x0
	s_or_b32 exec_lo, exec_lo, s26
	s_wait_loadcnt_dscnt 0x0
	ds_store_b32 v3, v31
	s_wait_dscnt 0x0
	s_barrier_signal -1
	s_barrier_wait -1
	ds_load_b128 v[30:33], v29
	ds_load_2addr_b32 v[46:47], v28 offset1:16
	ds_load_b128 v[34:37], v29 offset:512
	ds_load_2addr_b32 v[48:49], v28 offset0:32 offset1:48
	ds_load_2addr_b32 v[50:51], v28 offset0:64 offset1:80
	;; [unrolled: 1-line block ×3, first 2 shown]
	ds_load_b128 v[38:41], v29 offset:16
	ds_load_2addr_b32 v[54:55], v28 offset0:128 offset1:144
	ds_load_b128 v[42:45], v29 offset:528
	s_add_nc_u64 s[12:13], s[12:13], 8
	s_delay_alu instid0(SALU_CYCLE_1)
	v_cmp_gt_i64_e64 s26, s[20:21], s[12:13]
	s_and_b32 vcc_lo, exec_lo, s26
	s_wait_dscnt 0x8
	v_mov_b32_e32 v16, v33
	s_wait_dscnt 0x7
	v_pk_fma_f32 v[22:23], v[46:47], v[30:31], v[22:23] op_sel_hi:[1,0,1]
	s_wait_dscnt 0x6
	v_pk_fma_f32 v[18:19], v[46:47], v[34:35], v[18:19] op_sel_hi:[1,0,1]
	ds_load_2addr_b32 v[46:47], v28 offset0:160 offset1:176
	s_wait_dscnt 0x6
	v_pk_fma_f32 v[22:23], v[48:49], v[30:31], v[22:23] op_sel:[0,1,0]
	v_pk_fma_f32 v[18:19], v[48:49], v[34:35], v[18:19] op_sel:[0,1,0]
	ds_load_2addr_b32 v[30:31], v28 offset0:192 offset1:208
	v_mov_b32_e32 v34, v37
	s_wait_dscnt 0x6
	v_pk_fma_f32 v[22:23], v[50:51], v[32:33], v[22:23] op_sel_hi:[1,0,1]
	v_pk_fma_f32 v[18:19], v[50:51], v[36:37], v[18:19] op_sel_hi:[1,0,1]
	ds_load_2addr_b32 v[32:33], v28 offset0:224 offset1:240
	s_wait_dscnt 0x0
	s_barrier_signal -1
	v_pk_fma_f32 v[22:23], v[52:53], v[16:17], v[22:23] op_sel_hi:[1,0,1]
	v_pk_fma_f32 v[18:19], v[52:53], v[34:35], v[18:19] op_sel_hi:[1,0,1]
	v_dual_mov_b32 v16, v41 :: v_dual_mov_b32 v34, v45
	s_barrier_wait -1
	s_delay_alu instid0(VALU_DEP_3) | instskip(NEXT) | instid1(VALU_DEP_3)
	v_pk_fma_f32 v[22:23], v[54:55], v[38:39], v[22:23] op_sel_hi:[1,0,1]
	v_pk_fma_f32 v[18:19], v[54:55], v[42:43], v[18:19] op_sel_hi:[1,0,1]
	s_delay_alu instid0(VALU_DEP_2) | instskip(NEXT) | instid1(VALU_DEP_2)
	v_pk_fma_f32 v[22:23], v[46:47], v[38:39], v[22:23] op_sel:[0,1,0]
	v_pk_fma_f32 v[18:19], v[46:47], v[42:43], v[18:19] op_sel:[0,1,0]
	s_delay_alu instid0(VALU_DEP_2) | instskip(NEXT) | instid1(VALU_DEP_2)
	v_pk_fma_f32 v[22:23], v[30:31], v[40:41], v[22:23] op_sel_hi:[1,0,1]
	v_pk_fma_f32 v[18:19], v[30:31], v[44:45], v[18:19] op_sel_hi:[1,0,1]
	s_delay_alu instid0(VALU_DEP_2) | instskip(NEXT) | instid1(VALU_DEP_2)
	v_pk_fma_f32 v[22:23], v[32:33], v[16:17], v[22:23] op_sel_hi:[1,0,1]
	v_pk_fma_f32 v[18:19], v[32:33], v[34:35], v[18:19] op_sel_hi:[1,0,1]
	s_cbranch_vccz .LBB450_15
.LBB450_9:                              ;   Parent Loop BB450_6 Depth=1
                                        ; =>  This Inner Loop Header: Depth=2
	v_mov_b32_e32 v30, 0
	s_and_saveexec_b32 s26, s0
	s_cbranch_execz .LBB450_13
; %bb.10:                               ;   in Loop: Header=BB450_9 Depth=2
	v_dual_add_nc_u32 v16, s12, v2 :: v_dual_mov_b32 v30, 0
	s_mov_b32 s27, exec_lo
	s_delay_alu instid0(VALU_DEP_1)
	v_cmpx_gt_u64_e64 s[20:21], v[16:17]
	s_cbranch_execz .LBB450_12
; %bb.11:                               ;   in Loop: Header=BB450_9 Depth=2
	v_mul_u64_e32 v[30:31], s[10:11], v[16:17]
	s_delay_alu instid0(VALU_DEP_1)
	v_lshl_add_u64 v[30:31], v[30:31], 2, v[24:25]
	flat_load_b32 v30, v[30:31]
.LBB450_12:                             ;   in Loop: Header=BB450_9 Depth=2
	s_wait_xcnt 0x0
	s_or_b32 exec_lo, exec_lo, s27
.LBB450_13:                             ;   in Loop: Header=BB450_9 Depth=2
	s_delay_alu instid0(SALU_CYCLE_1)
	s_or_b32 exec_lo, exec_lo, s26
	v_dual_mov_b32 v31, 0 :: v_dual_add_nc_u32 v16, s12, v0
	s_wait_loadcnt_dscnt 0x0
	ds_store_b32 v1, v30
	v_cmp_gt_u64_e32 vcc_lo, s[20:21], v[16:17]
	s_and_b32 s27, vcc_lo, s1
	s_delay_alu instid0(SALU_CYCLE_1)
	s_and_saveexec_b32 s26, s27
	s_cbranch_execz .LBB450_8
; %bb.14:                               ;   in Loop: Header=BB450_9 Depth=2
	v_lshl_add_u64 v[30:31], v[16:17], 2, v[26:27]
	flat_load_b32 v31, v[30:31]
	s_branch .LBB450_8
.LBB450_15:                             ;   in Loop: Header=BB450_6 Depth=1
	s_wait_loadcnt 0x0
	v_add_nc_u64_e32 v[20:21], s[6:7], v[20:21]
	s_delay_alu instid0(VALU_DEP_1)
	v_lshl_add_u64 v[24:25], v[8:9], 2, v[20:21]
	s_wait_xcnt 0x0
	s_and_saveexec_b32 s12, s19
	s_cbranch_execz .LBB450_19
; %bb.16:                               ;   in Loop: Header=BB450_6 Depth=1
	v_mul_f32_e32 v16, s22, v22
	v_lshl_add_u64 v[26:27], v[12:13], 2, v[24:25]
	s_and_b32 vcc_lo, exec_lo, s18
	s_cbranch_vccz .LBB450_30
; %bb.17:                               ;   in Loop: Header=BB450_6 Depth=1
	flat_load_b32 v22, v[26:27]
	s_wait_loadcnt_dscnt 0x0
	v_fma_f32 v22, s23, v22, v16
	flat_store_b32 v[26:27], v22
	s_cbranch_execnz .LBB450_19
.LBB450_18:                             ;   in Loop: Header=BB450_6 Depth=1
	flat_store_b32 v[26:27], v16
.LBB450_19:                             ;   in Loop: Header=BB450_6 Depth=1
	s_wait_xcnt 0x0
	s_or_b32 exec_lo, exec_lo, s12
	s_and_saveexec_b32 s12, s29
	s_cbranch_execz .LBB450_23
; %bb.20:                               ;   in Loop: Header=BB450_6 Depth=1
	v_mul_f32_e32 v16, s22, v23
	v_lshl_add_u64 v[22:23], v[14:15], 2, v[24:25]
	s_and_not1_b32 vcc_lo, exec_lo, s18
	s_cbranch_vccnz .LBB450_31
; %bb.21:                               ;   in Loop: Header=BB450_6 Depth=1
	flat_load_b32 v24, v[22:23]
	s_wait_loadcnt_dscnt 0x0
	v_fma_f32 v24, s23, v24, v16
	flat_store_b32 v[22:23], v24
	s_cbranch_execnz .LBB450_23
.LBB450_22:                             ;   in Loop: Header=BB450_6 Depth=1
	flat_store_b32 v[22:23], v16
.LBB450_23:                             ;   in Loop: Header=BB450_6 Depth=1
	s_wait_xcnt 0x0
	s_or_b32 exec_lo, exec_lo, s12
	v_lshl_add_u64 v[20:21], v[10:11], 2, v[20:21]
	s_and_saveexec_b32 s12, s30
	s_cbranch_execz .LBB450_27
; %bb.24:                               ;   in Loop: Header=BB450_6 Depth=1
	v_mul_f32_e32 v16, s22, v18
	s_delay_alu instid0(VALU_DEP_2)
	v_lshl_add_u64 v[22:23], v[12:13], 2, v[20:21]
	s_and_not1_b32 vcc_lo, exec_lo, s18
	s_cbranch_vccnz .LBB450_32
; %bb.25:                               ;   in Loop: Header=BB450_6 Depth=1
	flat_load_b32 v18, v[22:23]
	s_wait_loadcnt_dscnt 0x0
	v_fma_f32 v18, s23, v18, v16
	flat_store_b32 v[22:23], v18
	s_cbranch_execnz .LBB450_27
.LBB450_26:                             ;   in Loop: Header=BB450_6 Depth=1
	flat_store_b32 v[22:23], v16
.LBB450_27:                             ;   in Loop: Header=BB450_6 Depth=1
	s_wait_xcnt 0x0
	s_or_b32 exec_lo, exec_lo, s12
	s_and_saveexec_b32 s12, s31
	s_cbranch_execz .LBB450_5
; %bb.28:                               ;   in Loop: Header=BB450_6 Depth=1
	v_mul_f32_e32 v16, s22, v19
	v_lshl_add_u64 v[18:19], v[14:15], 2, v[20:21]
	s_and_not1_b32 vcc_lo, exec_lo, s18
	s_cbranch_vccnz .LBB450_33
; %bb.29:                               ;   in Loop: Header=BB450_6 Depth=1
	flat_load_b32 v20, v[18:19]
	s_wait_loadcnt_dscnt 0x0
	v_fma_f32 v20, s23, v20, v16
	flat_store_b32 v[18:19], v20
	s_cbranch_execnz .LBB450_5
	s_branch .LBB450_34
.LBB450_30:                             ;   in Loop: Header=BB450_6 Depth=1
	s_branch .LBB450_18
.LBB450_31:                             ;   in Loop: Header=BB450_6 Depth=1
	s_branch .LBB450_22
.LBB450_32:                             ;   in Loop: Header=BB450_6 Depth=1
	s_branch .LBB450_26
.LBB450_33:                             ;   in Loop: Header=BB450_6 Depth=1
.LBB450_34:                             ;   in Loop: Header=BB450_6 Depth=1
	flat_store_b32 v[18:19], v16
	s_branch .LBB450_5
.LBB450_35:
	s_endpgm
	.section	.rodata,"a",@progbits
	.p2align	6, 0x0
	.amdhsa_kernel _ZL29rocblas_internal_gemmt_kernelIlLi16ELi32ELi8ELc78ELc78ELc85ELb0ELb0EffPKPKfPKPfEviT_T9_T10_S7_lS9_S7_lS8_T11_S7_li
		.amdhsa_group_segment_fixed_size 2048
		.amdhsa_private_segment_fixed_size 0
		.amdhsa_kernarg_size 108
		.amdhsa_user_sgpr_count 2
		.amdhsa_user_sgpr_dispatch_ptr 0
		.amdhsa_user_sgpr_queue_ptr 0
		.amdhsa_user_sgpr_kernarg_segment_ptr 1
		.amdhsa_user_sgpr_dispatch_id 0
		.amdhsa_user_sgpr_kernarg_preload_length 0
		.amdhsa_user_sgpr_kernarg_preload_offset 0
		.amdhsa_user_sgpr_private_segment_size 0
		.amdhsa_wavefront_size32 1
		.amdhsa_uses_dynamic_stack 0
		.amdhsa_enable_private_segment 0
		.amdhsa_system_sgpr_workgroup_id_x 1
		.amdhsa_system_sgpr_workgroup_id_y 1
		.amdhsa_system_sgpr_workgroup_id_z 1
		.amdhsa_system_sgpr_workgroup_info 0
		.amdhsa_system_vgpr_workitem_id 1
		.amdhsa_next_free_vgpr 56
		.amdhsa_next_free_sgpr 35
		.amdhsa_named_barrier_count 0
		.amdhsa_reserve_vcc 1
		.amdhsa_float_round_mode_32 0
		.amdhsa_float_round_mode_16_64 0
		.amdhsa_float_denorm_mode_32 3
		.amdhsa_float_denorm_mode_16_64 3
		.amdhsa_fp16_overflow 0
		.amdhsa_memory_ordered 1
		.amdhsa_forward_progress 1
		.amdhsa_inst_pref_size 14
		.amdhsa_round_robin_scheduling 0
		.amdhsa_exception_fp_ieee_invalid_op 0
		.amdhsa_exception_fp_denorm_src 0
		.amdhsa_exception_fp_ieee_div_zero 0
		.amdhsa_exception_fp_ieee_overflow 0
		.amdhsa_exception_fp_ieee_underflow 0
		.amdhsa_exception_fp_ieee_inexact 0
		.amdhsa_exception_int_div_zero 0
	.end_amdhsa_kernel
	.section	.text._ZL29rocblas_internal_gemmt_kernelIlLi16ELi32ELi8ELc78ELc78ELc85ELb0ELb0EffPKPKfPKPfEviT_T9_T10_S7_lS9_S7_lS8_T11_S7_li,"axG",@progbits,_ZL29rocblas_internal_gemmt_kernelIlLi16ELi32ELi8ELc78ELc78ELc85ELb0ELb0EffPKPKfPKPfEviT_T9_T10_S7_lS9_S7_lS8_T11_S7_li,comdat
.Lfunc_end450:
	.size	_ZL29rocblas_internal_gemmt_kernelIlLi16ELi32ELi8ELc78ELc78ELc85ELb0ELb0EffPKPKfPKPfEviT_T9_T10_S7_lS9_S7_lS8_T11_S7_li, .Lfunc_end450-_ZL29rocblas_internal_gemmt_kernelIlLi16ELi32ELi8ELc78ELc78ELc85ELb0ELb0EffPKPKfPKPfEviT_T9_T10_S7_lS9_S7_lS8_T11_S7_li
                                        ; -- End function
	.set _ZL29rocblas_internal_gemmt_kernelIlLi16ELi32ELi8ELc78ELc78ELc85ELb0ELb0EffPKPKfPKPfEviT_T9_T10_S7_lS9_S7_lS8_T11_S7_li.num_vgpr, 56
	.set _ZL29rocblas_internal_gemmt_kernelIlLi16ELi32ELi8ELc78ELc78ELc85ELb0ELb0EffPKPKfPKPfEviT_T9_T10_S7_lS9_S7_lS8_T11_S7_li.num_agpr, 0
	.set _ZL29rocblas_internal_gemmt_kernelIlLi16ELi32ELi8ELc78ELc78ELc85ELb0ELb0EffPKPKfPKPfEviT_T9_T10_S7_lS9_S7_lS8_T11_S7_li.numbered_sgpr, 35
	.set _ZL29rocblas_internal_gemmt_kernelIlLi16ELi32ELi8ELc78ELc78ELc85ELb0ELb0EffPKPKfPKPfEviT_T9_T10_S7_lS9_S7_lS8_T11_S7_li.num_named_barrier, 0
	.set _ZL29rocblas_internal_gemmt_kernelIlLi16ELi32ELi8ELc78ELc78ELc85ELb0ELb0EffPKPKfPKPfEviT_T9_T10_S7_lS9_S7_lS8_T11_S7_li.private_seg_size, 0
	.set _ZL29rocblas_internal_gemmt_kernelIlLi16ELi32ELi8ELc78ELc78ELc85ELb0ELb0EffPKPKfPKPfEviT_T9_T10_S7_lS9_S7_lS8_T11_S7_li.uses_vcc, 1
	.set _ZL29rocblas_internal_gemmt_kernelIlLi16ELi32ELi8ELc78ELc78ELc85ELb0ELb0EffPKPKfPKPfEviT_T9_T10_S7_lS9_S7_lS8_T11_S7_li.uses_flat_scratch, 0
	.set _ZL29rocblas_internal_gemmt_kernelIlLi16ELi32ELi8ELc78ELc78ELc85ELb0ELb0EffPKPKfPKPfEviT_T9_T10_S7_lS9_S7_lS8_T11_S7_li.has_dyn_sized_stack, 0
	.set _ZL29rocblas_internal_gemmt_kernelIlLi16ELi32ELi8ELc78ELc78ELc85ELb0ELb0EffPKPKfPKPfEviT_T9_T10_S7_lS9_S7_lS8_T11_S7_li.has_recursion, 0
	.set _ZL29rocblas_internal_gemmt_kernelIlLi16ELi32ELi8ELc78ELc78ELc85ELb0ELb0EffPKPKfPKPfEviT_T9_T10_S7_lS9_S7_lS8_T11_S7_li.has_indirect_call, 0
	.section	.AMDGPU.csdata,"",@progbits
; Kernel info:
; codeLenInByte = 1676
; TotalNumSgprs: 37
; NumVgprs: 56
; ScratchSize: 0
; MemoryBound: 0
; FloatMode: 240
; IeeeMode: 1
; LDSByteSize: 2048 bytes/workgroup (compile time only)
; SGPRBlocks: 0
; VGPRBlocks: 3
; NumSGPRsForWavesPerEU: 37
; NumVGPRsForWavesPerEU: 56
; NamedBarCnt: 0
; Occupancy: 16
; WaveLimiterHint : 1
; COMPUTE_PGM_RSRC2:SCRATCH_EN: 0
; COMPUTE_PGM_RSRC2:USER_SGPR: 2
; COMPUTE_PGM_RSRC2:TRAP_HANDLER: 0
; COMPUTE_PGM_RSRC2:TGID_X_EN: 1
; COMPUTE_PGM_RSRC2:TGID_Y_EN: 1
; COMPUTE_PGM_RSRC2:TGID_Z_EN: 1
; COMPUTE_PGM_RSRC2:TIDIG_COMP_CNT: 1
	.section	.text._ZL29rocblas_internal_gemmt_kernelIlLi16ELi32ELi8ELc78ELc84ELc85ELb0ELb0EffPKPKfPKPfEviT_T9_T10_S7_lS9_S7_lS8_T11_S7_li,"axG",@progbits,_ZL29rocblas_internal_gemmt_kernelIlLi16ELi32ELi8ELc78ELc84ELc85ELb0ELb0EffPKPKfPKPfEviT_T9_T10_S7_lS9_S7_lS8_T11_S7_li,comdat
	.globl	_ZL29rocblas_internal_gemmt_kernelIlLi16ELi32ELi8ELc78ELc84ELc85ELb0ELb0EffPKPKfPKPfEviT_T9_T10_S7_lS9_S7_lS8_T11_S7_li ; -- Begin function _ZL29rocblas_internal_gemmt_kernelIlLi16ELi32ELi8ELc78ELc84ELc85ELb0ELb0EffPKPKfPKPfEviT_T9_T10_S7_lS9_S7_lS8_T11_S7_li
	.p2align	8
	.type	_ZL29rocblas_internal_gemmt_kernelIlLi16ELi32ELi8ELc78ELc84ELc85ELb0ELb0EffPKPKfPKPfEviT_T9_T10_S7_lS9_S7_lS8_T11_S7_li,@function
_ZL29rocblas_internal_gemmt_kernelIlLi16ELi32ELi8ELc78ELc84ELc85ELb0ELb0EffPKPKfPKPfEviT_T9_T10_S7_lS9_S7_lS8_T11_S7_li: ; @_ZL29rocblas_internal_gemmt_kernelIlLi16ELi32ELi8ELc78ELc84ELc85ELb0ELb0EffPKPKfPKPfEviT_T9_T10_S7_lS9_S7_lS8_T11_S7_li
; %bb.0:
	s_clause 0x1
	s_load_b32 s27, s[0:1], 0x48
	s_load_b96 s[24:26], s[0:1], 0x8
	s_wait_kmcnt 0x0
	s_cmp_neq_f32 s27, 1.0
	s_cselect_b32 s2, -1, 0
	s_delay_alu instid0(SALU_CYCLE_1)
	s_and_b32 vcc_lo, exec_lo, s2
	s_cbranch_vccnz .LBB451_2
; %bb.1:
	s_cmp_lg_u64 s[24:25], 0
	s_cselect_b32 s2, -1, 0
	s_cmp_neq_f32 s26, 0
	s_cselect_b32 s3, -1, 0
	s_delay_alu instid0(SALU_CYCLE_1)
	s_and_b32 s2, s2, s3
.LBB451_2:
	s_delay_alu instid0(SALU_CYCLE_1)
	s_and_not1_b32 vcc_lo, exec_lo, s2
	s_cbranch_vccnz .LBB451_35
; %bb.3:
	s_load_b32 s28, s[0:1], 0x68
	s_bfe_u32 s2, ttmp6, 0x40014
	s_lshr_b32 s3, ttmp7, 16
	s_add_co_i32 s2, s2, 1
	s_bfe_u32 s5, ttmp6, 0x40008
	s_mul_i32 s4, s3, s2
	s_getreg_b32 s2, hwreg(HW_REG_IB_STS2, 6, 4)
	s_add_co_i32 s5, s5, s4
	s_cmp_eq_u32 s2, 0
	s_mov_b32 s7, 0
	s_cselect_b32 s6, s3, s5
	s_wait_kmcnt 0x0
	s_cmp_ge_u32 s6, s28
	s_cbranch_scc1 .LBB451_35
; %bb.4:
	s_bfe_u32 s5, ttmp6, 0x4000c
	s_bfe_u32 s29, ttmp6, 0x40010
	s_add_co_i32 s5, s5, 1
	s_and_b32 s30, ttmp7, 0xffff
	s_add_co_i32 s29, s29, 1
	v_and_b32_e32 v13, 0x3ff, v0
	v_bfe_u32 v15, v0, 10, 10
	s_and_b32 s4, ttmp6, 15
	s_mul_i32 s5, ttmp9, s5
	s_mul_i32 s29, s30, s29
	s_bfe_u32 s31, ttmp6, 0x40004
	s_add_co_i32 s4, s4, s5
	s_add_co_i32 s31, s31, s29
	s_cmp_eq_u32 s2, 0
	s_clause 0x1
	s_load_b32 s3, s[0:1], 0x0
	s_load_b256 s[8:15], s[0:1], 0x18
	v_lshl_add_u32 v1, v15, 4, v13
	s_clause 0x2
	s_load_b128 s[16:19], s[0:1], 0x38
	s_load_b128 s[20:23], s[0:1], 0x50
	s_load_b64 s[34:35], s[0:1], 0x60
	s_wait_xcnt 0x0
	s_cselect_b32 s0, s30, s31
	s_cselect_b32 s1, ttmp9, s4
	s_lshl_b32 s0, s0, 5
	s_delay_alu instid0(SALU_CYCLE_1) | instskip(SKIP_2) | instid1(VALU_DEP_2)
	v_dual_add_nc_u32 v16, s0, v15 :: v_dual_bitop2_b32 v3, 31, v1 bitop3:0x40
	s_lshl_b32 s2, s1, 5
	v_dual_lshrrev_b32 v2, 5, v1 :: v_dual_bitop2_b32 v0, 7, v0 bitop3:0x40
	v_dual_lshrrev_b32 v1, 3, v1 :: v_dual_bitop2_b32 v4, s2, v3 bitop3:0x54
	s_delay_alu instid0(VALU_DEP_3) | instskip(NEXT) | instid1(VALU_DEP_3)
	v_add_nc_u32_e32 v18, 16, v16
	v_dual_lshlrev_b32 v5, 2, v0 :: v_dual_lshlrev_b32 v3, 2, v3
	s_delay_alu instid0(VALU_DEP_3) | instskip(NEXT) | instid1(VALU_DEP_3)
	v_dual_add_nc_u32 v6, s0, v1 :: v_dual_ashrrev_i32 v17, 31, v16
	v_ashrrev_i32_e32 v19, 31, v18
	s_delay_alu instid0(VALU_DEP_3)
	v_lshl_or_b32 v7, v1, 5, v5
	v_dual_ashrrev_i32 v5, 31, v4 :: v_dual_add_nc_u32 v12, s2, v13
	s_wait_kmcnt 0x0
	v_mul_u64_e32 v[8:9], s[22:23], v[16:17]
	v_mul_u64_e32 v[10:11], s[22:23], v[18:19]
	s_cmp_neq_f32 s26, 0
	v_lshl_or_b32 v1, v2, 7, v3
	v_add_nc_u32_e32 v3, 0x400, v7
	v_dual_ashrrev_i32 v7, 31, v6 :: v_dual_add_nc_u32 v14, 16, v12
	v_cmp_gt_i32_e32 vcc_lo, s3, v16
	v_cmp_le_i32_e64 s2, v12, v16
	s_cselect_b32 s33, -1, 0
	s_cmp_neq_f32 s27, 0
	v_cmp_gt_i64_e64 s36, s[24:25], 0
	v_cmp_gt_i32_e64 s0, s3, v4
	v_cmp_gt_i32_e64 s1, s3, v6
	s_cselect_b32 s22, -1, 0
	s_and_b32 s23, vcc_lo, s2
	v_cmp_le_i32_e64 s2, v14, v16
	v_cmp_gt_i32_e64 s3, s3, v18
	v_cmp_le_i32_e64 s4, v12, v18
	v_cmp_le_i32_e64 s5, v14, v18
	v_dual_lshlrev_b32 v28, 2, v13 :: v_dual_ashrrev_i32 v13, 31, v12
	v_lshl_add_u32 v29, v15, 5, 0x400
	v_dual_ashrrev_i32 v15, 31, v14 :: v_dual_mov_b32 v17, 0
	s_and_b32 s29, vcc_lo, s2
	s_and_b32 s30, s3, s4
	s_and_b32 s31, s3, s5
	;; [unrolled: 1-line block ×3, first 2 shown]
	s_lshl_b64 s[2:3], s[18:19], 2
	s_lshl_b64 s[4:5], s[12:13], 2
	;; [unrolled: 1-line block ×3, first 2 shown]
	s_branch .LBB451_6
.LBB451_5:                              ;   in Loop: Header=BB451_6 Depth=1
	s_wait_xcnt 0x0
	s_or_b32 exec_lo, exec_lo, s18
	s_add_co_i32 s6, s6, 0x10000
	s_delay_alu instid0(SALU_CYCLE_1)
	s_cmp_lt_u32 s6, s28
	s_cbranch_scc0 .LBB451_35
.LBB451_6:                              ; =>This Loop Header: Depth=1
                                        ;     Child Loop BB451_9 Depth 2
	v_dual_mov_b32 v16, s6 :: v_dual_mov_b32 v23, v17
	v_dual_mov_b32 v22, v17 :: v_dual_mov_b32 v19, v17
	v_mov_b32_e32 v18, v17
	global_load_b64 v[20:21], v16, s[20:21] scale_offset
	s_and_not1_b32 vcc_lo, exec_lo, s33
	s_cbranch_vccnz .LBB451_15
; %bb.7:                                ;   in Loop: Header=BB451_6 Depth=1
	s_lshl_b64 s[18:19], s[6:7], 3
	v_mov_b32_e32 v18, 0
	s_add_nc_u64 s[34:35], s[8:9], s[18:19]
	s_add_nc_u64 s[18:19], s[14:15], s[18:19]
	s_clause 0x1
	global_load_b64 v[22:23], v17, s[34:35]
	global_load_b64 v[24:25], v17, s[18:19]
	s_wait_xcnt 0x0
	s_mov_b64 s[18:19], 0
	v_mov_b32_e32 v19, v18
	s_wait_loadcnt 0x1
	v_add_nc_u64_e32 v[26:27], s[4:5], v[22:23]
	s_wait_loadcnt 0x0
	v_add_nc_u64_e32 v[30:31], s[2:3], v[24:25]
	v_dual_mov_b32 v22, v18 :: v_dual_mov_b32 v23, v18
	s_delay_alu instid0(VALU_DEP_3) | instskip(NEXT) | instid1(VALU_DEP_3)
	v_lshl_add_u64 v[24:25], v[4:5], 2, v[26:27]
	v_lshl_add_u64 v[26:27], v[6:7], 2, v[30:31]
	s_branch .LBB451_9
.LBB451_8:                              ;   in Loop: Header=BB451_9 Depth=2
	s_wait_xcnt 0x0
	s_or_b32 exec_lo, exec_lo, s34
	s_wait_loadcnt_dscnt 0x0
	ds_store_b32 v3, v31
	s_wait_dscnt 0x0
	s_barrier_signal -1
	s_barrier_wait -1
	ds_load_b128 v[30:33], v29
	ds_load_2addr_b32 v[46:47], v28 offset1:16
	ds_load_b128 v[34:37], v29 offset:512
	ds_load_2addr_b32 v[48:49], v28 offset0:32 offset1:48
	ds_load_2addr_b32 v[50:51], v28 offset0:64 offset1:80
	;; [unrolled: 1-line block ×3, first 2 shown]
	ds_load_b128 v[38:41], v29 offset:16
	ds_load_2addr_b32 v[54:55], v28 offset0:128 offset1:144
	ds_load_b128 v[42:45], v29 offset:528
	s_add_nc_u64 s[18:19], s[18:19], 8
	s_delay_alu instid0(SALU_CYCLE_1)
	v_cmp_gt_i64_e64 s34, s[24:25], s[18:19]
	s_and_b32 vcc_lo, exec_lo, s34
	s_wait_dscnt 0x8
	v_mov_b32_e32 v16, v33
	s_wait_dscnt 0x7
	v_pk_fma_f32 v[22:23], v[46:47], v[30:31], v[22:23] op_sel_hi:[1,0,1]
	s_wait_dscnt 0x6
	v_pk_fma_f32 v[18:19], v[46:47], v[34:35], v[18:19] op_sel_hi:[1,0,1]
	ds_load_2addr_b32 v[46:47], v28 offset0:160 offset1:176
	s_wait_dscnt 0x6
	v_pk_fma_f32 v[22:23], v[48:49], v[30:31], v[22:23] op_sel:[0,1,0]
	v_pk_fma_f32 v[18:19], v[48:49], v[34:35], v[18:19] op_sel:[0,1,0]
	ds_load_2addr_b32 v[30:31], v28 offset0:192 offset1:208
	v_mov_b32_e32 v34, v37
	s_wait_dscnt 0x6
	v_pk_fma_f32 v[22:23], v[50:51], v[32:33], v[22:23] op_sel_hi:[1,0,1]
	v_pk_fma_f32 v[18:19], v[50:51], v[36:37], v[18:19] op_sel_hi:[1,0,1]
	ds_load_2addr_b32 v[32:33], v28 offset0:224 offset1:240
	s_wait_dscnt 0x0
	s_barrier_signal -1
	v_pk_fma_f32 v[22:23], v[52:53], v[16:17], v[22:23] op_sel_hi:[1,0,1]
	v_pk_fma_f32 v[18:19], v[52:53], v[34:35], v[18:19] op_sel_hi:[1,0,1]
	v_dual_mov_b32 v16, v41 :: v_dual_mov_b32 v34, v45
	s_barrier_wait -1
	s_delay_alu instid0(VALU_DEP_3) | instskip(NEXT) | instid1(VALU_DEP_3)
	v_pk_fma_f32 v[22:23], v[54:55], v[38:39], v[22:23] op_sel_hi:[1,0,1]
	v_pk_fma_f32 v[18:19], v[54:55], v[42:43], v[18:19] op_sel_hi:[1,0,1]
	s_delay_alu instid0(VALU_DEP_2) | instskip(NEXT) | instid1(VALU_DEP_2)
	v_pk_fma_f32 v[22:23], v[46:47], v[38:39], v[22:23] op_sel:[0,1,0]
	v_pk_fma_f32 v[18:19], v[46:47], v[42:43], v[18:19] op_sel:[0,1,0]
	s_delay_alu instid0(VALU_DEP_2) | instskip(NEXT) | instid1(VALU_DEP_2)
	v_pk_fma_f32 v[22:23], v[30:31], v[40:41], v[22:23] op_sel_hi:[1,0,1]
	v_pk_fma_f32 v[18:19], v[30:31], v[44:45], v[18:19] op_sel_hi:[1,0,1]
	s_delay_alu instid0(VALU_DEP_2) | instskip(NEXT) | instid1(VALU_DEP_2)
	v_pk_fma_f32 v[22:23], v[32:33], v[16:17], v[22:23] op_sel_hi:[1,0,1]
	v_pk_fma_f32 v[18:19], v[32:33], v[34:35], v[18:19] op_sel_hi:[1,0,1]
	s_cbranch_vccz .LBB451_15
.LBB451_9:                              ;   Parent Loop BB451_6 Depth=1
                                        ; =>  This Inner Loop Header: Depth=2
	v_mov_b32_e32 v30, 0
	s_and_saveexec_b32 s34, s0
	s_cbranch_execz .LBB451_13
; %bb.10:                               ;   in Loop: Header=BB451_9 Depth=2
	v_dual_add_nc_u32 v16, s18, v2 :: v_dual_mov_b32 v30, 0
	s_mov_b32 s35, exec_lo
	s_delay_alu instid0(VALU_DEP_1)
	v_cmpx_gt_u64_e64 s[24:25], v[16:17]
	s_cbranch_execz .LBB451_12
; %bb.11:                               ;   in Loop: Header=BB451_9 Depth=2
	v_mul_u64_e32 v[30:31], s[10:11], v[16:17]
	s_delay_alu instid0(VALU_DEP_1)
	v_lshl_add_u64 v[30:31], v[30:31], 2, v[24:25]
	flat_load_b32 v30, v[30:31]
.LBB451_12:                             ;   in Loop: Header=BB451_9 Depth=2
	s_wait_xcnt 0x0
	s_or_b32 exec_lo, exec_lo, s35
.LBB451_13:                             ;   in Loop: Header=BB451_9 Depth=2
	s_delay_alu instid0(SALU_CYCLE_1)
	s_or_b32 exec_lo, exec_lo, s34
	v_dual_mov_b32 v31, 0 :: v_dual_add_nc_u32 v16, s18, v0
	s_wait_loadcnt_dscnt 0x0
	ds_store_b32 v1, v30
	v_cmp_gt_u64_e32 vcc_lo, s[24:25], v[16:17]
	s_and_b32 s35, vcc_lo, s1
	s_delay_alu instid0(SALU_CYCLE_1)
	s_and_saveexec_b32 s34, s35
	s_cbranch_execz .LBB451_8
; %bb.14:                               ;   in Loop: Header=BB451_9 Depth=2
	v_mul_u64_e32 v[30:31], s[16:17], v[16:17]
	s_delay_alu instid0(VALU_DEP_1)
	v_lshl_add_u64 v[30:31], v[30:31], 2, v[26:27]
	flat_load_b32 v31, v[30:31]
	s_branch .LBB451_8
.LBB451_15:                             ;   in Loop: Header=BB451_6 Depth=1
	s_wait_loadcnt 0x0
	v_add_nc_u64_e32 v[20:21], s[12:13], v[20:21]
	s_delay_alu instid0(VALU_DEP_1)
	v_lshl_add_u64 v[24:25], v[8:9], 2, v[20:21]
	s_wait_xcnt 0x0
	s_and_saveexec_b32 s18, s23
	s_cbranch_execz .LBB451_19
; %bb.16:                               ;   in Loop: Header=BB451_6 Depth=1
	v_mul_f32_e32 v16, s26, v22
	v_lshl_add_u64 v[26:27], v[12:13], 2, v[24:25]
	s_and_b32 vcc_lo, exec_lo, s22
	s_cbranch_vccz .LBB451_30
; %bb.17:                               ;   in Loop: Header=BB451_6 Depth=1
	flat_load_b32 v22, v[26:27]
	s_wait_loadcnt_dscnt 0x0
	v_fma_f32 v22, s27, v22, v16
	flat_store_b32 v[26:27], v22
	s_cbranch_execnz .LBB451_19
.LBB451_18:                             ;   in Loop: Header=BB451_6 Depth=1
	flat_store_b32 v[26:27], v16
.LBB451_19:                             ;   in Loop: Header=BB451_6 Depth=1
	s_wait_xcnt 0x0
	s_or_b32 exec_lo, exec_lo, s18
	s_and_saveexec_b32 s18, s29
	s_cbranch_execz .LBB451_23
; %bb.20:                               ;   in Loop: Header=BB451_6 Depth=1
	v_mul_f32_e32 v16, s26, v23
	v_lshl_add_u64 v[22:23], v[14:15], 2, v[24:25]
	s_and_not1_b32 vcc_lo, exec_lo, s22
	s_cbranch_vccnz .LBB451_31
; %bb.21:                               ;   in Loop: Header=BB451_6 Depth=1
	flat_load_b32 v24, v[22:23]
	s_wait_loadcnt_dscnt 0x0
	v_fma_f32 v24, s27, v24, v16
	flat_store_b32 v[22:23], v24
	s_cbranch_execnz .LBB451_23
.LBB451_22:                             ;   in Loop: Header=BB451_6 Depth=1
	flat_store_b32 v[22:23], v16
.LBB451_23:                             ;   in Loop: Header=BB451_6 Depth=1
	s_wait_xcnt 0x0
	s_or_b32 exec_lo, exec_lo, s18
	v_lshl_add_u64 v[20:21], v[10:11], 2, v[20:21]
	s_and_saveexec_b32 s18, s30
	s_cbranch_execz .LBB451_27
; %bb.24:                               ;   in Loop: Header=BB451_6 Depth=1
	v_mul_f32_e32 v16, s26, v18
	s_delay_alu instid0(VALU_DEP_2)
	v_lshl_add_u64 v[22:23], v[12:13], 2, v[20:21]
	s_and_not1_b32 vcc_lo, exec_lo, s22
	s_cbranch_vccnz .LBB451_32
; %bb.25:                               ;   in Loop: Header=BB451_6 Depth=1
	flat_load_b32 v18, v[22:23]
	s_wait_loadcnt_dscnt 0x0
	v_fma_f32 v18, s27, v18, v16
	flat_store_b32 v[22:23], v18
	s_cbranch_execnz .LBB451_27
.LBB451_26:                             ;   in Loop: Header=BB451_6 Depth=1
	flat_store_b32 v[22:23], v16
.LBB451_27:                             ;   in Loop: Header=BB451_6 Depth=1
	s_wait_xcnt 0x0
	s_or_b32 exec_lo, exec_lo, s18
	s_and_saveexec_b32 s18, s31
	s_cbranch_execz .LBB451_5
; %bb.28:                               ;   in Loop: Header=BB451_6 Depth=1
	v_mul_f32_e32 v16, s26, v19
	v_lshl_add_u64 v[18:19], v[14:15], 2, v[20:21]
	s_and_not1_b32 vcc_lo, exec_lo, s22
	s_cbranch_vccnz .LBB451_33
; %bb.29:                               ;   in Loop: Header=BB451_6 Depth=1
	flat_load_b32 v20, v[18:19]
	s_wait_loadcnt_dscnt 0x0
	v_fma_f32 v20, s27, v20, v16
	flat_store_b32 v[18:19], v20
	s_cbranch_execnz .LBB451_5
	s_branch .LBB451_34
.LBB451_30:                             ;   in Loop: Header=BB451_6 Depth=1
	s_branch .LBB451_18
.LBB451_31:                             ;   in Loop: Header=BB451_6 Depth=1
	s_branch .LBB451_22
.LBB451_32:                             ;   in Loop: Header=BB451_6 Depth=1
	s_branch .LBB451_26
.LBB451_33:                             ;   in Loop: Header=BB451_6 Depth=1
.LBB451_34:                             ;   in Loop: Header=BB451_6 Depth=1
	flat_store_b32 v[18:19], v16
	s_branch .LBB451_5
.LBB451_35:
	s_endpgm
	.section	.rodata,"a",@progbits
	.p2align	6, 0x0
	.amdhsa_kernel _ZL29rocblas_internal_gemmt_kernelIlLi16ELi32ELi8ELc78ELc84ELc85ELb0ELb0EffPKPKfPKPfEviT_T9_T10_S7_lS9_S7_lS8_T11_S7_li
		.amdhsa_group_segment_fixed_size 2048
		.amdhsa_private_segment_fixed_size 0
		.amdhsa_kernarg_size 108
		.amdhsa_user_sgpr_count 2
		.amdhsa_user_sgpr_dispatch_ptr 0
		.amdhsa_user_sgpr_queue_ptr 0
		.amdhsa_user_sgpr_kernarg_segment_ptr 1
		.amdhsa_user_sgpr_dispatch_id 0
		.amdhsa_user_sgpr_kernarg_preload_length 0
		.amdhsa_user_sgpr_kernarg_preload_offset 0
		.amdhsa_user_sgpr_private_segment_size 0
		.amdhsa_wavefront_size32 1
		.amdhsa_uses_dynamic_stack 0
		.amdhsa_enable_private_segment 0
		.amdhsa_system_sgpr_workgroup_id_x 1
		.amdhsa_system_sgpr_workgroup_id_y 1
		.amdhsa_system_sgpr_workgroup_id_z 1
		.amdhsa_system_sgpr_workgroup_info 0
		.amdhsa_system_vgpr_workitem_id 1
		.amdhsa_next_free_vgpr 56
		.amdhsa_next_free_sgpr 37
		.amdhsa_named_barrier_count 0
		.amdhsa_reserve_vcc 1
		.amdhsa_float_round_mode_32 0
		.amdhsa_float_round_mode_16_64 0
		.amdhsa_float_denorm_mode_32 3
		.amdhsa_float_denorm_mode_16_64 3
		.amdhsa_fp16_overflow 0
		.amdhsa_memory_ordered 1
		.amdhsa_forward_progress 1
		.amdhsa_inst_pref_size 14
		.amdhsa_round_robin_scheduling 0
		.amdhsa_exception_fp_ieee_invalid_op 0
		.amdhsa_exception_fp_denorm_src 0
		.amdhsa_exception_fp_ieee_div_zero 0
		.amdhsa_exception_fp_ieee_overflow 0
		.amdhsa_exception_fp_ieee_underflow 0
		.amdhsa_exception_fp_ieee_inexact 0
		.amdhsa_exception_int_div_zero 0
	.end_amdhsa_kernel
	.section	.text._ZL29rocblas_internal_gemmt_kernelIlLi16ELi32ELi8ELc78ELc84ELc85ELb0ELb0EffPKPKfPKPfEviT_T9_T10_S7_lS9_S7_lS8_T11_S7_li,"axG",@progbits,_ZL29rocblas_internal_gemmt_kernelIlLi16ELi32ELi8ELc78ELc84ELc85ELb0ELb0EffPKPKfPKPfEviT_T9_T10_S7_lS9_S7_lS8_T11_S7_li,comdat
.Lfunc_end451:
	.size	_ZL29rocblas_internal_gemmt_kernelIlLi16ELi32ELi8ELc78ELc84ELc85ELb0ELb0EffPKPKfPKPfEviT_T9_T10_S7_lS9_S7_lS8_T11_S7_li, .Lfunc_end451-_ZL29rocblas_internal_gemmt_kernelIlLi16ELi32ELi8ELc78ELc84ELc85ELb0ELb0EffPKPKfPKPfEviT_T9_T10_S7_lS9_S7_lS8_T11_S7_li
                                        ; -- End function
	.set _ZL29rocblas_internal_gemmt_kernelIlLi16ELi32ELi8ELc78ELc84ELc85ELb0ELb0EffPKPKfPKPfEviT_T9_T10_S7_lS9_S7_lS8_T11_S7_li.num_vgpr, 56
	.set _ZL29rocblas_internal_gemmt_kernelIlLi16ELi32ELi8ELc78ELc84ELc85ELb0ELb0EffPKPKfPKPfEviT_T9_T10_S7_lS9_S7_lS8_T11_S7_li.num_agpr, 0
	.set _ZL29rocblas_internal_gemmt_kernelIlLi16ELi32ELi8ELc78ELc84ELc85ELb0ELb0EffPKPKfPKPfEviT_T9_T10_S7_lS9_S7_lS8_T11_S7_li.numbered_sgpr, 37
	.set _ZL29rocblas_internal_gemmt_kernelIlLi16ELi32ELi8ELc78ELc84ELc85ELb0ELb0EffPKPKfPKPfEviT_T9_T10_S7_lS9_S7_lS8_T11_S7_li.num_named_barrier, 0
	.set _ZL29rocblas_internal_gemmt_kernelIlLi16ELi32ELi8ELc78ELc84ELc85ELb0ELb0EffPKPKfPKPfEviT_T9_T10_S7_lS9_S7_lS8_T11_S7_li.private_seg_size, 0
	.set _ZL29rocblas_internal_gemmt_kernelIlLi16ELi32ELi8ELc78ELc84ELc85ELb0ELb0EffPKPKfPKPfEviT_T9_T10_S7_lS9_S7_lS8_T11_S7_li.uses_vcc, 1
	.set _ZL29rocblas_internal_gemmt_kernelIlLi16ELi32ELi8ELc78ELc84ELc85ELb0ELb0EffPKPKfPKPfEviT_T9_T10_S7_lS9_S7_lS8_T11_S7_li.uses_flat_scratch, 0
	.set _ZL29rocblas_internal_gemmt_kernelIlLi16ELi32ELi8ELc78ELc84ELc85ELb0ELb0EffPKPKfPKPfEviT_T9_T10_S7_lS9_S7_lS8_T11_S7_li.has_dyn_sized_stack, 0
	.set _ZL29rocblas_internal_gemmt_kernelIlLi16ELi32ELi8ELc78ELc84ELc85ELb0ELb0EffPKPKfPKPfEviT_T9_T10_S7_lS9_S7_lS8_T11_S7_li.has_recursion, 0
	.set _ZL29rocblas_internal_gemmt_kernelIlLi16ELi32ELi8ELc78ELc84ELc85ELb0ELb0EffPKPKfPKPfEviT_T9_T10_S7_lS9_S7_lS8_T11_S7_li.has_indirect_call, 0
	.section	.AMDGPU.csdata,"",@progbits
; Kernel info:
; codeLenInByte = 1688
; TotalNumSgprs: 39
; NumVgprs: 56
; ScratchSize: 0
; MemoryBound: 0
; FloatMode: 240
; IeeeMode: 1
; LDSByteSize: 2048 bytes/workgroup (compile time only)
; SGPRBlocks: 0
; VGPRBlocks: 3
; NumSGPRsForWavesPerEU: 39
; NumVGPRsForWavesPerEU: 56
; NamedBarCnt: 0
; Occupancy: 16
; WaveLimiterHint : 1
; COMPUTE_PGM_RSRC2:SCRATCH_EN: 0
; COMPUTE_PGM_RSRC2:USER_SGPR: 2
; COMPUTE_PGM_RSRC2:TRAP_HANDLER: 0
; COMPUTE_PGM_RSRC2:TGID_X_EN: 1
; COMPUTE_PGM_RSRC2:TGID_Y_EN: 1
; COMPUTE_PGM_RSRC2:TGID_Z_EN: 1
; COMPUTE_PGM_RSRC2:TIDIG_COMP_CNT: 1
	.section	.text._ZL29rocblas_internal_gemmt_kernelIlLi16ELi32ELi8ELc78ELc67ELc85ELb0ELb0EffPKPKfPKPfEviT_T9_T10_S7_lS9_S7_lS8_T11_S7_li,"axG",@progbits,_ZL29rocblas_internal_gemmt_kernelIlLi16ELi32ELi8ELc78ELc67ELc85ELb0ELb0EffPKPKfPKPfEviT_T9_T10_S7_lS9_S7_lS8_T11_S7_li,comdat
	.globl	_ZL29rocblas_internal_gemmt_kernelIlLi16ELi32ELi8ELc78ELc67ELc85ELb0ELb0EffPKPKfPKPfEviT_T9_T10_S7_lS9_S7_lS8_T11_S7_li ; -- Begin function _ZL29rocblas_internal_gemmt_kernelIlLi16ELi32ELi8ELc78ELc67ELc85ELb0ELb0EffPKPKfPKPfEviT_T9_T10_S7_lS9_S7_lS8_T11_S7_li
	.p2align	8
	.type	_ZL29rocblas_internal_gemmt_kernelIlLi16ELi32ELi8ELc78ELc67ELc85ELb0ELb0EffPKPKfPKPfEviT_T9_T10_S7_lS9_S7_lS8_T11_S7_li,@function
_ZL29rocblas_internal_gemmt_kernelIlLi16ELi32ELi8ELc78ELc67ELc85ELb0ELb0EffPKPKfPKPfEviT_T9_T10_S7_lS9_S7_lS8_T11_S7_li: ; @_ZL29rocblas_internal_gemmt_kernelIlLi16ELi32ELi8ELc78ELc67ELc85ELb0ELb0EffPKPKfPKPfEviT_T9_T10_S7_lS9_S7_lS8_T11_S7_li
; %bb.0:
	s_clause 0x1
	s_load_b32 s27, s[0:1], 0x48
	s_load_b96 s[24:26], s[0:1], 0x8
	s_wait_kmcnt 0x0
	s_cmp_neq_f32 s27, 1.0
	s_cselect_b32 s2, -1, 0
	s_delay_alu instid0(SALU_CYCLE_1)
	s_and_b32 vcc_lo, exec_lo, s2
	s_cbranch_vccnz .LBB452_2
; %bb.1:
	s_cmp_lg_u64 s[24:25], 0
	s_cselect_b32 s2, -1, 0
	s_cmp_neq_f32 s26, 0
	s_cselect_b32 s3, -1, 0
	s_delay_alu instid0(SALU_CYCLE_1)
	s_and_b32 s2, s2, s3
.LBB452_2:
	s_delay_alu instid0(SALU_CYCLE_1)
	s_and_not1_b32 vcc_lo, exec_lo, s2
	s_cbranch_vccnz .LBB452_35
; %bb.3:
	s_load_b32 s28, s[0:1], 0x68
	s_bfe_u32 s2, ttmp6, 0x40014
	s_lshr_b32 s3, ttmp7, 16
	s_add_co_i32 s2, s2, 1
	s_bfe_u32 s5, ttmp6, 0x40008
	s_mul_i32 s4, s3, s2
	s_getreg_b32 s2, hwreg(HW_REG_IB_STS2, 6, 4)
	s_add_co_i32 s5, s5, s4
	s_cmp_eq_u32 s2, 0
	s_mov_b32 s7, 0
	s_cselect_b32 s6, s3, s5
	s_wait_kmcnt 0x0
	s_cmp_ge_u32 s6, s28
	s_cbranch_scc1 .LBB452_35
; %bb.4:
	s_bfe_u32 s5, ttmp6, 0x4000c
	s_bfe_u32 s29, ttmp6, 0x40010
	s_add_co_i32 s5, s5, 1
	s_and_b32 s30, ttmp7, 0xffff
	s_add_co_i32 s29, s29, 1
	v_and_b32_e32 v13, 0x3ff, v0
	v_bfe_u32 v15, v0, 10, 10
	s_and_b32 s4, ttmp6, 15
	s_mul_i32 s5, ttmp9, s5
	s_mul_i32 s29, s30, s29
	s_bfe_u32 s31, ttmp6, 0x40004
	s_add_co_i32 s4, s4, s5
	s_add_co_i32 s31, s31, s29
	s_cmp_eq_u32 s2, 0
	s_clause 0x1
	s_load_b32 s3, s[0:1], 0x0
	s_load_b256 s[8:15], s[0:1], 0x18
	v_lshl_add_u32 v1, v15, 4, v13
	s_clause 0x2
	s_load_b128 s[16:19], s[0:1], 0x38
	s_load_b128 s[20:23], s[0:1], 0x50
	s_load_b64 s[34:35], s[0:1], 0x60
	s_wait_xcnt 0x0
	s_cselect_b32 s0, s30, s31
	s_cselect_b32 s1, ttmp9, s4
	s_lshl_b32 s0, s0, 5
	s_delay_alu instid0(SALU_CYCLE_1) | instskip(SKIP_2) | instid1(VALU_DEP_2)
	v_dual_add_nc_u32 v16, s0, v15 :: v_dual_bitop2_b32 v3, 31, v1 bitop3:0x40
	s_lshl_b32 s2, s1, 5
	v_dual_lshrrev_b32 v2, 5, v1 :: v_dual_bitop2_b32 v0, 7, v0 bitop3:0x40
	v_dual_lshrrev_b32 v1, 3, v1 :: v_dual_bitop2_b32 v4, s2, v3 bitop3:0x54
	s_delay_alu instid0(VALU_DEP_3) | instskip(NEXT) | instid1(VALU_DEP_3)
	v_add_nc_u32_e32 v18, 16, v16
	v_dual_lshlrev_b32 v5, 2, v0 :: v_dual_lshlrev_b32 v3, 2, v3
	s_delay_alu instid0(VALU_DEP_3) | instskip(NEXT) | instid1(VALU_DEP_3)
	v_dual_add_nc_u32 v6, s0, v1 :: v_dual_ashrrev_i32 v17, 31, v16
	v_ashrrev_i32_e32 v19, 31, v18
	s_delay_alu instid0(VALU_DEP_3)
	v_lshl_or_b32 v7, v1, 5, v5
	v_dual_ashrrev_i32 v5, 31, v4 :: v_dual_add_nc_u32 v12, s2, v13
	s_wait_kmcnt 0x0
	v_mul_u64_e32 v[8:9], s[22:23], v[16:17]
	v_mul_u64_e32 v[10:11], s[22:23], v[18:19]
	s_cmp_neq_f32 s26, 0
	v_lshl_or_b32 v1, v2, 7, v3
	v_add_nc_u32_e32 v3, 0x400, v7
	v_dual_ashrrev_i32 v7, 31, v6 :: v_dual_add_nc_u32 v14, 16, v12
	v_cmp_gt_i32_e32 vcc_lo, s3, v16
	v_cmp_le_i32_e64 s2, v12, v16
	s_cselect_b32 s33, -1, 0
	s_cmp_neq_f32 s27, 0
	v_cmp_gt_i64_e64 s36, s[24:25], 0
	v_cmp_gt_i32_e64 s0, s3, v4
	v_cmp_gt_i32_e64 s1, s3, v6
	s_cselect_b32 s22, -1, 0
	s_and_b32 s23, vcc_lo, s2
	v_cmp_le_i32_e64 s2, v14, v16
	v_cmp_gt_i32_e64 s3, s3, v18
	v_cmp_le_i32_e64 s4, v12, v18
	v_cmp_le_i32_e64 s5, v14, v18
	v_dual_lshlrev_b32 v28, 2, v13 :: v_dual_ashrrev_i32 v13, 31, v12
	v_lshl_add_u32 v29, v15, 5, 0x400
	v_dual_ashrrev_i32 v15, 31, v14 :: v_dual_mov_b32 v17, 0
	s_and_b32 s29, vcc_lo, s2
	s_and_b32 s30, s3, s4
	s_and_b32 s31, s3, s5
	;; [unrolled: 1-line block ×3, first 2 shown]
	s_lshl_b64 s[2:3], s[18:19], 2
	s_lshl_b64 s[4:5], s[12:13], 2
	;; [unrolled: 1-line block ×3, first 2 shown]
	s_branch .LBB452_6
.LBB452_5:                              ;   in Loop: Header=BB452_6 Depth=1
	s_wait_xcnt 0x0
	s_or_b32 exec_lo, exec_lo, s18
	s_add_co_i32 s6, s6, 0x10000
	s_delay_alu instid0(SALU_CYCLE_1)
	s_cmp_lt_u32 s6, s28
	s_cbranch_scc0 .LBB452_35
.LBB452_6:                              ; =>This Loop Header: Depth=1
                                        ;     Child Loop BB452_9 Depth 2
	v_dual_mov_b32 v16, s6 :: v_dual_mov_b32 v23, v17
	v_dual_mov_b32 v22, v17 :: v_dual_mov_b32 v19, v17
	v_mov_b32_e32 v18, v17
	global_load_b64 v[20:21], v16, s[20:21] scale_offset
	s_and_not1_b32 vcc_lo, exec_lo, s33
	s_cbranch_vccnz .LBB452_15
; %bb.7:                                ;   in Loop: Header=BB452_6 Depth=1
	s_lshl_b64 s[18:19], s[6:7], 3
	v_mov_b32_e32 v18, 0
	s_add_nc_u64 s[34:35], s[8:9], s[18:19]
	s_add_nc_u64 s[18:19], s[14:15], s[18:19]
	s_clause 0x1
	global_load_b64 v[22:23], v17, s[34:35]
	global_load_b64 v[24:25], v17, s[18:19]
	s_wait_xcnt 0x0
	s_mov_b64 s[18:19], 0
	v_mov_b32_e32 v19, v18
	s_wait_loadcnt 0x1
	v_add_nc_u64_e32 v[26:27], s[4:5], v[22:23]
	s_wait_loadcnt 0x0
	v_add_nc_u64_e32 v[30:31], s[2:3], v[24:25]
	v_dual_mov_b32 v22, v18 :: v_dual_mov_b32 v23, v18
	s_delay_alu instid0(VALU_DEP_3) | instskip(NEXT) | instid1(VALU_DEP_3)
	v_lshl_add_u64 v[24:25], v[4:5], 2, v[26:27]
	v_lshl_add_u64 v[26:27], v[6:7], 2, v[30:31]
	s_branch .LBB452_9
.LBB452_8:                              ;   in Loop: Header=BB452_9 Depth=2
	s_wait_xcnt 0x0
	s_or_b32 exec_lo, exec_lo, s34
	s_wait_loadcnt_dscnt 0x0
	ds_store_b32 v3, v31
	s_wait_dscnt 0x0
	s_barrier_signal -1
	s_barrier_wait -1
	ds_load_b128 v[30:33], v29
	ds_load_2addr_b32 v[46:47], v28 offset1:16
	ds_load_b128 v[34:37], v29 offset:512
	ds_load_2addr_b32 v[48:49], v28 offset0:32 offset1:48
	ds_load_2addr_b32 v[50:51], v28 offset0:64 offset1:80
	;; [unrolled: 1-line block ×3, first 2 shown]
	ds_load_b128 v[38:41], v29 offset:16
	ds_load_2addr_b32 v[54:55], v28 offset0:128 offset1:144
	ds_load_b128 v[42:45], v29 offset:528
	s_add_nc_u64 s[18:19], s[18:19], 8
	s_delay_alu instid0(SALU_CYCLE_1)
	v_cmp_gt_i64_e64 s34, s[24:25], s[18:19]
	s_and_b32 vcc_lo, exec_lo, s34
	s_wait_dscnt 0x8
	v_mov_b32_e32 v16, v33
	s_wait_dscnt 0x7
	v_pk_fma_f32 v[22:23], v[46:47], v[30:31], v[22:23] op_sel_hi:[1,0,1]
	s_wait_dscnt 0x6
	v_pk_fma_f32 v[18:19], v[46:47], v[34:35], v[18:19] op_sel_hi:[1,0,1]
	ds_load_2addr_b32 v[46:47], v28 offset0:160 offset1:176
	s_wait_dscnt 0x6
	v_pk_fma_f32 v[22:23], v[48:49], v[30:31], v[22:23] op_sel:[0,1,0]
	v_pk_fma_f32 v[18:19], v[48:49], v[34:35], v[18:19] op_sel:[0,1,0]
	ds_load_2addr_b32 v[30:31], v28 offset0:192 offset1:208
	v_mov_b32_e32 v34, v37
	s_wait_dscnt 0x6
	v_pk_fma_f32 v[22:23], v[50:51], v[32:33], v[22:23] op_sel_hi:[1,0,1]
	v_pk_fma_f32 v[18:19], v[50:51], v[36:37], v[18:19] op_sel_hi:[1,0,1]
	ds_load_2addr_b32 v[32:33], v28 offset0:224 offset1:240
	s_wait_dscnt 0x0
	s_barrier_signal -1
	v_pk_fma_f32 v[22:23], v[52:53], v[16:17], v[22:23] op_sel_hi:[1,0,1]
	v_pk_fma_f32 v[18:19], v[52:53], v[34:35], v[18:19] op_sel_hi:[1,0,1]
	v_dual_mov_b32 v16, v41 :: v_dual_mov_b32 v34, v45
	s_barrier_wait -1
	s_delay_alu instid0(VALU_DEP_3) | instskip(NEXT) | instid1(VALU_DEP_3)
	v_pk_fma_f32 v[22:23], v[54:55], v[38:39], v[22:23] op_sel_hi:[1,0,1]
	v_pk_fma_f32 v[18:19], v[54:55], v[42:43], v[18:19] op_sel_hi:[1,0,1]
	s_delay_alu instid0(VALU_DEP_2) | instskip(NEXT) | instid1(VALU_DEP_2)
	v_pk_fma_f32 v[22:23], v[46:47], v[38:39], v[22:23] op_sel:[0,1,0]
	v_pk_fma_f32 v[18:19], v[46:47], v[42:43], v[18:19] op_sel:[0,1,0]
	s_delay_alu instid0(VALU_DEP_2) | instskip(NEXT) | instid1(VALU_DEP_2)
	v_pk_fma_f32 v[22:23], v[30:31], v[40:41], v[22:23] op_sel_hi:[1,0,1]
	v_pk_fma_f32 v[18:19], v[30:31], v[44:45], v[18:19] op_sel_hi:[1,0,1]
	s_delay_alu instid0(VALU_DEP_2) | instskip(NEXT) | instid1(VALU_DEP_2)
	v_pk_fma_f32 v[22:23], v[32:33], v[16:17], v[22:23] op_sel_hi:[1,0,1]
	v_pk_fma_f32 v[18:19], v[32:33], v[34:35], v[18:19] op_sel_hi:[1,0,1]
	s_cbranch_vccz .LBB452_15
.LBB452_9:                              ;   Parent Loop BB452_6 Depth=1
                                        ; =>  This Inner Loop Header: Depth=2
	v_mov_b32_e32 v30, 0
	s_and_saveexec_b32 s34, s0
	s_cbranch_execz .LBB452_13
; %bb.10:                               ;   in Loop: Header=BB452_9 Depth=2
	v_dual_add_nc_u32 v16, s18, v2 :: v_dual_mov_b32 v30, 0
	s_mov_b32 s35, exec_lo
	s_delay_alu instid0(VALU_DEP_1)
	v_cmpx_gt_u64_e64 s[24:25], v[16:17]
	s_cbranch_execz .LBB452_12
; %bb.11:                               ;   in Loop: Header=BB452_9 Depth=2
	v_mul_u64_e32 v[30:31], s[10:11], v[16:17]
	s_delay_alu instid0(VALU_DEP_1)
	v_lshl_add_u64 v[30:31], v[30:31], 2, v[24:25]
	flat_load_b32 v30, v[30:31]
.LBB452_12:                             ;   in Loop: Header=BB452_9 Depth=2
	s_wait_xcnt 0x0
	s_or_b32 exec_lo, exec_lo, s35
.LBB452_13:                             ;   in Loop: Header=BB452_9 Depth=2
	s_delay_alu instid0(SALU_CYCLE_1)
	s_or_b32 exec_lo, exec_lo, s34
	v_dual_mov_b32 v31, 0 :: v_dual_add_nc_u32 v16, s18, v0
	s_wait_loadcnt_dscnt 0x0
	ds_store_b32 v1, v30
	v_cmp_gt_u64_e32 vcc_lo, s[24:25], v[16:17]
	s_and_b32 s35, vcc_lo, s1
	s_delay_alu instid0(SALU_CYCLE_1)
	s_and_saveexec_b32 s34, s35
	s_cbranch_execz .LBB452_8
; %bb.14:                               ;   in Loop: Header=BB452_9 Depth=2
	v_mul_u64_e32 v[30:31], s[16:17], v[16:17]
	s_delay_alu instid0(VALU_DEP_1)
	v_lshl_add_u64 v[30:31], v[30:31], 2, v[26:27]
	flat_load_b32 v31, v[30:31]
	s_branch .LBB452_8
.LBB452_15:                             ;   in Loop: Header=BB452_6 Depth=1
	s_wait_loadcnt 0x0
	v_add_nc_u64_e32 v[20:21], s[12:13], v[20:21]
	s_delay_alu instid0(VALU_DEP_1)
	v_lshl_add_u64 v[24:25], v[8:9], 2, v[20:21]
	s_wait_xcnt 0x0
	s_and_saveexec_b32 s18, s23
	s_cbranch_execz .LBB452_19
; %bb.16:                               ;   in Loop: Header=BB452_6 Depth=1
	v_mul_f32_e32 v16, s26, v22
	v_lshl_add_u64 v[26:27], v[12:13], 2, v[24:25]
	s_and_b32 vcc_lo, exec_lo, s22
	s_cbranch_vccz .LBB452_30
; %bb.17:                               ;   in Loop: Header=BB452_6 Depth=1
	flat_load_b32 v22, v[26:27]
	s_wait_loadcnt_dscnt 0x0
	v_fma_f32 v22, s27, v22, v16
	flat_store_b32 v[26:27], v22
	s_cbranch_execnz .LBB452_19
.LBB452_18:                             ;   in Loop: Header=BB452_6 Depth=1
	flat_store_b32 v[26:27], v16
.LBB452_19:                             ;   in Loop: Header=BB452_6 Depth=1
	s_wait_xcnt 0x0
	s_or_b32 exec_lo, exec_lo, s18
	s_and_saveexec_b32 s18, s29
	s_cbranch_execz .LBB452_23
; %bb.20:                               ;   in Loop: Header=BB452_6 Depth=1
	v_mul_f32_e32 v16, s26, v23
	v_lshl_add_u64 v[22:23], v[14:15], 2, v[24:25]
	s_and_not1_b32 vcc_lo, exec_lo, s22
	s_cbranch_vccnz .LBB452_31
; %bb.21:                               ;   in Loop: Header=BB452_6 Depth=1
	flat_load_b32 v24, v[22:23]
	s_wait_loadcnt_dscnt 0x0
	v_fma_f32 v24, s27, v24, v16
	flat_store_b32 v[22:23], v24
	s_cbranch_execnz .LBB452_23
.LBB452_22:                             ;   in Loop: Header=BB452_6 Depth=1
	flat_store_b32 v[22:23], v16
.LBB452_23:                             ;   in Loop: Header=BB452_6 Depth=1
	s_wait_xcnt 0x0
	s_or_b32 exec_lo, exec_lo, s18
	v_lshl_add_u64 v[20:21], v[10:11], 2, v[20:21]
	s_and_saveexec_b32 s18, s30
	s_cbranch_execz .LBB452_27
; %bb.24:                               ;   in Loop: Header=BB452_6 Depth=1
	v_mul_f32_e32 v16, s26, v18
	s_delay_alu instid0(VALU_DEP_2)
	v_lshl_add_u64 v[22:23], v[12:13], 2, v[20:21]
	s_and_not1_b32 vcc_lo, exec_lo, s22
	s_cbranch_vccnz .LBB452_32
; %bb.25:                               ;   in Loop: Header=BB452_6 Depth=1
	flat_load_b32 v18, v[22:23]
	s_wait_loadcnt_dscnt 0x0
	v_fma_f32 v18, s27, v18, v16
	flat_store_b32 v[22:23], v18
	s_cbranch_execnz .LBB452_27
.LBB452_26:                             ;   in Loop: Header=BB452_6 Depth=1
	flat_store_b32 v[22:23], v16
.LBB452_27:                             ;   in Loop: Header=BB452_6 Depth=1
	s_wait_xcnt 0x0
	s_or_b32 exec_lo, exec_lo, s18
	s_and_saveexec_b32 s18, s31
	s_cbranch_execz .LBB452_5
; %bb.28:                               ;   in Loop: Header=BB452_6 Depth=1
	v_mul_f32_e32 v16, s26, v19
	v_lshl_add_u64 v[18:19], v[14:15], 2, v[20:21]
	s_and_not1_b32 vcc_lo, exec_lo, s22
	s_cbranch_vccnz .LBB452_33
; %bb.29:                               ;   in Loop: Header=BB452_6 Depth=1
	flat_load_b32 v20, v[18:19]
	s_wait_loadcnt_dscnt 0x0
	v_fma_f32 v20, s27, v20, v16
	flat_store_b32 v[18:19], v20
	s_cbranch_execnz .LBB452_5
	s_branch .LBB452_34
.LBB452_30:                             ;   in Loop: Header=BB452_6 Depth=1
	s_branch .LBB452_18
.LBB452_31:                             ;   in Loop: Header=BB452_6 Depth=1
	s_branch .LBB452_22
.LBB452_32:                             ;   in Loop: Header=BB452_6 Depth=1
	s_branch .LBB452_26
.LBB452_33:                             ;   in Loop: Header=BB452_6 Depth=1
.LBB452_34:                             ;   in Loop: Header=BB452_6 Depth=1
	flat_store_b32 v[18:19], v16
	s_branch .LBB452_5
.LBB452_35:
	s_endpgm
	.section	.rodata,"a",@progbits
	.p2align	6, 0x0
	.amdhsa_kernel _ZL29rocblas_internal_gemmt_kernelIlLi16ELi32ELi8ELc78ELc67ELc85ELb0ELb0EffPKPKfPKPfEviT_T9_T10_S7_lS9_S7_lS8_T11_S7_li
		.amdhsa_group_segment_fixed_size 2048
		.amdhsa_private_segment_fixed_size 0
		.amdhsa_kernarg_size 108
		.amdhsa_user_sgpr_count 2
		.amdhsa_user_sgpr_dispatch_ptr 0
		.amdhsa_user_sgpr_queue_ptr 0
		.amdhsa_user_sgpr_kernarg_segment_ptr 1
		.amdhsa_user_sgpr_dispatch_id 0
		.amdhsa_user_sgpr_kernarg_preload_length 0
		.amdhsa_user_sgpr_kernarg_preload_offset 0
		.amdhsa_user_sgpr_private_segment_size 0
		.amdhsa_wavefront_size32 1
		.amdhsa_uses_dynamic_stack 0
		.amdhsa_enable_private_segment 0
		.amdhsa_system_sgpr_workgroup_id_x 1
		.amdhsa_system_sgpr_workgroup_id_y 1
		.amdhsa_system_sgpr_workgroup_id_z 1
		.amdhsa_system_sgpr_workgroup_info 0
		.amdhsa_system_vgpr_workitem_id 1
		.amdhsa_next_free_vgpr 56
		.amdhsa_next_free_sgpr 37
		.amdhsa_named_barrier_count 0
		.amdhsa_reserve_vcc 1
		.amdhsa_float_round_mode_32 0
		.amdhsa_float_round_mode_16_64 0
		.amdhsa_float_denorm_mode_32 3
		.amdhsa_float_denorm_mode_16_64 3
		.amdhsa_fp16_overflow 0
		.amdhsa_memory_ordered 1
		.amdhsa_forward_progress 1
		.amdhsa_inst_pref_size 14
		.amdhsa_round_robin_scheduling 0
		.amdhsa_exception_fp_ieee_invalid_op 0
		.amdhsa_exception_fp_denorm_src 0
		.amdhsa_exception_fp_ieee_div_zero 0
		.amdhsa_exception_fp_ieee_overflow 0
		.amdhsa_exception_fp_ieee_underflow 0
		.amdhsa_exception_fp_ieee_inexact 0
		.amdhsa_exception_int_div_zero 0
	.end_amdhsa_kernel
	.section	.text._ZL29rocblas_internal_gemmt_kernelIlLi16ELi32ELi8ELc78ELc67ELc85ELb0ELb0EffPKPKfPKPfEviT_T9_T10_S7_lS9_S7_lS8_T11_S7_li,"axG",@progbits,_ZL29rocblas_internal_gemmt_kernelIlLi16ELi32ELi8ELc78ELc67ELc85ELb0ELb0EffPKPKfPKPfEviT_T9_T10_S7_lS9_S7_lS8_T11_S7_li,comdat
.Lfunc_end452:
	.size	_ZL29rocblas_internal_gemmt_kernelIlLi16ELi32ELi8ELc78ELc67ELc85ELb0ELb0EffPKPKfPKPfEviT_T9_T10_S7_lS9_S7_lS8_T11_S7_li, .Lfunc_end452-_ZL29rocblas_internal_gemmt_kernelIlLi16ELi32ELi8ELc78ELc67ELc85ELb0ELb0EffPKPKfPKPfEviT_T9_T10_S7_lS9_S7_lS8_T11_S7_li
                                        ; -- End function
	.set _ZL29rocblas_internal_gemmt_kernelIlLi16ELi32ELi8ELc78ELc67ELc85ELb0ELb0EffPKPKfPKPfEviT_T9_T10_S7_lS9_S7_lS8_T11_S7_li.num_vgpr, 56
	.set _ZL29rocblas_internal_gemmt_kernelIlLi16ELi32ELi8ELc78ELc67ELc85ELb0ELb0EffPKPKfPKPfEviT_T9_T10_S7_lS9_S7_lS8_T11_S7_li.num_agpr, 0
	.set _ZL29rocblas_internal_gemmt_kernelIlLi16ELi32ELi8ELc78ELc67ELc85ELb0ELb0EffPKPKfPKPfEviT_T9_T10_S7_lS9_S7_lS8_T11_S7_li.numbered_sgpr, 37
	.set _ZL29rocblas_internal_gemmt_kernelIlLi16ELi32ELi8ELc78ELc67ELc85ELb0ELb0EffPKPKfPKPfEviT_T9_T10_S7_lS9_S7_lS8_T11_S7_li.num_named_barrier, 0
	.set _ZL29rocblas_internal_gemmt_kernelIlLi16ELi32ELi8ELc78ELc67ELc85ELb0ELb0EffPKPKfPKPfEviT_T9_T10_S7_lS9_S7_lS8_T11_S7_li.private_seg_size, 0
	.set _ZL29rocblas_internal_gemmt_kernelIlLi16ELi32ELi8ELc78ELc67ELc85ELb0ELb0EffPKPKfPKPfEviT_T9_T10_S7_lS9_S7_lS8_T11_S7_li.uses_vcc, 1
	.set _ZL29rocblas_internal_gemmt_kernelIlLi16ELi32ELi8ELc78ELc67ELc85ELb0ELb0EffPKPKfPKPfEviT_T9_T10_S7_lS9_S7_lS8_T11_S7_li.uses_flat_scratch, 0
	.set _ZL29rocblas_internal_gemmt_kernelIlLi16ELi32ELi8ELc78ELc67ELc85ELb0ELb0EffPKPKfPKPfEviT_T9_T10_S7_lS9_S7_lS8_T11_S7_li.has_dyn_sized_stack, 0
	.set _ZL29rocblas_internal_gemmt_kernelIlLi16ELi32ELi8ELc78ELc67ELc85ELb0ELb0EffPKPKfPKPfEviT_T9_T10_S7_lS9_S7_lS8_T11_S7_li.has_recursion, 0
	.set _ZL29rocblas_internal_gemmt_kernelIlLi16ELi32ELi8ELc78ELc67ELc85ELb0ELb0EffPKPKfPKPfEviT_T9_T10_S7_lS9_S7_lS8_T11_S7_li.has_indirect_call, 0
	.section	.AMDGPU.csdata,"",@progbits
; Kernel info:
; codeLenInByte = 1688
; TotalNumSgprs: 39
; NumVgprs: 56
; ScratchSize: 0
; MemoryBound: 0
; FloatMode: 240
; IeeeMode: 1
; LDSByteSize: 2048 bytes/workgroup (compile time only)
; SGPRBlocks: 0
; VGPRBlocks: 3
; NumSGPRsForWavesPerEU: 39
; NumVGPRsForWavesPerEU: 56
; NamedBarCnt: 0
; Occupancy: 16
; WaveLimiterHint : 1
; COMPUTE_PGM_RSRC2:SCRATCH_EN: 0
; COMPUTE_PGM_RSRC2:USER_SGPR: 2
; COMPUTE_PGM_RSRC2:TRAP_HANDLER: 0
; COMPUTE_PGM_RSRC2:TGID_X_EN: 1
; COMPUTE_PGM_RSRC2:TGID_Y_EN: 1
; COMPUTE_PGM_RSRC2:TGID_Z_EN: 1
; COMPUTE_PGM_RSRC2:TIDIG_COMP_CNT: 1
	.section	.text._ZL29rocblas_internal_gemmt_kernelIlLi16ELi32ELi8ELc84ELc78ELc85ELb0ELb0EffPKPKfPKPfEviT_T9_T10_S7_lS9_S7_lS8_T11_S7_li,"axG",@progbits,_ZL29rocblas_internal_gemmt_kernelIlLi16ELi32ELi8ELc84ELc78ELc85ELb0ELb0EffPKPKfPKPfEviT_T9_T10_S7_lS9_S7_lS8_T11_S7_li,comdat
	.globl	_ZL29rocblas_internal_gemmt_kernelIlLi16ELi32ELi8ELc84ELc78ELc85ELb0ELb0EffPKPKfPKPfEviT_T9_T10_S7_lS9_S7_lS8_T11_S7_li ; -- Begin function _ZL29rocblas_internal_gemmt_kernelIlLi16ELi32ELi8ELc84ELc78ELc85ELb0ELb0EffPKPKfPKPfEviT_T9_T10_S7_lS9_S7_lS8_T11_S7_li
	.p2align	8
	.type	_ZL29rocblas_internal_gemmt_kernelIlLi16ELi32ELi8ELc84ELc78ELc85ELb0ELb0EffPKPKfPKPfEviT_T9_T10_S7_lS9_S7_lS8_T11_S7_li,@function
_ZL29rocblas_internal_gemmt_kernelIlLi16ELi32ELi8ELc84ELc78ELc85ELb0ELb0EffPKPKfPKPfEviT_T9_T10_S7_lS9_S7_lS8_T11_S7_li: ; @_ZL29rocblas_internal_gemmt_kernelIlLi16ELi32ELi8ELc84ELc78ELc85ELb0ELb0EffPKPKfPKPfEviT_T9_T10_S7_lS9_S7_lS8_T11_S7_li
; %bb.0:
	s_clause 0x1
	s_load_b32 s23, s[0:1], 0x48
	s_load_b96 s[20:22], s[0:1], 0x8
	s_wait_kmcnt 0x0
	s_cmp_neq_f32 s23, 1.0
	s_cselect_b32 s2, -1, 0
	s_delay_alu instid0(SALU_CYCLE_1)
	s_and_b32 vcc_lo, exec_lo, s2
	s_cbranch_vccnz .LBB453_2
; %bb.1:
	s_cmp_lg_u64 s[20:21], 0
	s_cselect_b32 s2, -1, 0
	s_cmp_neq_f32 s22, 0
	s_cselect_b32 s3, -1, 0
	s_delay_alu instid0(SALU_CYCLE_1)
	s_and_b32 s2, s2, s3
.LBB453_2:
	s_delay_alu instid0(SALU_CYCLE_1)
	s_and_not1_b32 vcc_lo, exec_lo, s2
	s_cbranch_vccnz .LBB453_35
; %bb.3:
	s_load_b32 s26, s[0:1], 0x68
	s_bfe_u32 s2, ttmp6, 0x40014
	s_lshr_b32 s3, ttmp7, 16
	s_add_co_i32 s2, s2, 1
	s_bfe_u32 s5, ttmp6, 0x40008
	s_mul_i32 s4, s3, s2
	s_getreg_b32 s2, hwreg(HW_REG_IB_STS2, 6, 4)
	s_add_co_i32 s5, s5, s4
	s_cmp_eq_u32 s2, 0
	s_mov_b32 s25, 0
	s_cselect_b32 s24, s3, s5
	s_wait_kmcnt 0x0
	s_cmp_ge_u32 s24, s26
	s_cbranch_scc1 .LBB453_35
; %bb.4:
	s_bfe_u32 s27, ttmp6, 0x4000c
	s_bfe_u32 s29, ttmp6, 0x40010
	s_add_co_i32 s27, s27, 1
	s_and_b32 s30, ttmp7, 0xffff
	s_add_co_i32 s29, s29, 1
	v_and_b32_e32 v20, 0x3ff, v0
	v_bfe_u32 v21, v0, 10, 10
	s_and_b32 s28, ttmp6, 15
	s_mul_i32 s27, ttmp9, s27
	s_mul_i32 s29, s30, s29
	s_bfe_u32 s31, ttmp6, 0x40004
	s_add_co_i32 s28, s28, s27
	s_add_co_i32 s31, s31, s29
	s_cmp_eq_u32 s2, 0
	v_lshl_add_u32 v1, v21, 4, v20
	s_clause 0x2
	s_load_b256 s[8:15], s[0:1], 0x18
	s_load_b128 s[4:7], s[0:1], 0x38
	s_load_b128 s[16:19], s[0:1], 0x50
	s_cselect_b32 s27, s30, s31
	s_cselect_b32 s2, ttmp9, s28
	s_lshl_b32 s27, s27, 5
	v_dual_lshrrev_b32 v2, 5, v1 :: v_dual_bitop2_b32 v0, 7, v0 bitop3:0x40
	v_dual_lshrrev_b32 v3, 3, v1 :: v_dual_bitop2_b32 v1, 31, v1 bitop3:0x40
	v_add_nc_u32_e32 v16, s27, v21
	s_lshl_b32 s2, s2, 5
	s_clause 0x1
	s_load_b32 s3, s[0:1], 0x0
	s_load_b64 s[34:35], s[0:1], 0x60
	v_dual_add_nc_u32 v14, s27, v3 :: v_dual_bitop2_b32 v12, s2, v1 bitop3:0x54
	v_dual_add_nc_u32 v18, 16, v16 :: v_dual_ashrrev_i32 v17, 31, v16
	s_delay_alu instid0(VALU_DEP_2) | instskip(NEXT) | instid1(VALU_DEP_2)
	v_dual_lshlrev_b32 v1, 2, v1 :: v_dual_ashrrev_i32 v15, 31, v14
	v_dual_ashrrev_i32 v13, 31, v12 :: v_dual_ashrrev_i32 v19, 31, v18
	s_wait_kmcnt 0x0
	s_delay_alu instid0(VALU_DEP_3)
	v_mul_u64_e32 v[8:9], s[18:19], v[16:17]
	s_cmp_neq_f32 s22, 0
	v_mul_u64_e32 v[6:7], s[4:5], v[14:15]
	v_mul_u64_e32 v[4:5], s[10:11], v[12:13]
	v_lshlrev_b32_e32 v13, 2, v0
	v_mul_u64_e32 v[10:11], s[18:19], v[18:19]
	v_lshlrev_b32_e32 v28, 2, v20
	s_cselect_b32 s30, -1, 0
	s_cmp_neq_f32 s23, 0
	v_lshl_or_b32 v3, v3, 5, v13
	v_cmp_gt_i32_e64 s0, s3, v12
	v_add_nc_u32_e32 v12, s2, v20
	v_cmp_gt_i32_e64 s1, s3, v14
	v_cmp_gt_i32_e32 vcc_lo, s3, v16
	v_cmp_gt_i64_e64 s10, s[20:21], 0
	s_cselect_b32 s18, -1, 0
	v_cmp_le_i32_e64 s2, v12, v16
	v_dual_add_nc_u32 v14, 16, v12 :: v_dual_ashrrev_i32 v13, 31, v12
	v_cmp_gt_i32_e64 s3, s3, v18
	v_cmp_le_i32_e64 s4, v12, v18
	s_and_b32 s19, vcc_lo, s2
	v_cmp_le_i32_e64 s2, v14, v16
	v_cmp_le_i32_e64 s5, v14, v18
	v_lshl_or_b32 v1, v2, 7, v1
	v_add_nc_u32_e32 v3, 0x400, v3
	v_lshl_add_u32 v29, v21, 5, 0x400
	v_dual_ashrrev_i32 v15, 31, v14 :: v_dual_mov_b32 v17, 0
	s_and_b32 s27, vcc_lo, s2
	s_and_b32 s28, s3, s4
	s_and_b32 s29, s3, s5
	;; [unrolled: 1-line block ×3, first 2 shown]
	s_lshl_b64 s[2:3], s[6:7], 2
	s_lshl_b64 s[4:5], s[12:13], 2
	;; [unrolled: 1-line block ×3, first 2 shown]
	s_branch .LBB453_6
.LBB453_5:                              ;   in Loop: Header=BB453_6 Depth=1
	s_wait_xcnt 0x0
	s_or_b32 exec_lo, exec_lo, s10
	s_add_co_i32 s24, s24, 0x10000
	s_delay_alu instid0(SALU_CYCLE_1)
	s_cmp_lt_u32 s24, s26
	s_cbranch_scc0 .LBB453_35
.LBB453_6:                              ; =>This Loop Header: Depth=1
                                        ;     Child Loop BB453_9 Depth 2
	v_dual_mov_b32 v16, s24 :: v_dual_mov_b32 v23, v17
	v_dual_mov_b32 v22, v17 :: v_dual_mov_b32 v19, v17
	v_mov_b32_e32 v18, v17
	global_load_b64 v[20:21], v16, s[16:17] scale_offset
	s_and_not1_b32 vcc_lo, exec_lo, s30
	s_cbranch_vccnz .LBB453_15
; %bb.7:                                ;   in Loop: Header=BB453_6 Depth=1
	s_lshl_b64 s[10:11], s[24:25], 3
	v_mov_b32_e32 v18, 0
	s_add_nc_u64 s[12:13], s[8:9], s[10:11]
	s_add_nc_u64 s[10:11], s[14:15], s[10:11]
	s_clause 0x1
	global_load_b64 v[22:23], v17, s[12:13]
	global_load_b64 v[24:25], v17, s[10:11]
	s_wait_xcnt 0x0
	s_mov_b64 s[10:11], 0
	v_mov_b32_e32 v19, v18
	s_wait_loadcnt 0x1
	v_add_nc_u64_e32 v[26:27], s[4:5], v[22:23]
	s_wait_loadcnt 0x0
	v_add_nc_u64_e32 v[30:31], s[2:3], v[24:25]
	v_dual_mov_b32 v22, v18 :: v_dual_mov_b32 v23, v18
	s_delay_alu instid0(VALU_DEP_3) | instskip(NEXT) | instid1(VALU_DEP_3)
	v_lshl_add_u64 v[24:25], v[4:5], 2, v[26:27]
	v_lshl_add_u64 v[26:27], v[6:7], 2, v[30:31]
	s_branch .LBB453_9
.LBB453_8:                              ;   in Loop: Header=BB453_9 Depth=2
	s_wait_xcnt 0x0
	s_or_b32 exec_lo, exec_lo, s12
	s_wait_loadcnt_dscnt 0x0
	ds_store_b32 v3, v31
	s_wait_dscnt 0x0
	s_barrier_signal -1
	s_barrier_wait -1
	ds_load_b128 v[30:33], v29
	ds_load_2addr_b32 v[46:47], v28 offset1:16
	ds_load_b128 v[34:37], v29 offset:512
	ds_load_2addr_b32 v[48:49], v28 offset0:32 offset1:48
	ds_load_2addr_b32 v[50:51], v28 offset0:64 offset1:80
	;; [unrolled: 1-line block ×3, first 2 shown]
	ds_load_b128 v[38:41], v29 offset:16
	ds_load_2addr_b32 v[54:55], v28 offset0:128 offset1:144
	ds_load_b128 v[42:45], v29 offset:528
	s_add_nc_u64 s[10:11], s[10:11], 8
	s_delay_alu instid0(SALU_CYCLE_1)
	v_cmp_gt_i64_e64 s12, s[20:21], s[10:11]
	s_and_b32 vcc_lo, exec_lo, s12
	s_wait_dscnt 0x8
	v_mov_b32_e32 v16, v33
	s_wait_dscnt 0x7
	v_pk_fma_f32 v[22:23], v[46:47], v[30:31], v[22:23] op_sel_hi:[1,0,1]
	s_wait_dscnt 0x6
	v_pk_fma_f32 v[18:19], v[46:47], v[34:35], v[18:19] op_sel_hi:[1,0,1]
	ds_load_2addr_b32 v[46:47], v28 offset0:160 offset1:176
	s_wait_dscnt 0x6
	v_pk_fma_f32 v[22:23], v[48:49], v[30:31], v[22:23] op_sel:[0,1,0]
	v_pk_fma_f32 v[18:19], v[48:49], v[34:35], v[18:19] op_sel:[0,1,0]
	ds_load_2addr_b32 v[30:31], v28 offset0:192 offset1:208
	v_mov_b32_e32 v34, v37
	s_wait_dscnt 0x6
	v_pk_fma_f32 v[22:23], v[50:51], v[32:33], v[22:23] op_sel_hi:[1,0,1]
	v_pk_fma_f32 v[18:19], v[50:51], v[36:37], v[18:19] op_sel_hi:[1,0,1]
	ds_load_2addr_b32 v[32:33], v28 offset0:224 offset1:240
	s_wait_dscnt 0x0
	s_barrier_signal -1
	v_pk_fma_f32 v[22:23], v[52:53], v[16:17], v[22:23] op_sel_hi:[1,0,1]
	v_pk_fma_f32 v[18:19], v[52:53], v[34:35], v[18:19] op_sel_hi:[1,0,1]
	v_dual_mov_b32 v16, v41 :: v_dual_mov_b32 v34, v45
	s_barrier_wait -1
	s_delay_alu instid0(VALU_DEP_3) | instskip(NEXT) | instid1(VALU_DEP_3)
	v_pk_fma_f32 v[22:23], v[54:55], v[38:39], v[22:23] op_sel_hi:[1,0,1]
	v_pk_fma_f32 v[18:19], v[54:55], v[42:43], v[18:19] op_sel_hi:[1,0,1]
	s_delay_alu instid0(VALU_DEP_2) | instskip(NEXT) | instid1(VALU_DEP_2)
	v_pk_fma_f32 v[22:23], v[46:47], v[38:39], v[22:23] op_sel:[0,1,0]
	v_pk_fma_f32 v[18:19], v[46:47], v[42:43], v[18:19] op_sel:[0,1,0]
	s_delay_alu instid0(VALU_DEP_2) | instskip(NEXT) | instid1(VALU_DEP_2)
	v_pk_fma_f32 v[22:23], v[30:31], v[40:41], v[22:23] op_sel_hi:[1,0,1]
	v_pk_fma_f32 v[18:19], v[30:31], v[44:45], v[18:19] op_sel_hi:[1,0,1]
	s_delay_alu instid0(VALU_DEP_2) | instskip(NEXT) | instid1(VALU_DEP_2)
	v_pk_fma_f32 v[22:23], v[32:33], v[16:17], v[22:23] op_sel_hi:[1,0,1]
	v_pk_fma_f32 v[18:19], v[32:33], v[34:35], v[18:19] op_sel_hi:[1,0,1]
	s_cbranch_vccz .LBB453_15
.LBB453_9:                              ;   Parent Loop BB453_6 Depth=1
                                        ; =>  This Inner Loop Header: Depth=2
	v_mov_b32_e32 v30, 0
	s_and_saveexec_b32 s12, s0
	s_cbranch_execz .LBB453_13
; %bb.10:                               ;   in Loop: Header=BB453_9 Depth=2
	v_dual_add_nc_u32 v16, s10, v2 :: v_dual_mov_b32 v30, 0
	s_mov_b32 s13, exec_lo
	s_delay_alu instid0(VALU_DEP_1)
	v_cmpx_gt_u64_e64 s[20:21], v[16:17]
	s_cbranch_execz .LBB453_12
; %bb.11:                               ;   in Loop: Header=BB453_9 Depth=2
	v_lshl_add_u64 v[30:31], v[16:17], 2, v[24:25]
	flat_load_b32 v30, v[30:31]
.LBB453_12:                             ;   in Loop: Header=BB453_9 Depth=2
	s_wait_xcnt 0x0
	s_or_b32 exec_lo, exec_lo, s13
.LBB453_13:                             ;   in Loop: Header=BB453_9 Depth=2
	s_delay_alu instid0(SALU_CYCLE_1)
	s_or_b32 exec_lo, exec_lo, s12
	v_dual_mov_b32 v31, 0 :: v_dual_add_nc_u32 v16, s10, v0
	s_wait_loadcnt_dscnt 0x0
	ds_store_b32 v1, v30
	v_cmp_gt_u64_e32 vcc_lo, s[20:21], v[16:17]
	s_and_b32 s13, vcc_lo, s1
	s_delay_alu instid0(SALU_CYCLE_1)
	s_and_saveexec_b32 s12, s13
	s_cbranch_execz .LBB453_8
; %bb.14:                               ;   in Loop: Header=BB453_9 Depth=2
	v_lshl_add_u64 v[30:31], v[16:17], 2, v[26:27]
	flat_load_b32 v31, v[30:31]
	s_branch .LBB453_8
.LBB453_15:                             ;   in Loop: Header=BB453_6 Depth=1
	s_wait_loadcnt 0x0
	v_add_nc_u64_e32 v[20:21], s[6:7], v[20:21]
	s_delay_alu instid0(VALU_DEP_1)
	v_lshl_add_u64 v[24:25], v[8:9], 2, v[20:21]
	s_wait_xcnt 0x0
	s_and_saveexec_b32 s10, s19
	s_cbranch_execz .LBB453_19
; %bb.16:                               ;   in Loop: Header=BB453_6 Depth=1
	v_mul_f32_e32 v16, s22, v22
	v_lshl_add_u64 v[26:27], v[12:13], 2, v[24:25]
	s_and_b32 vcc_lo, exec_lo, s18
	s_cbranch_vccz .LBB453_30
; %bb.17:                               ;   in Loop: Header=BB453_6 Depth=1
	flat_load_b32 v22, v[26:27]
	s_wait_loadcnt_dscnt 0x0
	v_fma_f32 v22, s23, v22, v16
	flat_store_b32 v[26:27], v22
	s_cbranch_execnz .LBB453_19
.LBB453_18:                             ;   in Loop: Header=BB453_6 Depth=1
	flat_store_b32 v[26:27], v16
.LBB453_19:                             ;   in Loop: Header=BB453_6 Depth=1
	s_wait_xcnt 0x0
	s_or_b32 exec_lo, exec_lo, s10
	s_and_saveexec_b32 s10, s27
	s_cbranch_execz .LBB453_23
; %bb.20:                               ;   in Loop: Header=BB453_6 Depth=1
	v_mul_f32_e32 v16, s22, v23
	v_lshl_add_u64 v[22:23], v[14:15], 2, v[24:25]
	s_and_not1_b32 vcc_lo, exec_lo, s18
	s_cbranch_vccnz .LBB453_31
; %bb.21:                               ;   in Loop: Header=BB453_6 Depth=1
	flat_load_b32 v24, v[22:23]
	s_wait_loadcnt_dscnt 0x0
	v_fma_f32 v24, s23, v24, v16
	flat_store_b32 v[22:23], v24
	s_cbranch_execnz .LBB453_23
.LBB453_22:                             ;   in Loop: Header=BB453_6 Depth=1
	flat_store_b32 v[22:23], v16
.LBB453_23:                             ;   in Loop: Header=BB453_6 Depth=1
	s_wait_xcnt 0x0
	s_or_b32 exec_lo, exec_lo, s10
	v_lshl_add_u64 v[20:21], v[10:11], 2, v[20:21]
	s_and_saveexec_b32 s10, s28
	s_cbranch_execz .LBB453_27
; %bb.24:                               ;   in Loop: Header=BB453_6 Depth=1
	v_mul_f32_e32 v16, s22, v18
	s_delay_alu instid0(VALU_DEP_2)
	v_lshl_add_u64 v[22:23], v[12:13], 2, v[20:21]
	s_and_not1_b32 vcc_lo, exec_lo, s18
	s_cbranch_vccnz .LBB453_32
; %bb.25:                               ;   in Loop: Header=BB453_6 Depth=1
	flat_load_b32 v18, v[22:23]
	s_wait_loadcnt_dscnt 0x0
	v_fma_f32 v18, s23, v18, v16
	flat_store_b32 v[22:23], v18
	s_cbranch_execnz .LBB453_27
.LBB453_26:                             ;   in Loop: Header=BB453_6 Depth=1
	flat_store_b32 v[22:23], v16
.LBB453_27:                             ;   in Loop: Header=BB453_6 Depth=1
	s_wait_xcnt 0x0
	s_or_b32 exec_lo, exec_lo, s10
	s_and_saveexec_b32 s10, s29
	s_cbranch_execz .LBB453_5
; %bb.28:                               ;   in Loop: Header=BB453_6 Depth=1
	v_mul_f32_e32 v16, s22, v19
	v_lshl_add_u64 v[18:19], v[14:15], 2, v[20:21]
	s_and_not1_b32 vcc_lo, exec_lo, s18
	s_cbranch_vccnz .LBB453_33
; %bb.29:                               ;   in Loop: Header=BB453_6 Depth=1
	flat_load_b32 v20, v[18:19]
	s_wait_loadcnt_dscnt 0x0
	v_fma_f32 v20, s23, v20, v16
	flat_store_b32 v[18:19], v20
	s_cbranch_execnz .LBB453_5
	s_branch .LBB453_34
.LBB453_30:                             ;   in Loop: Header=BB453_6 Depth=1
	s_branch .LBB453_18
.LBB453_31:                             ;   in Loop: Header=BB453_6 Depth=1
	s_branch .LBB453_22
.LBB453_32:                             ;   in Loop: Header=BB453_6 Depth=1
	s_branch .LBB453_26
.LBB453_33:                             ;   in Loop: Header=BB453_6 Depth=1
.LBB453_34:                             ;   in Loop: Header=BB453_6 Depth=1
	flat_store_b32 v[18:19], v16
	s_branch .LBB453_5
.LBB453_35:
	s_endpgm
	.section	.rodata,"a",@progbits
	.p2align	6, 0x0
	.amdhsa_kernel _ZL29rocblas_internal_gemmt_kernelIlLi16ELi32ELi8ELc84ELc78ELc85ELb0ELb0EffPKPKfPKPfEviT_T9_T10_S7_lS9_S7_lS8_T11_S7_li
		.amdhsa_group_segment_fixed_size 2048
		.amdhsa_private_segment_fixed_size 0
		.amdhsa_kernarg_size 108
		.amdhsa_user_sgpr_count 2
		.amdhsa_user_sgpr_dispatch_ptr 0
		.amdhsa_user_sgpr_queue_ptr 0
		.amdhsa_user_sgpr_kernarg_segment_ptr 1
		.amdhsa_user_sgpr_dispatch_id 0
		.amdhsa_user_sgpr_kernarg_preload_length 0
		.amdhsa_user_sgpr_kernarg_preload_offset 0
		.amdhsa_user_sgpr_private_segment_size 0
		.amdhsa_wavefront_size32 1
		.amdhsa_uses_dynamic_stack 0
		.amdhsa_enable_private_segment 0
		.amdhsa_system_sgpr_workgroup_id_x 1
		.amdhsa_system_sgpr_workgroup_id_y 1
		.amdhsa_system_sgpr_workgroup_id_z 1
		.amdhsa_system_sgpr_workgroup_info 0
		.amdhsa_system_vgpr_workitem_id 1
		.amdhsa_next_free_vgpr 56
		.amdhsa_next_free_sgpr 36
		.amdhsa_named_barrier_count 0
		.amdhsa_reserve_vcc 1
		.amdhsa_float_round_mode_32 0
		.amdhsa_float_round_mode_16_64 0
		.amdhsa_float_denorm_mode_32 3
		.amdhsa_float_denorm_mode_16_64 3
		.amdhsa_fp16_overflow 0
		.amdhsa_memory_ordered 1
		.amdhsa_forward_progress 1
		.amdhsa_inst_pref_size 13
		.amdhsa_round_robin_scheduling 0
		.amdhsa_exception_fp_ieee_invalid_op 0
		.amdhsa_exception_fp_denorm_src 0
		.amdhsa_exception_fp_ieee_div_zero 0
		.amdhsa_exception_fp_ieee_overflow 0
		.amdhsa_exception_fp_ieee_underflow 0
		.amdhsa_exception_fp_ieee_inexact 0
		.amdhsa_exception_int_div_zero 0
	.end_amdhsa_kernel
	.section	.text._ZL29rocblas_internal_gemmt_kernelIlLi16ELi32ELi8ELc84ELc78ELc85ELb0ELb0EffPKPKfPKPfEviT_T9_T10_S7_lS9_S7_lS8_T11_S7_li,"axG",@progbits,_ZL29rocblas_internal_gemmt_kernelIlLi16ELi32ELi8ELc84ELc78ELc85ELb0ELb0EffPKPKfPKPfEviT_T9_T10_S7_lS9_S7_lS8_T11_S7_li,comdat
.Lfunc_end453:
	.size	_ZL29rocblas_internal_gemmt_kernelIlLi16ELi32ELi8ELc84ELc78ELc85ELb0ELb0EffPKPKfPKPfEviT_T9_T10_S7_lS9_S7_lS8_T11_S7_li, .Lfunc_end453-_ZL29rocblas_internal_gemmt_kernelIlLi16ELi32ELi8ELc84ELc78ELc85ELb0ELb0EffPKPKfPKPfEviT_T9_T10_S7_lS9_S7_lS8_T11_S7_li
                                        ; -- End function
	.set _ZL29rocblas_internal_gemmt_kernelIlLi16ELi32ELi8ELc84ELc78ELc85ELb0ELb0EffPKPKfPKPfEviT_T9_T10_S7_lS9_S7_lS8_T11_S7_li.num_vgpr, 56
	.set _ZL29rocblas_internal_gemmt_kernelIlLi16ELi32ELi8ELc84ELc78ELc85ELb0ELb0EffPKPKfPKPfEviT_T9_T10_S7_lS9_S7_lS8_T11_S7_li.num_agpr, 0
	.set _ZL29rocblas_internal_gemmt_kernelIlLi16ELi32ELi8ELc84ELc78ELc85ELb0ELb0EffPKPKfPKPfEviT_T9_T10_S7_lS9_S7_lS8_T11_S7_li.numbered_sgpr, 36
	.set _ZL29rocblas_internal_gemmt_kernelIlLi16ELi32ELi8ELc84ELc78ELc85ELb0ELb0EffPKPKfPKPfEviT_T9_T10_S7_lS9_S7_lS8_T11_S7_li.num_named_barrier, 0
	.set _ZL29rocblas_internal_gemmt_kernelIlLi16ELi32ELi8ELc84ELc78ELc85ELb0ELb0EffPKPKfPKPfEviT_T9_T10_S7_lS9_S7_lS8_T11_S7_li.private_seg_size, 0
	.set _ZL29rocblas_internal_gemmt_kernelIlLi16ELi32ELi8ELc84ELc78ELc85ELb0ELb0EffPKPKfPKPfEviT_T9_T10_S7_lS9_S7_lS8_T11_S7_li.uses_vcc, 1
	.set _ZL29rocblas_internal_gemmt_kernelIlLi16ELi32ELi8ELc84ELc78ELc85ELb0ELb0EffPKPKfPKPfEviT_T9_T10_S7_lS9_S7_lS8_T11_S7_li.uses_flat_scratch, 0
	.set _ZL29rocblas_internal_gemmt_kernelIlLi16ELi32ELi8ELc84ELc78ELc85ELb0ELb0EffPKPKfPKPfEviT_T9_T10_S7_lS9_S7_lS8_T11_S7_li.has_dyn_sized_stack, 0
	.set _ZL29rocblas_internal_gemmt_kernelIlLi16ELi32ELi8ELc84ELc78ELc85ELb0ELb0EffPKPKfPKPfEviT_T9_T10_S7_lS9_S7_lS8_T11_S7_li.has_recursion, 0
	.set _ZL29rocblas_internal_gemmt_kernelIlLi16ELi32ELi8ELc84ELc78ELc85ELb0ELb0EffPKPKfPKPfEviT_T9_T10_S7_lS9_S7_lS8_T11_S7_li.has_indirect_call, 0
	.section	.AMDGPU.csdata,"",@progbits
; Kernel info:
; codeLenInByte = 1664
; TotalNumSgprs: 38
; NumVgprs: 56
; ScratchSize: 0
; MemoryBound: 0
; FloatMode: 240
; IeeeMode: 1
; LDSByteSize: 2048 bytes/workgroup (compile time only)
; SGPRBlocks: 0
; VGPRBlocks: 3
; NumSGPRsForWavesPerEU: 38
; NumVGPRsForWavesPerEU: 56
; NamedBarCnt: 0
; Occupancy: 16
; WaveLimiterHint : 1
; COMPUTE_PGM_RSRC2:SCRATCH_EN: 0
; COMPUTE_PGM_RSRC2:USER_SGPR: 2
; COMPUTE_PGM_RSRC2:TRAP_HANDLER: 0
; COMPUTE_PGM_RSRC2:TGID_X_EN: 1
; COMPUTE_PGM_RSRC2:TGID_Y_EN: 1
; COMPUTE_PGM_RSRC2:TGID_Z_EN: 1
; COMPUTE_PGM_RSRC2:TIDIG_COMP_CNT: 1
	.section	.text._ZL29rocblas_internal_gemmt_kernelIlLi16ELi32ELi8ELc84ELc84ELc85ELb0ELb0EffPKPKfPKPfEviT_T9_T10_S7_lS9_S7_lS8_T11_S7_li,"axG",@progbits,_ZL29rocblas_internal_gemmt_kernelIlLi16ELi32ELi8ELc84ELc84ELc85ELb0ELb0EffPKPKfPKPfEviT_T9_T10_S7_lS9_S7_lS8_T11_S7_li,comdat
	.globl	_ZL29rocblas_internal_gemmt_kernelIlLi16ELi32ELi8ELc84ELc84ELc85ELb0ELb0EffPKPKfPKPfEviT_T9_T10_S7_lS9_S7_lS8_T11_S7_li ; -- Begin function _ZL29rocblas_internal_gemmt_kernelIlLi16ELi32ELi8ELc84ELc84ELc85ELb0ELb0EffPKPKfPKPfEviT_T9_T10_S7_lS9_S7_lS8_T11_S7_li
	.p2align	8
	.type	_ZL29rocblas_internal_gemmt_kernelIlLi16ELi32ELi8ELc84ELc84ELc85ELb0ELb0EffPKPKfPKPfEviT_T9_T10_S7_lS9_S7_lS8_T11_S7_li,@function
_ZL29rocblas_internal_gemmt_kernelIlLi16ELi32ELi8ELc84ELc84ELc85ELb0ELb0EffPKPKfPKPfEviT_T9_T10_S7_lS9_S7_lS8_T11_S7_li: ; @_ZL29rocblas_internal_gemmt_kernelIlLi16ELi32ELi8ELc84ELc84ELc85ELb0ELb0EffPKPKfPKPfEviT_T9_T10_S7_lS9_S7_lS8_T11_S7_li
; %bb.0:
	s_clause 0x1
	s_load_b32 s27, s[0:1], 0x48
	s_load_b96 s[24:26], s[0:1], 0x8
	s_wait_kmcnt 0x0
	s_cmp_neq_f32 s27, 1.0
	s_cselect_b32 s2, -1, 0
	s_delay_alu instid0(SALU_CYCLE_1)
	s_and_b32 vcc_lo, exec_lo, s2
	s_cbranch_vccnz .LBB454_2
; %bb.1:
	s_cmp_lg_u64 s[24:25], 0
	s_cselect_b32 s2, -1, 0
	s_cmp_neq_f32 s26, 0
	s_cselect_b32 s3, -1, 0
	s_delay_alu instid0(SALU_CYCLE_1)
	s_and_b32 s2, s2, s3
.LBB454_2:
	s_delay_alu instid0(SALU_CYCLE_1)
	s_and_not1_b32 vcc_lo, exec_lo, s2
	s_cbranch_vccnz .LBB454_35
; %bb.3:
	s_load_b32 s30, s[0:1], 0x68
	s_bfe_u32 s2, ttmp6, 0x40014
	s_lshr_b32 s3, ttmp7, 16
	s_add_co_i32 s2, s2, 1
	s_bfe_u32 s5, ttmp6, 0x40008
	s_mul_i32 s4, s3, s2
	s_getreg_b32 s2, hwreg(HW_REG_IB_STS2, 6, 4)
	s_add_co_i32 s5, s5, s4
	s_cmp_eq_u32 s2, 0
	s_mov_b32 s7, 0
	s_cselect_b32 s6, s3, s5
	s_wait_kmcnt 0x0
	s_cmp_ge_u32 s6, s30
	s_cbranch_scc1 .LBB454_35
; %bb.4:
	s_clause 0x4
	s_load_b32 s3, s[0:1], 0x0
	s_load_b256 s[8:15], s[0:1], 0x18
	s_load_b64 s[28:29], s[0:1], 0x60
	s_load_b128 s[16:19], s[0:1], 0x38
	s_load_b128 s[20:23], s[0:1], 0x50
	s_wait_xcnt 0x0
	s_bfe_u32 s0, ttmp6, 0x4000c
	s_bfe_u32 s4, ttmp6, 0x40010
	s_add_co_i32 s0, s0, 1
	s_and_b32 s5, ttmp7, 0xffff
	s_add_co_i32 s4, s4, 1
	v_and_b32_e32 v15, 0x3ff, v0
	v_bfe_u32 v20, v0, 10, 10
	s_and_b32 s1, ttmp6, 15
	s_mul_i32 s0, ttmp9, s0
	s_mul_i32 s4, s5, s4
	s_bfe_u32 s31, ttmp6, 0x40004
	s_add_co_i32 s1, s1, s0
	s_add_co_i32 s31, s31, s4
	s_cmp_eq_u32 s2, 0
	v_lshl_add_u32 v1, v20, 4, v15
	s_cselect_b32 s0, s5, s31
	s_cselect_b32 s1, ttmp9, s1
	s_lshl_b32 s0, s0, 5
	s_delay_alu instid0(VALU_DEP_1) | instskip(SKIP_3) | instid1(VALU_DEP_2)
	v_dual_lshrrev_b32 v2, 5, v1 :: v_dual_bitop2_b32 v0, 7, v0 bitop3:0x40
	v_dual_lshrrev_b32 v1, 3, v1 :: v_dual_bitop2_b32 v3, 31, v1 bitop3:0x40
	s_lshl_b32 s2, s1, 5
	v_add_nc_u32_e32 v16, s0, v20
	v_dual_lshlrev_b32 v5, 2, v0 :: v_dual_bitop2_b32 v12, s2, v3 bitop3:0x54
	s_delay_alu instid0(VALU_DEP_3) | instskip(NEXT) | instid1(VALU_DEP_3)
	v_dual_add_nc_u32 v4, s0, v1 :: v_dual_lshlrev_b32 v3, 2, v3
	v_dual_ashrrev_i32 v17, 31, v16 :: v_dual_add_nc_u32 v18, 16, v16
	s_delay_alu instid0(VALU_DEP_3)
	v_ashrrev_i32_e32 v13, 31, v12
	s_wait_kmcnt 0x0
	v_cmp_gt_i32_e64 s0, s3, v12
	s_cmp_neq_f32 s26, 0
	v_mul_u64_e32 v[8:9], s[22:23], v[16:17]
	v_ashrrev_i32_e32 v19, 31, v18
	v_mul_u64_e32 v[6:7], s[10:11], v[12:13]
	v_add_nc_u32_e32 v12, s2, v15
	v_cmp_gt_i32_e32 vcc_lo, s3, v16
	s_cselect_b32 s35, -1, 0
	v_mul_u64_e32 v[10:11], s[22:23], v[18:19]
	s_cmp_neq_f32 s27, 0
	v_cmp_le_i32_e64 s2, v12, v16
	v_dual_add_nc_u32 v14, 16, v12 :: v_dual_ashrrev_i32 v13, 31, v12
	v_lshl_or_b32 v5, v1, 5, v5
	v_cmp_gt_i64_e64 s36, s[24:25], 0
	v_cmp_gt_i32_e64 s1, s3, v4
	s_cselect_b32 s22, -1, 0
	s_and_b32 s23, vcc_lo, s2
	v_cmp_le_i32_e64 s2, v14, v16
	v_cmp_gt_i32_e64 s3, s3, v18
	v_cmp_le_i32_e64 s4, v12, v18
	v_cmp_le_i32_e64 s5, v14, v18
	v_lshl_or_b32 v1, v2, 7, v3
	v_add_nc_u32_e32 v3, 0x400, v5
	v_dual_ashrrev_i32 v5, 31, v4 :: v_dual_lshlrev_b32 v28, 2, v15
	v_lshl_add_u32 v29, v20, 5, 0x400
	v_dual_ashrrev_i32 v15, 31, v14 :: v_dual_mov_b32 v17, 0
	s_and_b32 s31, vcc_lo, s2
	s_and_b32 s33, s3, s4
	s_and_b32 s34, s3, s5
	;; [unrolled: 1-line block ×3, first 2 shown]
	s_lshl_b64 s[2:3], s[18:19], 2
	s_lshl_b64 s[4:5], s[12:13], 2
	;; [unrolled: 1-line block ×3, first 2 shown]
	s_branch .LBB454_6
.LBB454_5:                              ;   in Loop: Header=BB454_6 Depth=1
	s_wait_xcnt 0x0
	s_or_b32 exec_lo, exec_lo, s12
	s_add_co_i32 s6, s6, 0x10000
	s_delay_alu instid0(SALU_CYCLE_1)
	s_cmp_lt_u32 s6, s30
	s_cbranch_scc0 .LBB454_35
.LBB454_6:                              ; =>This Loop Header: Depth=1
                                        ;     Child Loop BB454_9 Depth 2
	v_dual_mov_b32 v16, s6 :: v_dual_mov_b32 v23, v17
	v_dual_mov_b32 v22, v17 :: v_dual_mov_b32 v19, v17
	v_mov_b32_e32 v18, v17
	global_load_b64 v[20:21], v16, s[20:21] scale_offset
	s_and_not1_b32 vcc_lo, exec_lo, s35
	s_cbranch_vccnz .LBB454_15
; %bb.7:                                ;   in Loop: Header=BB454_6 Depth=1
	s_lshl_b64 s[12:13], s[6:7], 3
	v_mov_b32_e32 v18, 0
	s_add_nc_u64 s[18:19], s[8:9], s[12:13]
	s_add_nc_u64 s[12:13], s[14:15], s[12:13]
	s_clause 0x1
	global_load_b64 v[22:23], v17, s[18:19]
	global_load_b64 v[24:25], v17, s[12:13]
	s_wait_xcnt 0x0
	s_mov_b64 s[12:13], 0
	v_mov_b32_e32 v19, v18
	s_wait_loadcnt 0x1
	v_add_nc_u64_e32 v[26:27], s[4:5], v[22:23]
	s_wait_loadcnt 0x0
	v_add_nc_u64_e32 v[30:31], s[2:3], v[24:25]
	v_dual_mov_b32 v22, v18 :: v_dual_mov_b32 v23, v18
	s_delay_alu instid0(VALU_DEP_3) | instskip(NEXT) | instid1(VALU_DEP_3)
	v_lshl_add_u64 v[24:25], v[6:7], 2, v[26:27]
	v_lshl_add_u64 v[26:27], v[4:5], 2, v[30:31]
	s_branch .LBB454_9
.LBB454_8:                              ;   in Loop: Header=BB454_9 Depth=2
	s_wait_xcnt 0x0
	s_or_b32 exec_lo, exec_lo, s18
	s_wait_loadcnt_dscnt 0x0
	ds_store_b32 v3, v31
	s_wait_dscnt 0x0
	s_barrier_signal -1
	s_barrier_wait -1
	ds_load_b128 v[30:33], v29
	ds_load_2addr_b32 v[46:47], v28 offset1:16
	ds_load_b128 v[34:37], v29 offset:512
	ds_load_2addr_b32 v[48:49], v28 offset0:32 offset1:48
	ds_load_2addr_b32 v[50:51], v28 offset0:64 offset1:80
	ds_load_2addr_b32 v[52:53], v28 offset0:96 offset1:112
	ds_load_b128 v[38:41], v29 offset:16
	ds_load_2addr_b32 v[54:55], v28 offset0:128 offset1:144
	ds_load_b128 v[42:45], v29 offset:528
	s_add_nc_u64 s[12:13], s[12:13], 8
	s_delay_alu instid0(SALU_CYCLE_1)
	v_cmp_gt_i64_e64 s18, s[24:25], s[12:13]
	s_and_b32 vcc_lo, exec_lo, s18
	s_wait_dscnt 0x8
	v_mov_b32_e32 v16, v33
	s_wait_dscnt 0x7
	v_pk_fma_f32 v[22:23], v[46:47], v[30:31], v[22:23] op_sel_hi:[1,0,1]
	s_wait_dscnt 0x6
	v_pk_fma_f32 v[18:19], v[46:47], v[34:35], v[18:19] op_sel_hi:[1,0,1]
	ds_load_2addr_b32 v[46:47], v28 offset0:160 offset1:176
	s_wait_dscnt 0x6
	v_pk_fma_f32 v[22:23], v[48:49], v[30:31], v[22:23] op_sel:[0,1,0]
	v_pk_fma_f32 v[18:19], v[48:49], v[34:35], v[18:19] op_sel:[0,1,0]
	ds_load_2addr_b32 v[30:31], v28 offset0:192 offset1:208
	v_mov_b32_e32 v34, v37
	s_wait_dscnt 0x6
	v_pk_fma_f32 v[22:23], v[50:51], v[32:33], v[22:23] op_sel_hi:[1,0,1]
	v_pk_fma_f32 v[18:19], v[50:51], v[36:37], v[18:19] op_sel_hi:[1,0,1]
	ds_load_2addr_b32 v[32:33], v28 offset0:224 offset1:240
	s_wait_dscnt 0x0
	s_barrier_signal -1
	v_pk_fma_f32 v[22:23], v[52:53], v[16:17], v[22:23] op_sel_hi:[1,0,1]
	v_pk_fma_f32 v[18:19], v[52:53], v[34:35], v[18:19] op_sel_hi:[1,0,1]
	v_dual_mov_b32 v16, v41 :: v_dual_mov_b32 v34, v45
	s_barrier_wait -1
	s_delay_alu instid0(VALU_DEP_3) | instskip(NEXT) | instid1(VALU_DEP_3)
	v_pk_fma_f32 v[22:23], v[54:55], v[38:39], v[22:23] op_sel_hi:[1,0,1]
	v_pk_fma_f32 v[18:19], v[54:55], v[42:43], v[18:19] op_sel_hi:[1,0,1]
	s_delay_alu instid0(VALU_DEP_2) | instskip(NEXT) | instid1(VALU_DEP_2)
	v_pk_fma_f32 v[22:23], v[46:47], v[38:39], v[22:23] op_sel:[0,1,0]
	v_pk_fma_f32 v[18:19], v[46:47], v[42:43], v[18:19] op_sel:[0,1,0]
	s_delay_alu instid0(VALU_DEP_2) | instskip(NEXT) | instid1(VALU_DEP_2)
	v_pk_fma_f32 v[22:23], v[30:31], v[40:41], v[22:23] op_sel_hi:[1,0,1]
	v_pk_fma_f32 v[18:19], v[30:31], v[44:45], v[18:19] op_sel_hi:[1,0,1]
	s_delay_alu instid0(VALU_DEP_2) | instskip(NEXT) | instid1(VALU_DEP_2)
	v_pk_fma_f32 v[22:23], v[32:33], v[16:17], v[22:23] op_sel_hi:[1,0,1]
	v_pk_fma_f32 v[18:19], v[32:33], v[34:35], v[18:19] op_sel_hi:[1,0,1]
	s_cbranch_vccz .LBB454_15
.LBB454_9:                              ;   Parent Loop BB454_6 Depth=1
                                        ; =>  This Inner Loop Header: Depth=2
	v_mov_b32_e32 v30, 0
	s_and_saveexec_b32 s18, s0
	s_cbranch_execz .LBB454_13
; %bb.10:                               ;   in Loop: Header=BB454_9 Depth=2
	v_dual_add_nc_u32 v16, s12, v2 :: v_dual_mov_b32 v30, 0
	s_mov_b32 s19, exec_lo
	s_delay_alu instid0(VALU_DEP_1)
	v_cmpx_gt_u64_e64 s[24:25], v[16:17]
	s_cbranch_execz .LBB454_12
; %bb.11:                               ;   in Loop: Header=BB454_9 Depth=2
	v_lshl_add_u64 v[30:31], v[16:17], 2, v[24:25]
	flat_load_b32 v30, v[30:31]
.LBB454_12:                             ;   in Loop: Header=BB454_9 Depth=2
	s_wait_xcnt 0x0
	s_or_b32 exec_lo, exec_lo, s19
.LBB454_13:                             ;   in Loop: Header=BB454_9 Depth=2
	s_delay_alu instid0(SALU_CYCLE_1)
	s_or_b32 exec_lo, exec_lo, s18
	v_dual_mov_b32 v31, 0 :: v_dual_add_nc_u32 v16, s12, v0
	s_wait_loadcnt_dscnt 0x0
	ds_store_b32 v1, v30
	v_cmp_gt_u64_e32 vcc_lo, s[24:25], v[16:17]
	s_and_b32 s19, vcc_lo, s1
	s_delay_alu instid0(SALU_CYCLE_1)
	s_and_saveexec_b32 s18, s19
	s_cbranch_execz .LBB454_8
; %bb.14:                               ;   in Loop: Header=BB454_9 Depth=2
	v_mul_u64_e32 v[30:31], s[16:17], v[16:17]
	s_delay_alu instid0(VALU_DEP_1)
	v_lshl_add_u64 v[30:31], v[30:31], 2, v[26:27]
	flat_load_b32 v31, v[30:31]
	s_branch .LBB454_8
.LBB454_15:                             ;   in Loop: Header=BB454_6 Depth=1
	s_wait_loadcnt 0x0
	v_add_nc_u64_e32 v[20:21], s[10:11], v[20:21]
	s_delay_alu instid0(VALU_DEP_1)
	v_lshl_add_u64 v[24:25], v[8:9], 2, v[20:21]
	s_wait_xcnt 0x0
	s_and_saveexec_b32 s12, s23
	s_cbranch_execz .LBB454_19
; %bb.16:                               ;   in Loop: Header=BB454_6 Depth=1
	v_mul_f32_e32 v16, s26, v22
	v_lshl_add_u64 v[26:27], v[12:13], 2, v[24:25]
	s_and_b32 vcc_lo, exec_lo, s22
	s_cbranch_vccz .LBB454_30
; %bb.17:                               ;   in Loop: Header=BB454_6 Depth=1
	flat_load_b32 v22, v[26:27]
	s_wait_loadcnt_dscnt 0x0
	v_fma_f32 v22, s27, v22, v16
	flat_store_b32 v[26:27], v22
	s_cbranch_execnz .LBB454_19
.LBB454_18:                             ;   in Loop: Header=BB454_6 Depth=1
	flat_store_b32 v[26:27], v16
.LBB454_19:                             ;   in Loop: Header=BB454_6 Depth=1
	s_wait_xcnt 0x0
	s_or_b32 exec_lo, exec_lo, s12
	s_and_saveexec_b32 s12, s31
	s_cbranch_execz .LBB454_23
; %bb.20:                               ;   in Loop: Header=BB454_6 Depth=1
	v_mul_f32_e32 v16, s26, v23
	v_lshl_add_u64 v[22:23], v[14:15], 2, v[24:25]
	s_and_not1_b32 vcc_lo, exec_lo, s22
	s_cbranch_vccnz .LBB454_31
; %bb.21:                               ;   in Loop: Header=BB454_6 Depth=1
	flat_load_b32 v24, v[22:23]
	s_wait_loadcnt_dscnt 0x0
	v_fma_f32 v24, s27, v24, v16
	flat_store_b32 v[22:23], v24
	s_cbranch_execnz .LBB454_23
.LBB454_22:                             ;   in Loop: Header=BB454_6 Depth=1
	flat_store_b32 v[22:23], v16
.LBB454_23:                             ;   in Loop: Header=BB454_6 Depth=1
	s_wait_xcnt 0x0
	s_or_b32 exec_lo, exec_lo, s12
	v_lshl_add_u64 v[20:21], v[10:11], 2, v[20:21]
	s_and_saveexec_b32 s12, s33
	s_cbranch_execz .LBB454_27
; %bb.24:                               ;   in Loop: Header=BB454_6 Depth=1
	v_mul_f32_e32 v16, s26, v18
	s_delay_alu instid0(VALU_DEP_2)
	v_lshl_add_u64 v[22:23], v[12:13], 2, v[20:21]
	s_and_not1_b32 vcc_lo, exec_lo, s22
	s_cbranch_vccnz .LBB454_32
; %bb.25:                               ;   in Loop: Header=BB454_6 Depth=1
	flat_load_b32 v18, v[22:23]
	s_wait_loadcnt_dscnt 0x0
	v_fma_f32 v18, s27, v18, v16
	flat_store_b32 v[22:23], v18
	s_cbranch_execnz .LBB454_27
.LBB454_26:                             ;   in Loop: Header=BB454_6 Depth=1
	flat_store_b32 v[22:23], v16
.LBB454_27:                             ;   in Loop: Header=BB454_6 Depth=1
	s_wait_xcnt 0x0
	s_or_b32 exec_lo, exec_lo, s12
	s_and_saveexec_b32 s12, s34
	s_cbranch_execz .LBB454_5
; %bb.28:                               ;   in Loop: Header=BB454_6 Depth=1
	v_mul_f32_e32 v16, s26, v19
	v_lshl_add_u64 v[18:19], v[14:15], 2, v[20:21]
	s_and_not1_b32 vcc_lo, exec_lo, s22
	s_cbranch_vccnz .LBB454_33
; %bb.29:                               ;   in Loop: Header=BB454_6 Depth=1
	flat_load_b32 v20, v[18:19]
	s_wait_loadcnt_dscnt 0x0
	v_fma_f32 v20, s27, v20, v16
	flat_store_b32 v[18:19], v20
	s_cbranch_execnz .LBB454_5
	s_branch .LBB454_34
.LBB454_30:                             ;   in Loop: Header=BB454_6 Depth=1
	s_branch .LBB454_18
.LBB454_31:                             ;   in Loop: Header=BB454_6 Depth=1
	s_branch .LBB454_22
.LBB454_32:                             ;   in Loop: Header=BB454_6 Depth=1
	s_branch .LBB454_26
.LBB454_33:                             ;   in Loop: Header=BB454_6 Depth=1
.LBB454_34:                             ;   in Loop: Header=BB454_6 Depth=1
	flat_store_b32 v[18:19], v16
	s_branch .LBB454_5
.LBB454_35:
	s_endpgm
	.section	.rodata,"a",@progbits
	.p2align	6, 0x0
	.amdhsa_kernel _ZL29rocblas_internal_gemmt_kernelIlLi16ELi32ELi8ELc84ELc84ELc85ELb0ELb0EffPKPKfPKPfEviT_T9_T10_S7_lS9_S7_lS8_T11_S7_li
		.amdhsa_group_segment_fixed_size 2048
		.amdhsa_private_segment_fixed_size 0
		.amdhsa_kernarg_size 108
		.amdhsa_user_sgpr_count 2
		.amdhsa_user_sgpr_dispatch_ptr 0
		.amdhsa_user_sgpr_queue_ptr 0
		.amdhsa_user_sgpr_kernarg_segment_ptr 1
		.amdhsa_user_sgpr_dispatch_id 0
		.amdhsa_user_sgpr_kernarg_preload_length 0
		.amdhsa_user_sgpr_kernarg_preload_offset 0
		.amdhsa_user_sgpr_private_segment_size 0
		.amdhsa_wavefront_size32 1
		.amdhsa_uses_dynamic_stack 0
		.amdhsa_enable_private_segment 0
		.amdhsa_system_sgpr_workgroup_id_x 1
		.amdhsa_system_sgpr_workgroup_id_y 1
		.amdhsa_system_sgpr_workgroup_id_z 1
		.amdhsa_system_sgpr_workgroup_info 0
		.amdhsa_system_vgpr_workitem_id 1
		.amdhsa_next_free_vgpr 56
		.amdhsa_next_free_sgpr 37
		.amdhsa_named_barrier_count 0
		.amdhsa_reserve_vcc 1
		.amdhsa_float_round_mode_32 0
		.amdhsa_float_round_mode_16_64 0
		.amdhsa_float_denorm_mode_32 3
		.amdhsa_float_denorm_mode_16_64 3
		.amdhsa_fp16_overflow 0
		.amdhsa_memory_ordered 1
		.amdhsa_forward_progress 1
		.amdhsa_inst_pref_size 14
		.amdhsa_round_robin_scheduling 0
		.amdhsa_exception_fp_ieee_invalid_op 0
		.amdhsa_exception_fp_denorm_src 0
		.amdhsa_exception_fp_ieee_div_zero 0
		.amdhsa_exception_fp_ieee_overflow 0
		.amdhsa_exception_fp_ieee_underflow 0
		.amdhsa_exception_fp_ieee_inexact 0
		.amdhsa_exception_int_div_zero 0
	.end_amdhsa_kernel
	.section	.text._ZL29rocblas_internal_gemmt_kernelIlLi16ELi32ELi8ELc84ELc84ELc85ELb0ELb0EffPKPKfPKPfEviT_T9_T10_S7_lS9_S7_lS8_T11_S7_li,"axG",@progbits,_ZL29rocblas_internal_gemmt_kernelIlLi16ELi32ELi8ELc84ELc84ELc85ELb0ELb0EffPKPKfPKPfEviT_T9_T10_S7_lS9_S7_lS8_T11_S7_li,comdat
.Lfunc_end454:
	.size	_ZL29rocblas_internal_gemmt_kernelIlLi16ELi32ELi8ELc84ELc84ELc85ELb0ELb0EffPKPKfPKPfEviT_T9_T10_S7_lS9_S7_lS8_T11_S7_li, .Lfunc_end454-_ZL29rocblas_internal_gemmt_kernelIlLi16ELi32ELi8ELc84ELc84ELc85ELb0ELb0EffPKPKfPKPfEviT_T9_T10_S7_lS9_S7_lS8_T11_S7_li
                                        ; -- End function
	.set _ZL29rocblas_internal_gemmt_kernelIlLi16ELi32ELi8ELc84ELc84ELc85ELb0ELb0EffPKPKfPKPfEviT_T9_T10_S7_lS9_S7_lS8_T11_S7_li.num_vgpr, 56
	.set _ZL29rocblas_internal_gemmt_kernelIlLi16ELi32ELi8ELc84ELc84ELc85ELb0ELb0EffPKPKfPKPfEviT_T9_T10_S7_lS9_S7_lS8_T11_S7_li.num_agpr, 0
	.set _ZL29rocblas_internal_gemmt_kernelIlLi16ELi32ELi8ELc84ELc84ELc85ELb0ELb0EffPKPKfPKPfEviT_T9_T10_S7_lS9_S7_lS8_T11_S7_li.numbered_sgpr, 37
	.set _ZL29rocblas_internal_gemmt_kernelIlLi16ELi32ELi8ELc84ELc84ELc85ELb0ELb0EffPKPKfPKPfEviT_T9_T10_S7_lS9_S7_lS8_T11_S7_li.num_named_barrier, 0
	.set _ZL29rocblas_internal_gemmt_kernelIlLi16ELi32ELi8ELc84ELc84ELc85ELb0ELb0EffPKPKfPKPfEviT_T9_T10_S7_lS9_S7_lS8_T11_S7_li.private_seg_size, 0
	.set _ZL29rocblas_internal_gemmt_kernelIlLi16ELi32ELi8ELc84ELc84ELc85ELb0ELb0EffPKPKfPKPfEviT_T9_T10_S7_lS9_S7_lS8_T11_S7_li.uses_vcc, 1
	.set _ZL29rocblas_internal_gemmt_kernelIlLi16ELi32ELi8ELc84ELc84ELc85ELb0ELb0EffPKPKfPKPfEviT_T9_T10_S7_lS9_S7_lS8_T11_S7_li.uses_flat_scratch, 0
	.set _ZL29rocblas_internal_gemmt_kernelIlLi16ELi32ELi8ELc84ELc84ELc85ELb0ELb0EffPKPKfPKPfEviT_T9_T10_S7_lS9_S7_lS8_T11_S7_li.has_dyn_sized_stack, 0
	.set _ZL29rocblas_internal_gemmt_kernelIlLi16ELi32ELi8ELc84ELc84ELc85ELb0ELb0EffPKPKfPKPfEviT_T9_T10_S7_lS9_S7_lS8_T11_S7_li.has_recursion, 0
	.set _ZL29rocblas_internal_gemmt_kernelIlLi16ELi32ELi8ELc84ELc84ELc85ELb0ELb0EffPKPKfPKPfEviT_T9_T10_S7_lS9_S7_lS8_T11_S7_li.has_indirect_call, 0
	.section	.AMDGPU.csdata,"",@progbits
; Kernel info:
; codeLenInByte = 1672
; TotalNumSgprs: 39
; NumVgprs: 56
; ScratchSize: 0
; MemoryBound: 0
; FloatMode: 240
; IeeeMode: 1
; LDSByteSize: 2048 bytes/workgroup (compile time only)
; SGPRBlocks: 0
; VGPRBlocks: 3
; NumSGPRsForWavesPerEU: 39
; NumVGPRsForWavesPerEU: 56
; NamedBarCnt: 0
; Occupancy: 16
; WaveLimiterHint : 1
; COMPUTE_PGM_RSRC2:SCRATCH_EN: 0
; COMPUTE_PGM_RSRC2:USER_SGPR: 2
; COMPUTE_PGM_RSRC2:TRAP_HANDLER: 0
; COMPUTE_PGM_RSRC2:TGID_X_EN: 1
; COMPUTE_PGM_RSRC2:TGID_Y_EN: 1
; COMPUTE_PGM_RSRC2:TGID_Z_EN: 1
; COMPUTE_PGM_RSRC2:TIDIG_COMP_CNT: 1
	.section	.text._ZL29rocblas_internal_gemmt_kernelIlLi16ELi32ELi8ELc84ELc67ELc85ELb0ELb0EffPKPKfPKPfEviT_T9_T10_S7_lS9_S7_lS8_T11_S7_li,"axG",@progbits,_ZL29rocblas_internal_gemmt_kernelIlLi16ELi32ELi8ELc84ELc67ELc85ELb0ELb0EffPKPKfPKPfEviT_T9_T10_S7_lS9_S7_lS8_T11_S7_li,comdat
	.globl	_ZL29rocblas_internal_gemmt_kernelIlLi16ELi32ELi8ELc84ELc67ELc85ELb0ELb0EffPKPKfPKPfEviT_T9_T10_S7_lS9_S7_lS8_T11_S7_li ; -- Begin function _ZL29rocblas_internal_gemmt_kernelIlLi16ELi32ELi8ELc84ELc67ELc85ELb0ELb0EffPKPKfPKPfEviT_T9_T10_S7_lS9_S7_lS8_T11_S7_li
	.p2align	8
	.type	_ZL29rocblas_internal_gemmt_kernelIlLi16ELi32ELi8ELc84ELc67ELc85ELb0ELb0EffPKPKfPKPfEviT_T9_T10_S7_lS9_S7_lS8_T11_S7_li,@function
_ZL29rocblas_internal_gemmt_kernelIlLi16ELi32ELi8ELc84ELc67ELc85ELb0ELb0EffPKPKfPKPfEviT_T9_T10_S7_lS9_S7_lS8_T11_S7_li: ; @_ZL29rocblas_internal_gemmt_kernelIlLi16ELi32ELi8ELc84ELc67ELc85ELb0ELb0EffPKPKfPKPfEviT_T9_T10_S7_lS9_S7_lS8_T11_S7_li
; %bb.0:
	s_clause 0x1
	s_load_b32 s27, s[0:1], 0x48
	s_load_b96 s[24:26], s[0:1], 0x8
	s_wait_kmcnt 0x0
	s_cmp_neq_f32 s27, 1.0
	s_cselect_b32 s2, -1, 0
	s_delay_alu instid0(SALU_CYCLE_1)
	s_and_b32 vcc_lo, exec_lo, s2
	s_cbranch_vccnz .LBB455_2
; %bb.1:
	s_cmp_lg_u64 s[24:25], 0
	s_cselect_b32 s2, -1, 0
	s_cmp_neq_f32 s26, 0
	s_cselect_b32 s3, -1, 0
	s_delay_alu instid0(SALU_CYCLE_1)
	s_and_b32 s2, s2, s3
.LBB455_2:
	s_delay_alu instid0(SALU_CYCLE_1)
	s_and_not1_b32 vcc_lo, exec_lo, s2
	s_cbranch_vccnz .LBB455_35
; %bb.3:
	s_load_b32 s30, s[0:1], 0x68
	s_bfe_u32 s2, ttmp6, 0x40014
	s_lshr_b32 s3, ttmp7, 16
	s_add_co_i32 s2, s2, 1
	s_bfe_u32 s5, ttmp6, 0x40008
	s_mul_i32 s4, s3, s2
	s_getreg_b32 s2, hwreg(HW_REG_IB_STS2, 6, 4)
	s_add_co_i32 s5, s5, s4
	s_cmp_eq_u32 s2, 0
	s_mov_b32 s7, 0
	s_cselect_b32 s6, s3, s5
	s_wait_kmcnt 0x0
	s_cmp_ge_u32 s6, s30
	s_cbranch_scc1 .LBB455_35
; %bb.4:
	s_clause 0x4
	s_load_b32 s3, s[0:1], 0x0
	s_load_b256 s[8:15], s[0:1], 0x18
	s_load_b64 s[28:29], s[0:1], 0x60
	s_load_b128 s[16:19], s[0:1], 0x38
	s_load_b128 s[20:23], s[0:1], 0x50
	s_wait_xcnt 0x0
	s_bfe_u32 s0, ttmp6, 0x4000c
	s_bfe_u32 s4, ttmp6, 0x40010
	s_add_co_i32 s0, s0, 1
	s_and_b32 s5, ttmp7, 0xffff
	s_add_co_i32 s4, s4, 1
	v_and_b32_e32 v15, 0x3ff, v0
	v_bfe_u32 v20, v0, 10, 10
	s_and_b32 s1, ttmp6, 15
	s_mul_i32 s0, ttmp9, s0
	s_mul_i32 s4, s5, s4
	s_bfe_u32 s31, ttmp6, 0x40004
	s_add_co_i32 s1, s1, s0
	s_add_co_i32 s31, s31, s4
	s_cmp_eq_u32 s2, 0
	v_lshl_add_u32 v1, v20, 4, v15
	s_cselect_b32 s0, s5, s31
	s_cselect_b32 s1, ttmp9, s1
	s_lshl_b32 s0, s0, 5
	s_delay_alu instid0(VALU_DEP_1) | instskip(SKIP_3) | instid1(VALU_DEP_2)
	v_dual_lshrrev_b32 v2, 5, v1 :: v_dual_bitop2_b32 v0, 7, v0 bitop3:0x40
	v_dual_lshrrev_b32 v1, 3, v1 :: v_dual_bitop2_b32 v3, 31, v1 bitop3:0x40
	s_lshl_b32 s2, s1, 5
	v_add_nc_u32_e32 v16, s0, v20
	v_dual_lshlrev_b32 v5, 2, v0 :: v_dual_bitop2_b32 v12, s2, v3 bitop3:0x54
	s_delay_alu instid0(VALU_DEP_3) | instskip(NEXT) | instid1(VALU_DEP_3)
	v_dual_add_nc_u32 v4, s0, v1 :: v_dual_lshlrev_b32 v3, 2, v3
	v_dual_ashrrev_i32 v17, 31, v16 :: v_dual_add_nc_u32 v18, 16, v16
	s_delay_alu instid0(VALU_DEP_3)
	v_ashrrev_i32_e32 v13, 31, v12
	s_wait_kmcnt 0x0
	v_cmp_gt_i32_e64 s0, s3, v12
	s_cmp_neq_f32 s26, 0
	v_mul_u64_e32 v[8:9], s[22:23], v[16:17]
	v_ashrrev_i32_e32 v19, 31, v18
	v_mul_u64_e32 v[6:7], s[10:11], v[12:13]
	v_add_nc_u32_e32 v12, s2, v15
	v_cmp_gt_i32_e32 vcc_lo, s3, v16
	s_cselect_b32 s35, -1, 0
	v_mul_u64_e32 v[10:11], s[22:23], v[18:19]
	s_cmp_neq_f32 s27, 0
	v_cmp_le_i32_e64 s2, v12, v16
	v_dual_add_nc_u32 v14, 16, v12 :: v_dual_ashrrev_i32 v13, 31, v12
	v_lshl_or_b32 v5, v1, 5, v5
	v_cmp_gt_i64_e64 s36, s[24:25], 0
	v_cmp_gt_i32_e64 s1, s3, v4
	s_cselect_b32 s22, -1, 0
	s_and_b32 s23, vcc_lo, s2
	v_cmp_le_i32_e64 s2, v14, v16
	v_cmp_gt_i32_e64 s3, s3, v18
	v_cmp_le_i32_e64 s4, v12, v18
	v_cmp_le_i32_e64 s5, v14, v18
	v_lshl_or_b32 v1, v2, 7, v3
	v_add_nc_u32_e32 v3, 0x400, v5
	v_dual_ashrrev_i32 v5, 31, v4 :: v_dual_lshlrev_b32 v28, 2, v15
	v_lshl_add_u32 v29, v20, 5, 0x400
	v_dual_ashrrev_i32 v15, 31, v14 :: v_dual_mov_b32 v17, 0
	s_and_b32 s31, vcc_lo, s2
	s_and_b32 s33, s3, s4
	s_and_b32 s34, s3, s5
	;; [unrolled: 1-line block ×3, first 2 shown]
	s_lshl_b64 s[2:3], s[18:19], 2
	s_lshl_b64 s[4:5], s[12:13], 2
	;; [unrolled: 1-line block ×3, first 2 shown]
	s_branch .LBB455_6
.LBB455_5:                              ;   in Loop: Header=BB455_6 Depth=1
	s_wait_xcnt 0x0
	s_or_b32 exec_lo, exec_lo, s12
	s_add_co_i32 s6, s6, 0x10000
	s_delay_alu instid0(SALU_CYCLE_1)
	s_cmp_lt_u32 s6, s30
	s_cbranch_scc0 .LBB455_35
.LBB455_6:                              ; =>This Loop Header: Depth=1
                                        ;     Child Loop BB455_9 Depth 2
	v_dual_mov_b32 v16, s6 :: v_dual_mov_b32 v23, v17
	v_dual_mov_b32 v22, v17 :: v_dual_mov_b32 v19, v17
	v_mov_b32_e32 v18, v17
	global_load_b64 v[20:21], v16, s[20:21] scale_offset
	s_and_not1_b32 vcc_lo, exec_lo, s35
	s_cbranch_vccnz .LBB455_15
; %bb.7:                                ;   in Loop: Header=BB455_6 Depth=1
	s_lshl_b64 s[12:13], s[6:7], 3
	v_mov_b32_e32 v18, 0
	s_add_nc_u64 s[18:19], s[8:9], s[12:13]
	s_add_nc_u64 s[12:13], s[14:15], s[12:13]
	s_clause 0x1
	global_load_b64 v[22:23], v17, s[18:19]
	global_load_b64 v[24:25], v17, s[12:13]
	s_wait_xcnt 0x0
	s_mov_b64 s[12:13], 0
	v_mov_b32_e32 v19, v18
	s_wait_loadcnt 0x1
	v_add_nc_u64_e32 v[26:27], s[4:5], v[22:23]
	s_wait_loadcnt 0x0
	v_add_nc_u64_e32 v[30:31], s[2:3], v[24:25]
	v_dual_mov_b32 v22, v18 :: v_dual_mov_b32 v23, v18
	s_delay_alu instid0(VALU_DEP_3) | instskip(NEXT) | instid1(VALU_DEP_3)
	v_lshl_add_u64 v[24:25], v[6:7], 2, v[26:27]
	v_lshl_add_u64 v[26:27], v[4:5], 2, v[30:31]
	s_branch .LBB455_9
.LBB455_8:                              ;   in Loop: Header=BB455_9 Depth=2
	s_wait_xcnt 0x0
	s_or_b32 exec_lo, exec_lo, s18
	s_wait_loadcnt_dscnt 0x0
	ds_store_b32 v3, v31
	s_wait_dscnt 0x0
	s_barrier_signal -1
	s_barrier_wait -1
	ds_load_b128 v[30:33], v29
	ds_load_2addr_b32 v[46:47], v28 offset1:16
	ds_load_b128 v[34:37], v29 offset:512
	ds_load_2addr_b32 v[48:49], v28 offset0:32 offset1:48
	ds_load_2addr_b32 v[50:51], v28 offset0:64 offset1:80
	;; [unrolled: 1-line block ×3, first 2 shown]
	ds_load_b128 v[38:41], v29 offset:16
	ds_load_2addr_b32 v[54:55], v28 offset0:128 offset1:144
	ds_load_b128 v[42:45], v29 offset:528
	s_add_nc_u64 s[12:13], s[12:13], 8
	s_delay_alu instid0(SALU_CYCLE_1)
	v_cmp_gt_i64_e64 s18, s[24:25], s[12:13]
	s_and_b32 vcc_lo, exec_lo, s18
	s_wait_dscnt 0x8
	v_mov_b32_e32 v16, v33
	s_wait_dscnt 0x7
	v_pk_fma_f32 v[22:23], v[46:47], v[30:31], v[22:23] op_sel_hi:[1,0,1]
	s_wait_dscnt 0x6
	v_pk_fma_f32 v[18:19], v[46:47], v[34:35], v[18:19] op_sel_hi:[1,0,1]
	ds_load_2addr_b32 v[46:47], v28 offset0:160 offset1:176
	s_wait_dscnt 0x6
	v_pk_fma_f32 v[22:23], v[48:49], v[30:31], v[22:23] op_sel:[0,1,0]
	v_pk_fma_f32 v[18:19], v[48:49], v[34:35], v[18:19] op_sel:[0,1,0]
	ds_load_2addr_b32 v[30:31], v28 offset0:192 offset1:208
	v_mov_b32_e32 v34, v37
	s_wait_dscnt 0x6
	v_pk_fma_f32 v[22:23], v[50:51], v[32:33], v[22:23] op_sel_hi:[1,0,1]
	v_pk_fma_f32 v[18:19], v[50:51], v[36:37], v[18:19] op_sel_hi:[1,0,1]
	ds_load_2addr_b32 v[32:33], v28 offset0:224 offset1:240
	s_wait_dscnt 0x0
	s_barrier_signal -1
	v_pk_fma_f32 v[22:23], v[52:53], v[16:17], v[22:23] op_sel_hi:[1,0,1]
	v_pk_fma_f32 v[18:19], v[52:53], v[34:35], v[18:19] op_sel_hi:[1,0,1]
	v_dual_mov_b32 v16, v41 :: v_dual_mov_b32 v34, v45
	s_barrier_wait -1
	s_delay_alu instid0(VALU_DEP_3) | instskip(NEXT) | instid1(VALU_DEP_3)
	v_pk_fma_f32 v[22:23], v[54:55], v[38:39], v[22:23] op_sel_hi:[1,0,1]
	v_pk_fma_f32 v[18:19], v[54:55], v[42:43], v[18:19] op_sel_hi:[1,0,1]
	s_delay_alu instid0(VALU_DEP_2) | instskip(NEXT) | instid1(VALU_DEP_2)
	v_pk_fma_f32 v[22:23], v[46:47], v[38:39], v[22:23] op_sel:[0,1,0]
	v_pk_fma_f32 v[18:19], v[46:47], v[42:43], v[18:19] op_sel:[0,1,0]
	s_delay_alu instid0(VALU_DEP_2) | instskip(NEXT) | instid1(VALU_DEP_2)
	v_pk_fma_f32 v[22:23], v[30:31], v[40:41], v[22:23] op_sel_hi:[1,0,1]
	v_pk_fma_f32 v[18:19], v[30:31], v[44:45], v[18:19] op_sel_hi:[1,0,1]
	s_delay_alu instid0(VALU_DEP_2) | instskip(NEXT) | instid1(VALU_DEP_2)
	v_pk_fma_f32 v[22:23], v[32:33], v[16:17], v[22:23] op_sel_hi:[1,0,1]
	v_pk_fma_f32 v[18:19], v[32:33], v[34:35], v[18:19] op_sel_hi:[1,0,1]
	s_cbranch_vccz .LBB455_15
.LBB455_9:                              ;   Parent Loop BB455_6 Depth=1
                                        ; =>  This Inner Loop Header: Depth=2
	v_mov_b32_e32 v30, 0
	s_and_saveexec_b32 s18, s0
	s_cbranch_execz .LBB455_13
; %bb.10:                               ;   in Loop: Header=BB455_9 Depth=2
	v_dual_add_nc_u32 v16, s12, v2 :: v_dual_mov_b32 v30, 0
	s_mov_b32 s19, exec_lo
	s_delay_alu instid0(VALU_DEP_1)
	v_cmpx_gt_u64_e64 s[24:25], v[16:17]
	s_cbranch_execz .LBB455_12
; %bb.11:                               ;   in Loop: Header=BB455_9 Depth=2
	v_lshl_add_u64 v[30:31], v[16:17], 2, v[24:25]
	flat_load_b32 v30, v[30:31]
.LBB455_12:                             ;   in Loop: Header=BB455_9 Depth=2
	s_wait_xcnt 0x0
	s_or_b32 exec_lo, exec_lo, s19
.LBB455_13:                             ;   in Loop: Header=BB455_9 Depth=2
	s_delay_alu instid0(SALU_CYCLE_1)
	s_or_b32 exec_lo, exec_lo, s18
	v_dual_mov_b32 v31, 0 :: v_dual_add_nc_u32 v16, s12, v0
	s_wait_loadcnt_dscnt 0x0
	ds_store_b32 v1, v30
	v_cmp_gt_u64_e32 vcc_lo, s[24:25], v[16:17]
	s_and_b32 s19, vcc_lo, s1
	s_delay_alu instid0(SALU_CYCLE_1)
	s_and_saveexec_b32 s18, s19
	s_cbranch_execz .LBB455_8
; %bb.14:                               ;   in Loop: Header=BB455_9 Depth=2
	v_mul_u64_e32 v[30:31], s[16:17], v[16:17]
	s_delay_alu instid0(VALU_DEP_1)
	v_lshl_add_u64 v[30:31], v[30:31], 2, v[26:27]
	flat_load_b32 v31, v[30:31]
	s_branch .LBB455_8
.LBB455_15:                             ;   in Loop: Header=BB455_6 Depth=1
	s_wait_loadcnt 0x0
	v_add_nc_u64_e32 v[20:21], s[10:11], v[20:21]
	s_delay_alu instid0(VALU_DEP_1)
	v_lshl_add_u64 v[24:25], v[8:9], 2, v[20:21]
	s_wait_xcnt 0x0
	s_and_saveexec_b32 s12, s23
	s_cbranch_execz .LBB455_19
; %bb.16:                               ;   in Loop: Header=BB455_6 Depth=1
	v_mul_f32_e32 v16, s26, v22
	v_lshl_add_u64 v[26:27], v[12:13], 2, v[24:25]
	s_and_b32 vcc_lo, exec_lo, s22
	s_cbranch_vccz .LBB455_30
; %bb.17:                               ;   in Loop: Header=BB455_6 Depth=1
	flat_load_b32 v22, v[26:27]
	s_wait_loadcnt_dscnt 0x0
	v_fma_f32 v22, s27, v22, v16
	flat_store_b32 v[26:27], v22
	s_cbranch_execnz .LBB455_19
.LBB455_18:                             ;   in Loop: Header=BB455_6 Depth=1
	flat_store_b32 v[26:27], v16
.LBB455_19:                             ;   in Loop: Header=BB455_6 Depth=1
	s_wait_xcnt 0x0
	s_or_b32 exec_lo, exec_lo, s12
	s_and_saveexec_b32 s12, s31
	s_cbranch_execz .LBB455_23
; %bb.20:                               ;   in Loop: Header=BB455_6 Depth=1
	v_mul_f32_e32 v16, s26, v23
	v_lshl_add_u64 v[22:23], v[14:15], 2, v[24:25]
	s_and_not1_b32 vcc_lo, exec_lo, s22
	s_cbranch_vccnz .LBB455_31
; %bb.21:                               ;   in Loop: Header=BB455_6 Depth=1
	flat_load_b32 v24, v[22:23]
	s_wait_loadcnt_dscnt 0x0
	v_fma_f32 v24, s27, v24, v16
	flat_store_b32 v[22:23], v24
	s_cbranch_execnz .LBB455_23
.LBB455_22:                             ;   in Loop: Header=BB455_6 Depth=1
	flat_store_b32 v[22:23], v16
.LBB455_23:                             ;   in Loop: Header=BB455_6 Depth=1
	s_wait_xcnt 0x0
	s_or_b32 exec_lo, exec_lo, s12
	v_lshl_add_u64 v[20:21], v[10:11], 2, v[20:21]
	s_and_saveexec_b32 s12, s33
	s_cbranch_execz .LBB455_27
; %bb.24:                               ;   in Loop: Header=BB455_6 Depth=1
	v_mul_f32_e32 v16, s26, v18
	s_delay_alu instid0(VALU_DEP_2)
	v_lshl_add_u64 v[22:23], v[12:13], 2, v[20:21]
	s_and_not1_b32 vcc_lo, exec_lo, s22
	s_cbranch_vccnz .LBB455_32
; %bb.25:                               ;   in Loop: Header=BB455_6 Depth=1
	flat_load_b32 v18, v[22:23]
	s_wait_loadcnt_dscnt 0x0
	v_fma_f32 v18, s27, v18, v16
	flat_store_b32 v[22:23], v18
	s_cbranch_execnz .LBB455_27
.LBB455_26:                             ;   in Loop: Header=BB455_6 Depth=1
	flat_store_b32 v[22:23], v16
.LBB455_27:                             ;   in Loop: Header=BB455_6 Depth=1
	s_wait_xcnt 0x0
	s_or_b32 exec_lo, exec_lo, s12
	s_and_saveexec_b32 s12, s34
	s_cbranch_execz .LBB455_5
; %bb.28:                               ;   in Loop: Header=BB455_6 Depth=1
	v_mul_f32_e32 v16, s26, v19
	v_lshl_add_u64 v[18:19], v[14:15], 2, v[20:21]
	s_and_not1_b32 vcc_lo, exec_lo, s22
	s_cbranch_vccnz .LBB455_33
; %bb.29:                               ;   in Loop: Header=BB455_6 Depth=1
	flat_load_b32 v20, v[18:19]
	s_wait_loadcnt_dscnt 0x0
	v_fma_f32 v20, s27, v20, v16
	flat_store_b32 v[18:19], v20
	s_cbranch_execnz .LBB455_5
	s_branch .LBB455_34
.LBB455_30:                             ;   in Loop: Header=BB455_6 Depth=1
	s_branch .LBB455_18
.LBB455_31:                             ;   in Loop: Header=BB455_6 Depth=1
	s_branch .LBB455_22
.LBB455_32:                             ;   in Loop: Header=BB455_6 Depth=1
	s_branch .LBB455_26
.LBB455_33:                             ;   in Loop: Header=BB455_6 Depth=1
.LBB455_34:                             ;   in Loop: Header=BB455_6 Depth=1
	flat_store_b32 v[18:19], v16
	s_branch .LBB455_5
.LBB455_35:
	s_endpgm
	.section	.rodata,"a",@progbits
	.p2align	6, 0x0
	.amdhsa_kernel _ZL29rocblas_internal_gemmt_kernelIlLi16ELi32ELi8ELc84ELc67ELc85ELb0ELb0EffPKPKfPKPfEviT_T9_T10_S7_lS9_S7_lS8_T11_S7_li
		.amdhsa_group_segment_fixed_size 2048
		.amdhsa_private_segment_fixed_size 0
		.amdhsa_kernarg_size 108
		.amdhsa_user_sgpr_count 2
		.amdhsa_user_sgpr_dispatch_ptr 0
		.amdhsa_user_sgpr_queue_ptr 0
		.amdhsa_user_sgpr_kernarg_segment_ptr 1
		.amdhsa_user_sgpr_dispatch_id 0
		.amdhsa_user_sgpr_kernarg_preload_length 0
		.amdhsa_user_sgpr_kernarg_preload_offset 0
		.amdhsa_user_sgpr_private_segment_size 0
		.amdhsa_wavefront_size32 1
		.amdhsa_uses_dynamic_stack 0
		.amdhsa_enable_private_segment 0
		.amdhsa_system_sgpr_workgroup_id_x 1
		.amdhsa_system_sgpr_workgroup_id_y 1
		.amdhsa_system_sgpr_workgroup_id_z 1
		.amdhsa_system_sgpr_workgroup_info 0
		.amdhsa_system_vgpr_workitem_id 1
		.amdhsa_next_free_vgpr 56
		.amdhsa_next_free_sgpr 37
		.amdhsa_named_barrier_count 0
		.amdhsa_reserve_vcc 1
		.amdhsa_float_round_mode_32 0
		.amdhsa_float_round_mode_16_64 0
		.amdhsa_float_denorm_mode_32 3
		.amdhsa_float_denorm_mode_16_64 3
		.amdhsa_fp16_overflow 0
		.amdhsa_memory_ordered 1
		.amdhsa_forward_progress 1
		.amdhsa_inst_pref_size 14
		.amdhsa_round_robin_scheduling 0
		.amdhsa_exception_fp_ieee_invalid_op 0
		.amdhsa_exception_fp_denorm_src 0
		.amdhsa_exception_fp_ieee_div_zero 0
		.amdhsa_exception_fp_ieee_overflow 0
		.amdhsa_exception_fp_ieee_underflow 0
		.amdhsa_exception_fp_ieee_inexact 0
		.amdhsa_exception_int_div_zero 0
	.end_amdhsa_kernel
	.section	.text._ZL29rocblas_internal_gemmt_kernelIlLi16ELi32ELi8ELc84ELc67ELc85ELb0ELb0EffPKPKfPKPfEviT_T9_T10_S7_lS9_S7_lS8_T11_S7_li,"axG",@progbits,_ZL29rocblas_internal_gemmt_kernelIlLi16ELi32ELi8ELc84ELc67ELc85ELb0ELb0EffPKPKfPKPfEviT_T9_T10_S7_lS9_S7_lS8_T11_S7_li,comdat
.Lfunc_end455:
	.size	_ZL29rocblas_internal_gemmt_kernelIlLi16ELi32ELi8ELc84ELc67ELc85ELb0ELb0EffPKPKfPKPfEviT_T9_T10_S7_lS9_S7_lS8_T11_S7_li, .Lfunc_end455-_ZL29rocblas_internal_gemmt_kernelIlLi16ELi32ELi8ELc84ELc67ELc85ELb0ELb0EffPKPKfPKPfEviT_T9_T10_S7_lS9_S7_lS8_T11_S7_li
                                        ; -- End function
	.set _ZL29rocblas_internal_gemmt_kernelIlLi16ELi32ELi8ELc84ELc67ELc85ELb0ELb0EffPKPKfPKPfEviT_T9_T10_S7_lS9_S7_lS8_T11_S7_li.num_vgpr, 56
	.set _ZL29rocblas_internal_gemmt_kernelIlLi16ELi32ELi8ELc84ELc67ELc85ELb0ELb0EffPKPKfPKPfEviT_T9_T10_S7_lS9_S7_lS8_T11_S7_li.num_agpr, 0
	.set _ZL29rocblas_internal_gemmt_kernelIlLi16ELi32ELi8ELc84ELc67ELc85ELb0ELb0EffPKPKfPKPfEviT_T9_T10_S7_lS9_S7_lS8_T11_S7_li.numbered_sgpr, 37
	.set _ZL29rocblas_internal_gemmt_kernelIlLi16ELi32ELi8ELc84ELc67ELc85ELb0ELb0EffPKPKfPKPfEviT_T9_T10_S7_lS9_S7_lS8_T11_S7_li.num_named_barrier, 0
	.set _ZL29rocblas_internal_gemmt_kernelIlLi16ELi32ELi8ELc84ELc67ELc85ELb0ELb0EffPKPKfPKPfEviT_T9_T10_S7_lS9_S7_lS8_T11_S7_li.private_seg_size, 0
	.set _ZL29rocblas_internal_gemmt_kernelIlLi16ELi32ELi8ELc84ELc67ELc85ELb0ELb0EffPKPKfPKPfEviT_T9_T10_S7_lS9_S7_lS8_T11_S7_li.uses_vcc, 1
	.set _ZL29rocblas_internal_gemmt_kernelIlLi16ELi32ELi8ELc84ELc67ELc85ELb0ELb0EffPKPKfPKPfEviT_T9_T10_S7_lS9_S7_lS8_T11_S7_li.uses_flat_scratch, 0
	.set _ZL29rocblas_internal_gemmt_kernelIlLi16ELi32ELi8ELc84ELc67ELc85ELb0ELb0EffPKPKfPKPfEviT_T9_T10_S7_lS9_S7_lS8_T11_S7_li.has_dyn_sized_stack, 0
	.set _ZL29rocblas_internal_gemmt_kernelIlLi16ELi32ELi8ELc84ELc67ELc85ELb0ELb0EffPKPKfPKPfEviT_T9_T10_S7_lS9_S7_lS8_T11_S7_li.has_recursion, 0
	.set _ZL29rocblas_internal_gemmt_kernelIlLi16ELi32ELi8ELc84ELc67ELc85ELb0ELb0EffPKPKfPKPfEviT_T9_T10_S7_lS9_S7_lS8_T11_S7_li.has_indirect_call, 0
	.section	.AMDGPU.csdata,"",@progbits
; Kernel info:
; codeLenInByte = 1672
; TotalNumSgprs: 39
; NumVgprs: 56
; ScratchSize: 0
; MemoryBound: 0
; FloatMode: 240
; IeeeMode: 1
; LDSByteSize: 2048 bytes/workgroup (compile time only)
; SGPRBlocks: 0
; VGPRBlocks: 3
; NumSGPRsForWavesPerEU: 39
; NumVGPRsForWavesPerEU: 56
; NamedBarCnt: 0
; Occupancy: 16
; WaveLimiterHint : 1
; COMPUTE_PGM_RSRC2:SCRATCH_EN: 0
; COMPUTE_PGM_RSRC2:USER_SGPR: 2
; COMPUTE_PGM_RSRC2:TRAP_HANDLER: 0
; COMPUTE_PGM_RSRC2:TGID_X_EN: 1
; COMPUTE_PGM_RSRC2:TGID_Y_EN: 1
; COMPUTE_PGM_RSRC2:TGID_Z_EN: 1
; COMPUTE_PGM_RSRC2:TIDIG_COMP_CNT: 1
	.section	.text._ZL29rocblas_internal_gemmt_kernelIlLi16ELi32ELi8ELc67ELc78ELc85ELb0ELb0EffPKPKfPKPfEviT_T9_T10_S7_lS9_S7_lS8_T11_S7_li,"axG",@progbits,_ZL29rocblas_internal_gemmt_kernelIlLi16ELi32ELi8ELc67ELc78ELc85ELb0ELb0EffPKPKfPKPfEviT_T9_T10_S7_lS9_S7_lS8_T11_S7_li,comdat
	.globl	_ZL29rocblas_internal_gemmt_kernelIlLi16ELi32ELi8ELc67ELc78ELc85ELb0ELb0EffPKPKfPKPfEviT_T9_T10_S7_lS9_S7_lS8_T11_S7_li ; -- Begin function _ZL29rocblas_internal_gemmt_kernelIlLi16ELi32ELi8ELc67ELc78ELc85ELb0ELb0EffPKPKfPKPfEviT_T9_T10_S7_lS9_S7_lS8_T11_S7_li
	.p2align	8
	.type	_ZL29rocblas_internal_gemmt_kernelIlLi16ELi32ELi8ELc67ELc78ELc85ELb0ELb0EffPKPKfPKPfEviT_T9_T10_S7_lS9_S7_lS8_T11_S7_li,@function
_ZL29rocblas_internal_gemmt_kernelIlLi16ELi32ELi8ELc67ELc78ELc85ELb0ELb0EffPKPKfPKPfEviT_T9_T10_S7_lS9_S7_lS8_T11_S7_li: ; @_ZL29rocblas_internal_gemmt_kernelIlLi16ELi32ELi8ELc67ELc78ELc85ELb0ELb0EffPKPKfPKPfEviT_T9_T10_S7_lS9_S7_lS8_T11_S7_li
; %bb.0:
	s_clause 0x1
	s_load_b32 s23, s[0:1], 0x48
	s_load_b96 s[20:22], s[0:1], 0x8
	s_wait_kmcnt 0x0
	s_cmp_neq_f32 s23, 1.0
	s_cselect_b32 s2, -1, 0
	s_delay_alu instid0(SALU_CYCLE_1)
	s_and_b32 vcc_lo, exec_lo, s2
	s_cbranch_vccnz .LBB456_2
; %bb.1:
	s_cmp_lg_u64 s[20:21], 0
	s_cselect_b32 s2, -1, 0
	s_cmp_neq_f32 s22, 0
	s_cselect_b32 s3, -1, 0
	s_delay_alu instid0(SALU_CYCLE_1)
	s_and_b32 s2, s2, s3
.LBB456_2:
	s_delay_alu instid0(SALU_CYCLE_1)
	s_and_not1_b32 vcc_lo, exec_lo, s2
	s_cbranch_vccnz .LBB456_35
; %bb.3:
	s_load_b32 s26, s[0:1], 0x68
	s_bfe_u32 s2, ttmp6, 0x40014
	s_lshr_b32 s3, ttmp7, 16
	s_add_co_i32 s2, s2, 1
	s_bfe_u32 s5, ttmp6, 0x40008
	s_mul_i32 s4, s3, s2
	s_getreg_b32 s2, hwreg(HW_REG_IB_STS2, 6, 4)
	s_add_co_i32 s5, s5, s4
	s_cmp_eq_u32 s2, 0
	s_mov_b32 s25, 0
	s_cselect_b32 s24, s3, s5
	s_wait_kmcnt 0x0
	s_cmp_ge_u32 s24, s26
	s_cbranch_scc1 .LBB456_35
; %bb.4:
	s_bfe_u32 s27, ttmp6, 0x4000c
	s_bfe_u32 s29, ttmp6, 0x40010
	s_add_co_i32 s27, s27, 1
	s_and_b32 s30, ttmp7, 0xffff
	s_add_co_i32 s29, s29, 1
	v_and_b32_e32 v20, 0x3ff, v0
	v_bfe_u32 v21, v0, 10, 10
	s_and_b32 s28, ttmp6, 15
	s_mul_i32 s27, ttmp9, s27
	s_mul_i32 s29, s30, s29
	s_bfe_u32 s31, ttmp6, 0x40004
	s_add_co_i32 s28, s28, s27
	s_add_co_i32 s31, s31, s29
	s_cmp_eq_u32 s2, 0
	v_lshl_add_u32 v1, v21, 4, v20
	s_clause 0x2
	s_load_b256 s[8:15], s[0:1], 0x18
	s_load_b128 s[4:7], s[0:1], 0x38
	s_load_b128 s[16:19], s[0:1], 0x50
	s_cselect_b32 s27, s30, s31
	s_cselect_b32 s2, ttmp9, s28
	s_lshl_b32 s27, s27, 5
	v_dual_lshrrev_b32 v2, 5, v1 :: v_dual_bitop2_b32 v0, 7, v0 bitop3:0x40
	v_dual_lshrrev_b32 v3, 3, v1 :: v_dual_bitop2_b32 v1, 31, v1 bitop3:0x40
	v_add_nc_u32_e32 v16, s27, v21
	s_lshl_b32 s2, s2, 5
	s_clause 0x1
	s_load_b32 s3, s[0:1], 0x0
	s_load_b64 s[34:35], s[0:1], 0x60
	v_dual_add_nc_u32 v14, s27, v3 :: v_dual_bitop2_b32 v12, s2, v1 bitop3:0x54
	v_dual_add_nc_u32 v18, 16, v16 :: v_dual_ashrrev_i32 v17, 31, v16
	s_delay_alu instid0(VALU_DEP_2) | instskip(NEXT) | instid1(VALU_DEP_2)
	v_dual_lshlrev_b32 v1, 2, v1 :: v_dual_ashrrev_i32 v15, 31, v14
	v_dual_ashrrev_i32 v13, 31, v12 :: v_dual_ashrrev_i32 v19, 31, v18
	s_wait_kmcnt 0x0
	s_delay_alu instid0(VALU_DEP_3)
	v_mul_u64_e32 v[8:9], s[18:19], v[16:17]
	s_cmp_neq_f32 s22, 0
	v_mul_u64_e32 v[6:7], s[4:5], v[14:15]
	v_mul_u64_e32 v[4:5], s[10:11], v[12:13]
	v_lshlrev_b32_e32 v13, 2, v0
	v_mul_u64_e32 v[10:11], s[18:19], v[18:19]
	v_lshlrev_b32_e32 v28, 2, v20
	s_cselect_b32 s30, -1, 0
	s_cmp_neq_f32 s23, 0
	v_lshl_or_b32 v3, v3, 5, v13
	v_cmp_gt_i32_e64 s0, s3, v12
	v_add_nc_u32_e32 v12, s2, v20
	v_cmp_gt_i32_e64 s1, s3, v14
	v_cmp_gt_i32_e32 vcc_lo, s3, v16
	v_cmp_gt_i64_e64 s10, s[20:21], 0
	s_cselect_b32 s18, -1, 0
	v_cmp_le_i32_e64 s2, v12, v16
	v_dual_add_nc_u32 v14, 16, v12 :: v_dual_ashrrev_i32 v13, 31, v12
	v_cmp_gt_i32_e64 s3, s3, v18
	v_cmp_le_i32_e64 s4, v12, v18
	s_and_b32 s19, vcc_lo, s2
	v_cmp_le_i32_e64 s2, v14, v16
	v_cmp_le_i32_e64 s5, v14, v18
	v_lshl_or_b32 v1, v2, 7, v1
	v_add_nc_u32_e32 v3, 0x400, v3
	v_lshl_add_u32 v29, v21, 5, 0x400
	v_dual_ashrrev_i32 v15, 31, v14 :: v_dual_mov_b32 v17, 0
	s_and_b32 s27, vcc_lo, s2
	s_and_b32 s28, s3, s4
	s_and_b32 s29, s3, s5
	;; [unrolled: 1-line block ×3, first 2 shown]
	s_lshl_b64 s[2:3], s[6:7], 2
	s_lshl_b64 s[4:5], s[12:13], 2
	;; [unrolled: 1-line block ×3, first 2 shown]
	s_branch .LBB456_6
.LBB456_5:                              ;   in Loop: Header=BB456_6 Depth=1
	s_wait_xcnt 0x0
	s_or_b32 exec_lo, exec_lo, s10
	s_add_co_i32 s24, s24, 0x10000
	s_delay_alu instid0(SALU_CYCLE_1)
	s_cmp_lt_u32 s24, s26
	s_cbranch_scc0 .LBB456_35
.LBB456_6:                              ; =>This Loop Header: Depth=1
                                        ;     Child Loop BB456_9 Depth 2
	v_dual_mov_b32 v16, s24 :: v_dual_mov_b32 v23, v17
	v_dual_mov_b32 v22, v17 :: v_dual_mov_b32 v19, v17
	v_mov_b32_e32 v18, v17
	global_load_b64 v[20:21], v16, s[16:17] scale_offset
	s_and_not1_b32 vcc_lo, exec_lo, s30
	s_cbranch_vccnz .LBB456_15
; %bb.7:                                ;   in Loop: Header=BB456_6 Depth=1
	s_lshl_b64 s[10:11], s[24:25], 3
	v_mov_b32_e32 v18, 0
	s_add_nc_u64 s[12:13], s[8:9], s[10:11]
	s_add_nc_u64 s[10:11], s[14:15], s[10:11]
	s_clause 0x1
	global_load_b64 v[22:23], v17, s[12:13]
	global_load_b64 v[24:25], v17, s[10:11]
	s_wait_xcnt 0x0
	s_mov_b64 s[10:11], 0
	v_mov_b32_e32 v19, v18
	s_wait_loadcnt 0x1
	v_add_nc_u64_e32 v[26:27], s[4:5], v[22:23]
	s_wait_loadcnt 0x0
	v_add_nc_u64_e32 v[30:31], s[2:3], v[24:25]
	v_dual_mov_b32 v22, v18 :: v_dual_mov_b32 v23, v18
	s_delay_alu instid0(VALU_DEP_3) | instskip(NEXT) | instid1(VALU_DEP_3)
	v_lshl_add_u64 v[24:25], v[4:5], 2, v[26:27]
	v_lshl_add_u64 v[26:27], v[6:7], 2, v[30:31]
	s_branch .LBB456_9
.LBB456_8:                              ;   in Loop: Header=BB456_9 Depth=2
	s_wait_xcnt 0x0
	s_or_b32 exec_lo, exec_lo, s12
	s_wait_loadcnt_dscnt 0x0
	ds_store_b32 v3, v31
	s_wait_dscnt 0x0
	s_barrier_signal -1
	s_barrier_wait -1
	ds_load_b128 v[30:33], v29
	ds_load_2addr_b32 v[46:47], v28 offset1:16
	ds_load_b128 v[34:37], v29 offset:512
	ds_load_2addr_b32 v[48:49], v28 offset0:32 offset1:48
	ds_load_2addr_b32 v[50:51], v28 offset0:64 offset1:80
	;; [unrolled: 1-line block ×3, first 2 shown]
	ds_load_b128 v[38:41], v29 offset:16
	ds_load_2addr_b32 v[54:55], v28 offset0:128 offset1:144
	ds_load_b128 v[42:45], v29 offset:528
	s_add_nc_u64 s[10:11], s[10:11], 8
	s_delay_alu instid0(SALU_CYCLE_1)
	v_cmp_gt_i64_e64 s12, s[20:21], s[10:11]
	s_and_b32 vcc_lo, exec_lo, s12
	s_wait_dscnt 0x8
	v_mov_b32_e32 v16, v33
	s_wait_dscnt 0x7
	v_pk_fma_f32 v[22:23], v[46:47], v[30:31], v[22:23] op_sel_hi:[1,0,1]
	s_wait_dscnt 0x6
	v_pk_fma_f32 v[18:19], v[46:47], v[34:35], v[18:19] op_sel_hi:[1,0,1]
	ds_load_2addr_b32 v[46:47], v28 offset0:160 offset1:176
	s_wait_dscnt 0x6
	v_pk_fma_f32 v[22:23], v[48:49], v[30:31], v[22:23] op_sel:[0,1,0]
	v_pk_fma_f32 v[18:19], v[48:49], v[34:35], v[18:19] op_sel:[0,1,0]
	ds_load_2addr_b32 v[30:31], v28 offset0:192 offset1:208
	v_mov_b32_e32 v34, v37
	s_wait_dscnt 0x6
	v_pk_fma_f32 v[22:23], v[50:51], v[32:33], v[22:23] op_sel_hi:[1,0,1]
	v_pk_fma_f32 v[18:19], v[50:51], v[36:37], v[18:19] op_sel_hi:[1,0,1]
	ds_load_2addr_b32 v[32:33], v28 offset0:224 offset1:240
	s_wait_dscnt 0x0
	s_barrier_signal -1
	v_pk_fma_f32 v[22:23], v[52:53], v[16:17], v[22:23] op_sel_hi:[1,0,1]
	v_pk_fma_f32 v[18:19], v[52:53], v[34:35], v[18:19] op_sel_hi:[1,0,1]
	v_dual_mov_b32 v16, v41 :: v_dual_mov_b32 v34, v45
	s_barrier_wait -1
	s_delay_alu instid0(VALU_DEP_3) | instskip(NEXT) | instid1(VALU_DEP_3)
	v_pk_fma_f32 v[22:23], v[54:55], v[38:39], v[22:23] op_sel_hi:[1,0,1]
	v_pk_fma_f32 v[18:19], v[54:55], v[42:43], v[18:19] op_sel_hi:[1,0,1]
	s_delay_alu instid0(VALU_DEP_2) | instskip(NEXT) | instid1(VALU_DEP_2)
	v_pk_fma_f32 v[22:23], v[46:47], v[38:39], v[22:23] op_sel:[0,1,0]
	v_pk_fma_f32 v[18:19], v[46:47], v[42:43], v[18:19] op_sel:[0,1,0]
	s_delay_alu instid0(VALU_DEP_2) | instskip(NEXT) | instid1(VALU_DEP_2)
	v_pk_fma_f32 v[22:23], v[30:31], v[40:41], v[22:23] op_sel_hi:[1,0,1]
	v_pk_fma_f32 v[18:19], v[30:31], v[44:45], v[18:19] op_sel_hi:[1,0,1]
	s_delay_alu instid0(VALU_DEP_2) | instskip(NEXT) | instid1(VALU_DEP_2)
	v_pk_fma_f32 v[22:23], v[32:33], v[16:17], v[22:23] op_sel_hi:[1,0,1]
	v_pk_fma_f32 v[18:19], v[32:33], v[34:35], v[18:19] op_sel_hi:[1,0,1]
	s_cbranch_vccz .LBB456_15
.LBB456_9:                              ;   Parent Loop BB456_6 Depth=1
                                        ; =>  This Inner Loop Header: Depth=2
	v_mov_b32_e32 v30, 0
	s_and_saveexec_b32 s12, s0
	s_cbranch_execz .LBB456_13
; %bb.10:                               ;   in Loop: Header=BB456_9 Depth=2
	v_dual_add_nc_u32 v16, s10, v2 :: v_dual_mov_b32 v30, 0
	s_mov_b32 s13, exec_lo
	s_delay_alu instid0(VALU_DEP_1)
	v_cmpx_gt_u64_e64 s[20:21], v[16:17]
	s_cbranch_execz .LBB456_12
; %bb.11:                               ;   in Loop: Header=BB456_9 Depth=2
	v_lshl_add_u64 v[30:31], v[16:17], 2, v[24:25]
	flat_load_b32 v30, v[30:31]
.LBB456_12:                             ;   in Loop: Header=BB456_9 Depth=2
	s_wait_xcnt 0x0
	s_or_b32 exec_lo, exec_lo, s13
.LBB456_13:                             ;   in Loop: Header=BB456_9 Depth=2
	s_delay_alu instid0(SALU_CYCLE_1)
	s_or_b32 exec_lo, exec_lo, s12
	v_dual_mov_b32 v31, 0 :: v_dual_add_nc_u32 v16, s10, v0
	s_wait_loadcnt_dscnt 0x0
	ds_store_b32 v1, v30
	v_cmp_gt_u64_e32 vcc_lo, s[20:21], v[16:17]
	s_and_b32 s13, vcc_lo, s1
	s_delay_alu instid0(SALU_CYCLE_1)
	s_and_saveexec_b32 s12, s13
	s_cbranch_execz .LBB456_8
; %bb.14:                               ;   in Loop: Header=BB456_9 Depth=2
	v_lshl_add_u64 v[30:31], v[16:17], 2, v[26:27]
	flat_load_b32 v31, v[30:31]
	s_branch .LBB456_8
.LBB456_15:                             ;   in Loop: Header=BB456_6 Depth=1
	s_wait_loadcnt 0x0
	v_add_nc_u64_e32 v[20:21], s[6:7], v[20:21]
	s_delay_alu instid0(VALU_DEP_1)
	v_lshl_add_u64 v[24:25], v[8:9], 2, v[20:21]
	s_wait_xcnt 0x0
	s_and_saveexec_b32 s10, s19
	s_cbranch_execz .LBB456_19
; %bb.16:                               ;   in Loop: Header=BB456_6 Depth=1
	v_mul_f32_e32 v16, s22, v22
	v_lshl_add_u64 v[26:27], v[12:13], 2, v[24:25]
	s_and_b32 vcc_lo, exec_lo, s18
	s_cbranch_vccz .LBB456_30
; %bb.17:                               ;   in Loop: Header=BB456_6 Depth=1
	flat_load_b32 v22, v[26:27]
	s_wait_loadcnt_dscnt 0x0
	v_fma_f32 v22, s23, v22, v16
	flat_store_b32 v[26:27], v22
	s_cbranch_execnz .LBB456_19
.LBB456_18:                             ;   in Loop: Header=BB456_6 Depth=1
	flat_store_b32 v[26:27], v16
.LBB456_19:                             ;   in Loop: Header=BB456_6 Depth=1
	s_wait_xcnt 0x0
	s_or_b32 exec_lo, exec_lo, s10
	s_and_saveexec_b32 s10, s27
	s_cbranch_execz .LBB456_23
; %bb.20:                               ;   in Loop: Header=BB456_6 Depth=1
	v_mul_f32_e32 v16, s22, v23
	v_lshl_add_u64 v[22:23], v[14:15], 2, v[24:25]
	s_and_not1_b32 vcc_lo, exec_lo, s18
	s_cbranch_vccnz .LBB456_31
; %bb.21:                               ;   in Loop: Header=BB456_6 Depth=1
	flat_load_b32 v24, v[22:23]
	s_wait_loadcnt_dscnt 0x0
	v_fma_f32 v24, s23, v24, v16
	flat_store_b32 v[22:23], v24
	s_cbranch_execnz .LBB456_23
.LBB456_22:                             ;   in Loop: Header=BB456_6 Depth=1
	flat_store_b32 v[22:23], v16
.LBB456_23:                             ;   in Loop: Header=BB456_6 Depth=1
	s_wait_xcnt 0x0
	s_or_b32 exec_lo, exec_lo, s10
	v_lshl_add_u64 v[20:21], v[10:11], 2, v[20:21]
	s_and_saveexec_b32 s10, s28
	s_cbranch_execz .LBB456_27
; %bb.24:                               ;   in Loop: Header=BB456_6 Depth=1
	v_mul_f32_e32 v16, s22, v18
	s_delay_alu instid0(VALU_DEP_2)
	v_lshl_add_u64 v[22:23], v[12:13], 2, v[20:21]
	s_and_not1_b32 vcc_lo, exec_lo, s18
	s_cbranch_vccnz .LBB456_32
; %bb.25:                               ;   in Loop: Header=BB456_6 Depth=1
	flat_load_b32 v18, v[22:23]
	s_wait_loadcnt_dscnt 0x0
	v_fma_f32 v18, s23, v18, v16
	flat_store_b32 v[22:23], v18
	s_cbranch_execnz .LBB456_27
.LBB456_26:                             ;   in Loop: Header=BB456_6 Depth=1
	flat_store_b32 v[22:23], v16
.LBB456_27:                             ;   in Loop: Header=BB456_6 Depth=1
	s_wait_xcnt 0x0
	s_or_b32 exec_lo, exec_lo, s10
	s_and_saveexec_b32 s10, s29
	s_cbranch_execz .LBB456_5
; %bb.28:                               ;   in Loop: Header=BB456_6 Depth=1
	v_mul_f32_e32 v16, s22, v19
	v_lshl_add_u64 v[18:19], v[14:15], 2, v[20:21]
	s_and_not1_b32 vcc_lo, exec_lo, s18
	s_cbranch_vccnz .LBB456_33
; %bb.29:                               ;   in Loop: Header=BB456_6 Depth=1
	flat_load_b32 v20, v[18:19]
	s_wait_loadcnt_dscnt 0x0
	v_fma_f32 v20, s23, v20, v16
	flat_store_b32 v[18:19], v20
	s_cbranch_execnz .LBB456_5
	s_branch .LBB456_34
.LBB456_30:                             ;   in Loop: Header=BB456_6 Depth=1
	s_branch .LBB456_18
.LBB456_31:                             ;   in Loop: Header=BB456_6 Depth=1
	s_branch .LBB456_22
.LBB456_32:                             ;   in Loop: Header=BB456_6 Depth=1
	s_branch .LBB456_26
.LBB456_33:                             ;   in Loop: Header=BB456_6 Depth=1
.LBB456_34:                             ;   in Loop: Header=BB456_6 Depth=1
	flat_store_b32 v[18:19], v16
	s_branch .LBB456_5
.LBB456_35:
	s_endpgm
	.section	.rodata,"a",@progbits
	.p2align	6, 0x0
	.amdhsa_kernel _ZL29rocblas_internal_gemmt_kernelIlLi16ELi32ELi8ELc67ELc78ELc85ELb0ELb0EffPKPKfPKPfEviT_T9_T10_S7_lS9_S7_lS8_T11_S7_li
		.amdhsa_group_segment_fixed_size 2048
		.amdhsa_private_segment_fixed_size 0
		.amdhsa_kernarg_size 108
		.amdhsa_user_sgpr_count 2
		.amdhsa_user_sgpr_dispatch_ptr 0
		.amdhsa_user_sgpr_queue_ptr 0
		.amdhsa_user_sgpr_kernarg_segment_ptr 1
		.amdhsa_user_sgpr_dispatch_id 0
		.amdhsa_user_sgpr_kernarg_preload_length 0
		.amdhsa_user_sgpr_kernarg_preload_offset 0
		.amdhsa_user_sgpr_private_segment_size 0
		.amdhsa_wavefront_size32 1
		.amdhsa_uses_dynamic_stack 0
		.amdhsa_enable_private_segment 0
		.amdhsa_system_sgpr_workgroup_id_x 1
		.amdhsa_system_sgpr_workgroup_id_y 1
		.amdhsa_system_sgpr_workgroup_id_z 1
		.amdhsa_system_sgpr_workgroup_info 0
		.amdhsa_system_vgpr_workitem_id 1
		.amdhsa_next_free_vgpr 56
		.amdhsa_next_free_sgpr 36
		.amdhsa_named_barrier_count 0
		.amdhsa_reserve_vcc 1
		.amdhsa_float_round_mode_32 0
		.amdhsa_float_round_mode_16_64 0
		.amdhsa_float_denorm_mode_32 3
		.amdhsa_float_denorm_mode_16_64 3
		.amdhsa_fp16_overflow 0
		.amdhsa_memory_ordered 1
		.amdhsa_forward_progress 1
		.amdhsa_inst_pref_size 13
		.amdhsa_round_robin_scheduling 0
		.amdhsa_exception_fp_ieee_invalid_op 0
		.amdhsa_exception_fp_denorm_src 0
		.amdhsa_exception_fp_ieee_div_zero 0
		.amdhsa_exception_fp_ieee_overflow 0
		.amdhsa_exception_fp_ieee_underflow 0
		.amdhsa_exception_fp_ieee_inexact 0
		.amdhsa_exception_int_div_zero 0
	.end_amdhsa_kernel
	.section	.text._ZL29rocblas_internal_gemmt_kernelIlLi16ELi32ELi8ELc67ELc78ELc85ELb0ELb0EffPKPKfPKPfEviT_T9_T10_S7_lS9_S7_lS8_T11_S7_li,"axG",@progbits,_ZL29rocblas_internal_gemmt_kernelIlLi16ELi32ELi8ELc67ELc78ELc85ELb0ELb0EffPKPKfPKPfEviT_T9_T10_S7_lS9_S7_lS8_T11_S7_li,comdat
.Lfunc_end456:
	.size	_ZL29rocblas_internal_gemmt_kernelIlLi16ELi32ELi8ELc67ELc78ELc85ELb0ELb0EffPKPKfPKPfEviT_T9_T10_S7_lS9_S7_lS8_T11_S7_li, .Lfunc_end456-_ZL29rocblas_internal_gemmt_kernelIlLi16ELi32ELi8ELc67ELc78ELc85ELb0ELb0EffPKPKfPKPfEviT_T9_T10_S7_lS9_S7_lS8_T11_S7_li
                                        ; -- End function
	.set _ZL29rocblas_internal_gemmt_kernelIlLi16ELi32ELi8ELc67ELc78ELc85ELb0ELb0EffPKPKfPKPfEviT_T9_T10_S7_lS9_S7_lS8_T11_S7_li.num_vgpr, 56
	.set _ZL29rocblas_internal_gemmt_kernelIlLi16ELi32ELi8ELc67ELc78ELc85ELb0ELb0EffPKPKfPKPfEviT_T9_T10_S7_lS9_S7_lS8_T11_S7_li.num_agpr, 0
	.set _ZL29rocblas_internal_gemmt_kernelIlLi16ELi32ELi8ELc67ELc78ELc85ELb0ELb0EffPKPKfPKPfEviT_T9_T10_S7_lS9_S7_lS8_T11_S7_li.numbered_sgpr, 36
	.set _ZL29rocblas_internal_gemmt_kernelIlLi16ELi32ELi8ELc67ELc78ELc85ELb0ELb0EffPKPKfPKPfEviT_T9_T10_S7_lS9_S7_lS8_T11_S7_li.num_named_barrier, 0
	.set _ZL29rocblas_internal_gemmt_kernelIlLi16ELi32ELi8ELc67ELc78ELc85ELb0ELb0EffPKPKfPKPfEviT_T9_T10_S7_lS9_S7_lS8_T11_S7_li.private_seg_size, 0
	.set _ZL29rocblas_internal_gemmt_kernelIlLi16ELi32ELi8ELc67ELc78ELc85ELb0ELb0EffPKPKfPKPfEviT_T9_T10_S7_lS9_S7_lS8_T11_S7_li.uses_vcc, 1
	.set _ZL29rocblas_internal_gemmt_kernelIlLi16ELi32ELi8ELc67ELc78ELc85ELb0ELb0EffPKPKfPKPfEviT_T9_T10_S7_lS9_S7_lS8_T11_S7_li.uses_flat_scratch, 0
	.set _ZL29rocblas_internal_gemmt_kernelIlLi16ELi32ELi8ELc67ELc78ELc85ELb0ELb0EffPKPKfPKPfEviT_T9_T10_S7_lS9_S7_lS8_T11_S7_li.has_dyn_sized_stack, 0
	.set _ZL29rocblas_internal_gemmt_kernelIlLi16ELi32ELi8ELc67ELc78ELc85ELb0ELb0EffPKPKfPKPfEviT_T9_T10_S7_lS9_S7_lS8_T11_S7_li.has_recursion, 0
	.set _ZL29rocblas_internal_gemmt_kernelIlLi16ELi32ELi8ELc67ELc78ELc85ELb0ELb0EffPKPKfPKPfEviT_T9_T10_S7_lS9_S7_lS8_T11_S7_li.has_indirect_call, 0
	.section	.AMDGPU.csdata,"",@progbits
; Kernel info:
; codeLenInByte = 1664
; TotalNumSgprs: 38
; NumVgprs: 56
; ScratchSize: 0
; MemoryBound: 0
; FloatMode: 240
; IeeeMode: 1
; LDSByteSize: 2048 bytes/workgroup (compile time only)
; SGPRBlocks: 0
; VGPRBlocks: 3
; NumSGPRsForWavesPerEU: 38
; NumVGPRsForWavesPerEU: 56
; NamedBarCnt: 0
; Occupancy: 16
; WaveLimiterHint : 1
; COMPUTE_PGM_RSRC2:SCRATCH_EN: 0
; COMPUTE_PGM_RSRC2:USER_SGPR: 2
; COMPUTE_PGM_RSRC2:TRAP_HANDLER: 0
; COMPUTE_PGM_RSRC2:TGID_X_EN: 1
; COMPUTE_PGM_RSRC2:TGID_Y_EN: 1
; COMPUTE_PGM_RSRC2:TGID_Z_EN: 1
; COMPUTE_PGM_RSRC2:TIDIG_COMP_CNT: 1
	.section	.text._ZL29rocblas_internal_gemmt_kernelIlLi16ELi32ELi8ELc67ELc84ELc85ELb0ELb0EffPKPKfPKPfEviT_T9_T10_S7_lS9_S7_lS8_T11_S7_li,"axG",@progbits,_ZL29rocblas_internal_gemmt_kernelIlLi16ELi32ELi8ELc67ELc84ELc85ELb0ELb0EffPKPKfPKPfEviT_T9_T10_S7_lS9_S7_lS8_T11_S7_li,comdat
	.globl	_ZL29rocblas_internal_gemmt_kernelIlLi16ELi32ELi8ELc67ELc84ELc85ELb0ELb0EffPKPKfPKPfEviT_T9_T10_S7_lS9_S7_lS8_T11_S7_li ; -- Begin function _ZL29rocblas_internal_gemmt_kernelIlLi16ELi32ELi8ELc67ELc84ELc85ELb0ELb0EffPKPKfPKPfEviT_T9_T10_S7_lS9_S7_lS8_T11_S7_li
	.p2align	8
	.type	_ZL29rocblas_internal_gemmt_kernelIlLi16ELi32ELi8ELc67ELc84ELc85ELb0ELb0EffPKPKfPKPfEviT_T9_T10_S7_lS9_S7_lS8_T11_S7_li,@function
_ZL29rocblas_internal_gemmt_kernelIlLi16ELi32ELi8ELc67ELc84ELc85ELb0ELb0EffPKPKfPKPfEviT_T9_T10_S7_lS9_S7_lS8_T11_S7_li: ; @_ZL29rocblas_internal_gemmt_kernelIlLi16ELi32ELi8ELc67ELc84ELc85ELb0ELb0EffPKPKfPKPfEviT_T9_T10_S7_lS9_S7_lS8_T11_S7_li
; %bb.0:
	s_clause 0x1
	s_load_b32 s27, s[0:1], 0x48
	s_load_b96 s[24:26], s[0:1], 0x8
	s_wait_kmcnt 0x0
	s_cmp_neq_f32 s27, 1.0
	s_cselect_b32 s2, -1, 0
	s_delay_alu instid0(SALU_CYCLE_1)
	s_and_b32 vcc_lo, exec_lo, s2
	s_cbranch_vccnz .LBB457_2
; %bb.1:
	s_cmp_lg_u64 s[24:25], 0
	s_cselect_b32 s2, -1, 0
	s_cmp_neq_f32 s26, 0
	s_cselect_b32 s3, -1, 0
	s_delay_alu instid0(SALU_CYCLE_1)
	s_and_b32 s2, s2, s3
.LBB457_2:
	s_delay_alu instid0(SALU_CYCLE_1)
	s_and_not1_b32 vcc_lo, exec_lo, s2
	s_cbranch_vccnz .LBB457_35
; %bb.3:
	s_load_b32 s30, s[0:1], 0x68
	s_bfe_u32 s2, ttmp6, 0x40014
	s_lshr_b32 s3, ttmp7, 16
	s_add_co_i32 s2, s2, 1
	s_bfe_u32 s5, ttmp6, 0x40008
	s_mul_i32 s4, s3, s2
	s_getreg_b32 s2, hwreg(HW_REG_IB_STS2, 6, 4)
	s_add_co_i32 s5, s5, s4
	s_cmp_eq_u32 s2, 0
	s_mov_b32 s7, 0
	s_cselect_b32 s6, s3, s5
	s_wait_kmcnt 0x0
	s_cmp_ge_u32 s6, s30
	s_cbranch_scc1 .LBB457_35
; %bb.4:
	s_clause 0x4
	s_load_b32 s3, s[0:1], 0x0
	s_load_b256 s[8:15], s[0:1], 0x18
	s_load_b64 s[28:29], s[0:1], 0x60
	s_load_b128 s[16:19], s[0:1], 0x38
	s_load_b128 s[20:23], s[0:1], 0x50
	s_wait_xcnt 0x0
	s_bfe_u32 s0, ttmp6, 0x4000c
	s_bfe_u32 s4, ttmp6, 0x40010
	s_add_co_i32 s0, s0, 1
	s_and_b32 s5, ttmp7, 0xffff
	s_add_co_i32 s4, s4, 1
	v_and_b32_e32 v15, 0x3ff, v0
	v_bfe_u32 v20, v0, 10, 10
	s_and_b32 s1, ttmp6, 15
	s_mul_i32 s0, ttmp9, s0
	s_mul_i32 s4, s5, s4
	s_bfe_u32 s31, ttmp6, 0x40004
	s_add_co_i32 s1, s1, s0
	s_add_co_i32 s31, s31, s4
	s_cmp_eq_u32 s2, 0
	v_lshl_add_u32 v1, v20, 4, v15
	s_cselect_b32 s0, s5, s31
	s_cselect_b32 s1, ttmp9, s1
	s_lshl_b32 s0, s0, 5
	s_delay_alu instid0(VALU_DEP_1) | instskip(SKIP_3) | instid1(VALU_DEP_2)
	v_dual_lshrrev_b32 v2, 5, v1 :: v_dual_bitop2_b32 v0, 7, v0 bitop3:0x40
	v_dual_lshrrev_b32 v1, 3, v1 :: v_dual_bitop2_b32 v3, 31, v1 bitop3:0x40
	s_lshl_b32 s2, s1, 5
	v_add_nc_u32_e32 v16, s0, v20
	v_dual_lshlrev_b32 v5, 2, v0 :: v_dual_bitop2_b32 v12, s2, v3 bitop3:0x54
	s_delay_alu instid0(VALU_DEP_3) | instskip(NEXT) | instid1(VALU_DEP_3)
	v_dual_add_nc_u32 v4, s0, v1 :: v_dual_lshlrev_b32 v3, 2, v3
	v_dual_ashrrev_i32 v17, 31, v16 :: v_dual_add_nc_u32 v18, 16, v16
	s_delay_alu instid0(VALU_DEP_3)
	v_ashrrev_i32_e32 v13, 31, v12
	s_wait_kmcnt 0x0
	v_cmp_gt_i32_e64 s0, s3, v12
	s_cmp_neq_f32 s26, 0
	v_mul_u64_e32 v[8:9], s[22:23], v[16:17]
	v_ashrrev_i32_e32 v19, 31, v18
	v_mul_u64_e32 v[6:7], s[10:11], v[12:13]
	v_add_nc_u32_e32 v12, s2, v15
	v_cmp_gt_i32_e32 vcc_lo, s3, v16
	s_cselect_b32 s35, -1, 0
	v_mul_u64_e32 v[10:11], s[22:23], v[18:19]
	s_cmp_neq_f32 s27, 0
	v_cmp_le_i32_e64 s2, v12, v16
	v_dual_add_nc_u32 v14, 16, v12 :: v_dual_ashrrev_i32 v13, 31, v12
	v_lshl_or_b32 v5, v1, 5, v5
	v_cmp_gt_i64_e64 s36, s[24:25], 0
	v_cmp_gt_i32_e64 s1, s3, v4
	s_cselect_b32 s22, -1, 0
	s_and_b32 s23, vcc_lo, s2
	v_cmp_le_i32_e64 s2, v14, v16
	v_cmp_gt_i32_e64 s3, s3, v18
	v_cmp_le_i32_e64 s4, v12, v18
	v_cmp_le_i32_e64 s5, v14, v18
	v_lshl_or_b32 v1, v2, 7, v3
	v_add_nc_u32_e32 v3, 0x400, v5
	v_dual_ashrrev_i32 v5, 31, v4 :: v_dual_lshlrev_b32 v28, 2, v15
	v_lshl_add_u32 v29, v20, 5, 0x400
	v_dual_ashrrev_i32 v15, 31, v14 :: v_dual_mov_b32 v17, 0
	s_and_b32 s31, vcc_lo, s2
	s_and_b32 s33, s3, s4
	s_and_b32 s34, s3, s5
	;; [unrolled: 1-line block ×3, first 2 shown]
	s_lshl_b64 s[2:3], s[18:19], 2
	s_lshl_b64 s[4:5], s[12:13], 2
	s_lshl_b64 s[10:11], s[28:29], 2
	s_branch .LBB457_6
.LBB457_5:                              ;   in Loop: Header=BB457_6 Depth=1
	s_wait_xcnt 0x0
	s_or_b32 exec_lo, exec_lo, s12
	s_add_co_i32 s6, s6, 0x10000
	s_delay_alu instid0(SALU_CYCLE_1)
	s_cmp_lt_u32 s6, s30
	s_cbranch_scc0 .LBB457_35
.LBB457_6:                              ; =>This Loop Header: Depth=1
                                        ;     Child Loop BB457_9 Depth 2
	v_dual_mov_b32 v16, s6 :: v_dual_mov_b32 v23, v17
	v_dual_mov_b32 v22, v17 :: v_dual_mov_b32 v19, v17
	v_mov_b32_e32 v18, v17
	global_load_b64 v[20:21], v16, s[20:21] scale_offset
	s_and_not1_b32 vcc_lo, exec_lo, s35
	s_cbranch_vccnz .LBB457_15
; %bb.7:                                ;   in Loop: Header=BB457_6 Depth=1
	s_lshl_b64 s[12:13], s[6:7], 3
	v_mov_b32_e32 v18, 0
	s_add_nc_u64 s[18:19], s[8:9], s[12:13]
	s_add_nc_u64 s[12:13], s[14:15], s[12:13]
	s_clause 0x1
	global_load_b64 v[22:23], v17, s[18:19]
	global_load_b64 v[24:25], v17, s[12:13]
	s_wait_xcnt 0x0
	s_mov_b64 s[12:13], 0
	v_mov_b32_e32 v19, v18
	s_wait_loadcnt 0x1
	v_add_nc_u64_e32 v[26:27], s[4:5], v[22:23]
	s_wait_loadcnt 0x0
	v_add_nc_u64_e32 v[30:31], s[2:3], v[24:25]
	v_dual_mov_b32 v22, v18 :: v_dual_mov_b32 v23, v18
	s_delay_alu instid0(VALU_DEP_3) | instskip(NEXT) | instid1(VALU_DEP_3)
	v_lshl_add_u64 v[24:25], v[6:7], 2, v[26:27]
	v_lshl_add_u64 v[26:27], v[4:5], 2, v[30:31]
	s_branch .LBB457_9
.LBB457_8:                              ;   in Loop: Header=BB457_9 Depth=2
	s_wait_xcnt 0x0
	s_or_b32 exec_lo, exec_lo, s18
	s_wait_loadcnt_dscnt 0x0
	ds_store_b32 v3, v31
	s_wait_dscnt 0x0
	s_barrier_signal -1
	s_barrier_wait -1
	ds_load_b128 v[30:33], v29
	ds_load_2addr_b32 v[46:47], v28 offset1:16
	ds_load_b128 v[34:37], v29 offset:512
	ds_load_2addr_b32 v[48:49], v28 offset0:32 offset1:48
	ds_load_2addr_b32 v[50:51], v28 offset0:64 offset1:80
	;; [unrolled: 1-line block ×3, first 2 shown]
	ds_load_b128 v[38:41], v29 offset:16
	ds_load_2addr_b32 v[54:55], v28 offset0:128 offset1:144
	ds_load_b128 v[42:45], v29 offset:528
	s_add_nc_u64 s[12:13], s[12:13], 8
	s_delay_alu instid0(SALU_CYCLE_1)
	v_cmp_gt_i64_e64 s18, s[24:25], s[12:13]
	s_and_b32 vcc_lo, exec_lo, s18
	s_wait_dscnt 0x8
	v_mov_b32_e32 v16, v33
	s_wait_dscnt 0x7
	v_pk_fma_f32 v[22:23], v[46:47], v[30:31], v[22:23] op_sel_hi:[1,0,1]
	s_wait_dscnt 0x6
	v_pk_fma_f32 v[18:19], v[46:47], v[34:35], v[18:19] op_sel_hi:[1,0,1]
	ds_load_2addr_b32 v[46:47], v28 offset0:160 offset1:176
	s_wait_dscnt 0x6
	v_pk_fma_f32 v[22:23], v[48:49], v[30:31], v[22:23] op_sel:[0,1,0]
	v_pk_fma_f32 v[18:19], v[48:49], v[34:35], v[18:19] op_sel:[0,1,0]
	ds_load_2addr_b32 v[30:31], v28 offset0:192 offset1:208
	v_mov_b32_e32 v34, v37
	s_wait_dscnt 0x6
	v_pk_fma_f32 v[22:23], v[50:51], v[32:33], v[22:23] op_sel_hi:[1,0,1]
	v_pk_fma_f32 v[18:19], v[50:51], v[36:37], v[18:19] op_sel_hi:[1,0,1]
	ds_load_2addr_b32 v[32:33], v28 offset0:224 offset1:240
	s_wait_dscnt 0x0
	s_barrier_signal -1
	v_pk_fma_f32 v[22:23], v[52:53], v[16:17], v[22:23] op_sel_hi:[1,0,1]
	v_pk_fma_f32 v[18:19], v[52:53], v[34:35], v[18:19] op_sel_hi:[1,0,1]
	v_dual_mov_b32 v16, v41 :: v_dual_mov_b32 v34, v45
	s_barrier_wait -1
	s_delay_alu instid0(VALU_DEP_3) | instskip(NEXT) | instid1(VALU_DEP_3)
	v_pk_fma_f32 v[22:23], v[54:55], v[38:39], v[22:23] op_sel_hi:[1,0,1]
	v_pk_fma_f32 v[18:19], v[54:55], v[42:43], v[18:19] op_sel_hi:[1,0,1]
	s_delay_alu instid0(VALU_DEP_2) | instskip(NEXT) | instid1(VALU_DEP_2)
	v_pk_fma_f32 v[22:23], v[46:47], v[38:39], v[22:23] op_sel:[0,1,0]
	v_pk_fma_f32 v[18:19], v[46:47], v[42:43], v[18:19] op_sel:[0,1,0]
	s_delay_alu instid0(VALU_DEP_2) | instskip(NEXT) | instid1(VALU_DEP_2)
	v_pk_fma_f32 v[22:23], v[30:31], v[40:41], v[22:23] op_sel_hi:[1,0,1]
	v_pk_fma_f32 v[18:19], v[30:31], v[44:45], v[18:19] op_sel_hi:[1,0,1]
	s_delay_alu instid0(VALU_DEP_2) | instskip(NEXT) | instid1(VALU_DEP_2)
	v_pk_fma_f32 v[22:23], v[32:33], v[16:17], v[22:23] op_sel_hi:[1,0,1]
	v_pk_fma_f32 v[18:19], v[32:33], v[34:35], v[18:19] op_sel_hi:[1,0,1]
	s_cbranch_vccz .LBB457_15
.LBB457_9:                              ;   Parent Loop BB457_6 Depth=1
                                        ; =>  This Inner Loop Header: Depth=2
	v_mov_b32_e32 v30, 0
	s_and_saveexec_b32 s18, s0
	s_cbranch_execz .LBB457_13
; %bb.10:                               ;   in Loop: Header=BB457_9 Depth=2
	v_dual_add_nc_u32 v16, s12, v2 :: v_dual_mov_b32 v30, 0
	s_mov_b32 s19, exec_lo
	s_delay_alu instid0(VALU_DEP_1)
	v_cmpx_gt_u64_e64 s[24:25], v[16:17]
	s_cbranch_execz .LBB457_12
; %bb.11:                               ;   in Loop: Header=BB457_9 Depth=2
	v_lshl_add_u64 v[30:31], v[16:17], 2, v[24:25]
	flat_load_b32 v30, v[30:31]
.LBB457_12:                             ;   in Loop: Header=BB457_9 Depth=2
	s_wait_xcnt 0x0
	s_or_b32 exec_lo, exec_lo, s19
.LBB457_13:                             ;   in Loop: Header=BB457_9 Depth=2
	s_delay_alu instid0(SALU_CYCLE_1)
	s_or_b32 exec_lo, exec_lo, s18
	v_dual_mov_b32 v31, 0 :: v_dual_add_nc_u32 v16, s12, v0
	s_wait_loadcnt_dscnt 0x0
	ds_store_b32 v1, v30
	v_cmp_gt_u64_e32 vcc_lo, s[24:25], v[16:17]
	s_and_b32 s19, vcc_lo, s1
	s_delay_alu instid0(SALU_CYCLE_1)
	s_and_saveexec_b32 s18, s19
	s_cbranch_execz .LBB457_8
; %bb.14:                               ;   in Loop: Header=BB457_9 Depth=2
	v_mul_u64_e32 v[30:31], s[16:17], v[16:17]
	s_delay_alu instid0(VALU_DEP_1)
	v_lshl_add_u64 v[30:31], v[30:31], 2, v[26:27]
	flat_load_b32 v31, v[30:31]
	s_branch .LBB457_8
.LBB457_15:                             ;   in Loop: Header=BB457_6 Depth=1
	s_wait_loadcnt 0x0
	v_add_nc_u64_e32 v[20:21], s[10:11], v[20:21]
	s_delay_alu instid0(VALU_DEP_1)
	v_lshl_add_u64 v[24:25], v[8:9], 2, v[20:21]
	s_wait_xcnt 0x0
	s_and_saveexec_b32 s12, s23
	s_cbranch_execz .LBB457_19
; %bb.16:                               ;   in Loop: Header=BB457_6 Depth=1
	v_mul_f32_e32 v16, s26, v22
	v_lshl_add_u64 v[26:27], v[12:13], 2, v[24:25]
	s_and_b32 vcc_lo, exec_lo, s22
	s_cbranch_vccz .LBB457_30
; %bb.17:                               ;   in Loop: Header=BB457_6 Depth=1
	flat_load_b32 v22, v[26:27]
	s_wait_loadcnt_dscnt 0x0
	v_fma_f32 v22, s27, v22, v16
	flat_store_b32 v[26:27], v22
	s_cbranch_execnz .LBB457_19
.LBB457_18:                             ;   in Loop: Header=BB457_6 Depth=1
	flat_store_b32 v[26:27], v16
.LBB457_19:                             ;   in Loop: Header=BB457_6 Depth=1
	s_wait_xcnt 0x0
	s_or_b32 exec_lo, exec_lo, s12
	s_and_saveexec_b32 s12, s31
	s_cbranch_execz .LBB457_23
; %bb.20:                               ;   in Loop: Header=BB457_6 Depth=1
	v_mul_f32_e32 v16, s26, v23
	v_lshl_add_u64 v[22:23], v[14:15], 2, v[24:25]
	s_and_not1_b32 vcc_lo, exec_lo, s22
	s_cbranch_vccnz .LBB457_31
; %bb.21:                               ;   in Loop: Header=BB457_6 Depth=1
	flat_load_b32 v24, v[22:23]
	s_wait_loadcnt_dscnt 0x0
	v_fma_f32 v24, s27, v24, v16
	flat_store_b32 v[22:23], v24
	s_cbranch_execnz .LBB457_23
.LBB457_22:                             ;   in Loop: Header=BB457_6 Depth=1
	flat_store_b32 v[22:23], v16
.LBB457_23:                             ;   in Loop: Header=BB457_6 Depth=1
	s_wait_xcnt 0x0
	s_or_b32 exec_lo, exec_lo, s12
	v_lshl_add_u64 v[20:21], v[10:11], 2, v[20:21]
	s_and_saveexec_b32 s12, s33
	s_cbranch_execz .LBB457_27
; %bb.24:                               ;   in Loop: Header=BB457_6 Depth=1
	v_mul_f32_e32 v16, s26, v18
	s_delay_alu instid0(VALU_DEP_2)
	v_lshl_add_u64 v[22:23], v[12:13], 2, v[20:21]
	s_and_not1_b32 vcc_lo, exec_lo, s22
	s_cbranch_vccnz .LBB457_32
; %bb.25:                               ;   in Loop: Header=BB457_6 Depth=1
	flat_load_b32 v18, v[22:23]
	s_wait_loadcnt_dscnt 0x0
	v_fma_f32 v18, s27, v18, v16
	flat_store_b32 v[22:23], v18
	s_cbranch_execnz .LBB457_27
.LBB457_26:                             ;   in Loop: Header=BB457_6 Depth=1
	flat_store_b32 v[22:23], v16
.LBB457_27:                             ;   in Loop: Header=BB457_6 Depth=1
	s_wait_xcnt 0x0
	s_or_b32 exec_lo, exec_lo, s12
	s_and_saveexec_b32 s12, s34
	s_cbranch_execz .LBB457_5
; %bb.28:                               ;   in Loop: Header=BB457_6 Depth=1
	v_mul_f32_e32 v16, s26, v19
	v_lshl_add_u64 v[18:19], v[14:15], 2, v[20:21]
	s_and_not1_b32 vcc_lo, exec_lo, s22
	s_cbranch_vccnz .LBB457_33
; %bb.29:                               ;   in Loop: Header=BB457_6 Depth=1
	flat_load_b32 v20, v[18:19]
	s_wait_loadcnt_dscnt 0x0
	v_fma_f32 v20, s27, v20, v16
	flat_store_b32 v[18:19], v20
	s_cbranch_execnz .LBB457_5
	s_branch .LBB457_34
.LBB457_30:                             ;   in Loop: Header=BB457_6 Depth=1
	s_branch .LBB457_18
.LBB457_31:                             ;   in Loop: Header=BB457_6 Depth=1
	s_branch .LBB457_22
.LBB457_32:                             ;   in Loop: Header=BB457_6 Depth=1
	s_branch .LBB457_26
.LBB457_33:                             ;   in Loop: Header=BB457_6 Depth=1
.LBB457_34:                             ;   in Loop: Header=BB457_6 Depth=1
	flat_store_b32 v[18:19], v16
	s_branch .LBB457_5
.LBB457_35:
	s_endpgm
	.section	.rodata,"a",@progbits
	.p2align	6, 0x0
	.amdhsa_kernel _ZL29rocblas_internal_gemmt_kernelIlLi16ELi32ELi8ELc67ELc84ELc85ELb0ELb0EffPKPKfPKPfEviT_T9_T10_S7_lS9_S7_lS8_T11_S7_li
		.amdhsa_group_segment_fixed_size 2048
		.amdhsa_private_segment_fixed_size 0
		.amdhsa_kernarg_size 108
		.amdhsa_user_sgpr_count 2
		.amdhsa_user_sgpr_dispatch_ptr 0
		.amdhsa_user_sgpr_queue_ptr 0
		.amdhsa_user_sgpr_kernarg_segment_ptr 1
		.amdhsa_user_sgpr_dispatch_id 0
		.amdhsa_user_sgpr_kernarg_preload_length 0
		.amdhsa_user_sgpr_kernarg_preload_offset 0
		.amdhsa_user_sgpr_private_segment_size 0
		.amdhsa_wavefront_size32 1
		.amdhsa_uses_dynamic_stack 0
		.amdhsa_enable_private_segment 0
		.amdhsa_system_sgpr_workgroup_id_x 1
		.amdhsa_system_sgpr_workgroup_id_y 1
		.amdhsa_system_sgpr_workgroup_id_z 1
		.amdhsa_system_sgpr_workgroup_info 0
		.amdhsa_system_vgpr_workitem_id 1
		.amdhsa_next_free_vgpr 56
		.amdhsa_next_free_sgpr 37
		.amdhsa_named_barrier_count 0
		.amdhsa_reserve_vcc 1
		.amdhsa_float_round_mode_32 0
		.amdhsa_float_round_mode_16_64 0
		.amdhsa_float_denorm_mode_32 3
		.amdhsa_float_denorm_mode_16_64 3
		.amdhsa_fp16_overflow 0
		.amdhsa_memory_ordered 1
		.amdhsa_forward_progress 1
		.amdhsa_inst_pref_size 14
		.amdhsa_round_robin_scheduling 0
		.amdhsa_exception_fp_ieee_invalid_op 0
		.amdhsa_exception_fp_denorm_src 0
		.amdhsa_exception_fp_ieee_div_zero 0
		.amdhsa_exception_fp_ieee_overflow 0
		.amdhsa_exception_fp_ieee_underflow 0
		.amdhsa_exception_fp_ieee_inexact 0
		.amdhsa_exception_int_div_zero 0
	.end_amdhsa_kernel
	.section	.text._ZL29rocblas_internal_gemmt_kernelIlLi16ELi32ELi8ELc67ELc84ELc85ELb0ELb0EffPKPKfPKPfEviT_T9_T10_S7_lS9_S7_lS8_T11_S7_li,"axG",@progbits,_ZL29rocblas_internal_gemmt_kernelIlLi16ELi32ELi8ELc67ELc84ELc85ELb0ELb0EffPKPKfPKPfEviT_T9_T10_S7_lS9_S7_lS8_T11_S7_li,comdat
.Lfunc_end457:
	.size	_ZL29rocblas_internal_gemmt_kernelIlLi16ELi32ELi8ELc67ELc84ELc85ELb0ELb0EffPKPKfPKPfEviT_T9_T10_S7_lS9_S7_lS8_T11_S7_li, .Lfunc_end457-_ZL29rocblas_internal_gemmt_kernelIlLi16ELi32ELi8ELc67ELc84ELc85ELb0ELb0EffPKPKfPKPfEviT_T9_T10_S7_lS9_S7_lS8_T11_S7_li
                                        ; -- End function
	.set _ZL29rocblas_internal_gemmt_kernelIlLi16ELi32ELi8ELc67ELc84ELc85ELb0ELb0EffPKPKfPKPfEviT_T9_T10_S7_lS9_S7_lS8_T11_S7_li.num_vgpr, 56
	.set _ZL29rocblas_internal_gemmt_kernelIlLi16ELi32ELi8ELc67ELc84ELc85ELb0ELb0EffPKPKfPKPfEviT_T9_T10_S7_lS9_S7_lS8_T11_S7_li.num_agpr, 0
	.set _ZL29rocblas_internal_gemmt_kernelIlLi16ELi32ELi8ELc67ELc84ELc85ELb0ELb0EffPKPKfPKPfEviT_T9_T10_S7_lS9_S7_lS8_T11_S7_li.numbered_sgpr, 37
	.set _ZL29rocblas_internal_gemmt_kernelIlLi16ELi32ELi8ELc67ELc84ELc85ELb0ELb0EffPKPKfPKPfEviT_T9_T10_S7_lS9_S7_lS8_T11_S7_li.num_named_barrier, 0
	.set _ZL29rocblas_internal_gemmt_kernelIlLi16ELi32ELi8ELc67ELc84ELc85ELb0ELb0EffPKPKfPKPfEviT_T9_T10_S7_lS9_S7_lS8_T11_S7_li.private_seg_size, 0
	.set _ZL29rocblas_internal_gemmt_kernelIlLi16ELi32ELi8ELc67ELc84ELc85ELb0ELb0EffPKPKfPKPfEviT_T9_T10_S7_lS9_S7_lS8_T11_S7_li.uses_vcc, 1
	.set _ZL29rocblas_internal_gemmt_kernelIlLi16ELi32ELi8ELc67ELc84ELc85ELb0ELb0EffPKPKfPKPfEviT_T9_T10_S7_lS9_S7_lS8_T11_S7_li.uses_flat_scratch, 0
	.set _ZL29rocblas_internal_gemmt_kernelIlLi16ELi32ELi8ELc67ELc84ELc85ELb0ELb0EffPKPKfPKPfEviT_T9_T10_S7_lS9_S7_lS8_T11_S7_li.has_dyn_sized_stack, 0
	.set _ZL29rocblas_internal_gemmt_kernelIlLi16ELi32ELi8ELc67ELc84ELc85ELb0ELb0EffPKPKfPKPfEviT_T9_T10_S7_lS9_S7_lS8_T11_S7_li.has_recursion, 0
	.set _ZL29rocblas_internal_gemmt_kernelIlLi16ELi32ELi8ELc67ELc84ELc85ELb0ELb0EffPKPKfPKPfEviT_T9_T10_S7_lS9_S7_lS8_T11_S7_li.has_indirect_call, 0
	.section	.AMDGPU.csdata,"",@progbits
; Kernel info:
; codeLenInByte = 1672
; TotalNumSgprs: 39
; NumVgprs: 56
; ScratchSize: 0
; MemoryBound: 0
; FloatMode: 240
; IeeeMode: 1
; LDSByteSize: 2048 bytes/workgroup (compile time only)
; SGPRBlocks: 0
; VGPRBlocks: 3
; NumSGPRsForWavesPerEU: 39
; NumVGPRsForWavesPerEU: 56
; NamedBarCnt: 0
; Occupancy: 16
; WaveLimiterHint : 1
; COMPUTE_PGM_RSRC2:SCRATCH_EN: 0
; COMPUTE_PGM_RSRC2:USER_SGPR: 2
; COMPUTE_PGM_RSRC2:TRAP_HANDLER: 0
; COMPUTE_PGM_RSRC2:TGID_X_EN: 1
; COMPUTE_PGM_RSRC2:TGID_Y_EN: 1
; COMPUTE_PGM_RSRC2:TGID_Z_EN: 1
; COMPUTE_PGM_RSRC2:TIDIG_COMP_CNT: 1
	.section	.text._ZL29rocblas_internal_gemmt_kernelIlLi16ELi32ELi8ELc67ELc67ELc85ELb0ELb0EffPKPKfPKPfEviT_T9_T10_S7_lS9_S7_lS8_T11_S7_li,"axG",@progbits,_ZL29rocblas_internal_gemmt_kernelIlLi16ELi32ELi8ELc67ELc67ELc85ELb0ELb0EffPKPKfPKPfEviT_T9_T10_S7_lS9_S7_lS8_T11_S7_li,comdat
	.globl	_ZL29rocblas_internal_gemmt_kernelIlLi16ELi32ELi8ELc67ELc67ELc85ELb0ELb0EffPKPKfPKPfEviT_T9_T10_S7_lS9_S7_lS8_T11_S7_li ; -- Begin function _ZL29rocblas_internal_gemmt_kernelIlLi16ELi32ELi8ELc67ELc67ELc85ELb0ELb0EffPKPKfPKPfEviT_T9_T10_S7_lS9_S7_lS8_T11_S7_li
	.p2align	8
	.type	_ZL29rocblas_internal_gemmt_kernelIlLi16ELi32ELi8ELc67ELc67ELc85ELb0ELb0EffPKPKfPKPfEviT_T9_T10_S7_lS9_S7_lS8_T11_S7_li,@function
_ZL29rocblas_internal_gemmt_kernelIlLi16ELi32ELi8ELc67ELc67ELc85ELb0ELb0EffPKPKfPKPfEviT_T9_T10_S7_lS9_S7_lS8_T11_S7_li: ; @_ZL29rocblas_internal_gemmt_kernelIlLi16ELi32ELi8ELc67ELc67ELc85ELb0ELb0EffPKPKfPKPfEviT_T9_T10_S7_lS9_S7_lS8_T11_S7_li
; %bb.0:
	s_clause 0x1
	s_load_b32 s27, s[0:1], 0x48
	s_load_b96 s[24:26], s[0:1], 0x8
	s_wait_kmcnt 0x0
	s_cmp_neq_f32 s27, 1.0
	s_cselect_b32 s2, -1, 0
	s_delay_alu instid0(SALU_CYCLE_1)
	s_and_b32 vcc_lo, exec_lo, s2
	s_cbranch_vccnz .LBB458_2
; %bb.1:
	s_cmp_lg_u64 s[24:25], 0
	s_cselect_b32 s2, -1, 0
	s_cmp_neq_f32 s26, 0
	s_cselect_b32 s3, -1, 0
	s_delay_alu instid0(SALU_CYCLE_1)
	s_and_b32 s2, s2, s3
.LBB458_2:
	s_delay_alu instid0(SALU_CYCLE_1)
	s_and_not1_b32 vcc_lo, exec_lo, s2
	s_cbranch_vccnz .LBB458_35
; %bb.3:
	s_load_b32 s30, s[0:1], 0x68
	s_bfe_u32 s2, ttmp6, 0x40014
	s_lshr_b32 s3, ttmp7, 16
	s_add_co_i32 s2, s2, 1
	s_bfe_u32 s5, ttmp6, 0x40008
	s_mul_i32 s4, s3, s2
	s_getreg_b32 s2, hwreg(HW_REG_IB_STS2, 6, 4)
	s_add_co_i32 s5, s5, s4
	s_cmp_eq_u32 s2, 0
	s_mov_b32 s7, 0
	s_cselect_b32 s6, s3, s5
	s_wait_kmcnt 0x0
	s_cmp_ge_u32 s6, s30
	s_cbranch_scc1 .LBB458_35
; %bb.4:
	s_clause 0x4
	s_load_b32 s3, s[0:1], 0x0
	s_load_b256 s[8:15], s[0:1], 0x18
	s_load_b64 s[28:29], s[0:1], 0x60
	s_load_b128 s[16:19], s[0:1], 0x38
	s_load_b128 s[20:23], s[0:1], 0x50
	s_wait_xcnt 0x0
	s_bfe_u32 s0, ttmp6, 0x4000c
	s_bfe_u32 s4, ttmp6, 0x40010
	s_add_co_i32 s0, s0, 1
	s_and_b32 s5, ttmp7, 0xffff
	s_add_co_i32 s4, s4, 1
	v_and_b32_e32 v15, 0x3ff, v0
	v_bfe_u32 v20, v0, 10, 10
	s_and_b32 s1, ttmp6, 15
	s_mul_i32 s0, ttmp9, s0
	s_mul_i32 s4, s5, s4
	s_bfe_u32 s31, ttmp6, 0x40004
	s_add_co_i32 s1, s1, s0
	s_add_co_i32 s31, s31, s4
	s_cmp_eq_u32 s2, 0
	v_lshl_add_u32 v1, v20, 4, v15
	s_cselect_b32 s0, s5, s31
	s_cselect_b32 s1, ttmp9, s1
	s_lshl_b32 s0, s0, 5
	s_delay_alu instid0(VALU_DEP_1) | instskip(SKIP_3) | instid1(VALU_DEP_2)
	v_dual_lshrrev_b32 v2, 5, v1 :: v_dual_bitop2_b32 v0, 7, v0 bitop3:0x40
	v_dual_lshrrev_b32 v1, 3, v1 :: v_dual_bitop2_b32 v3, 31, v1 bitop3:0x40
	s_lshl_b32 s2, s1, 5
	v_add_nc_u32_e32 v16, s0, v20
	v_dual_lshlrev_b32 v5, 2, v0 :: v_dual_bitop2_b32 v12, s2, v3 bitop3:0x54
	s_delay_alu instid0(VALU_DEP_3) | instskip(NEXT) | instid1(VALU_DEP_3)
	v_dual_add_nc_u32 v4, s0, v1 :: v_dual_lshlrev_b32 v3, 2, v3
	v_dual_ashrrev_i32 v17, 31, v16 :: v_dual_add_nc_u32 v18, 16, v16
	s_delay_alu instid0(VALU_DEP_3)
	v_ashrrev_i32_e32 v13, 31, v12
	s_wait_kmcnt 0x0
	v_cmp_gt_i32_e64 s0, s3, v12
	s_cmp_neq_f32 s26, 0
	v_mul_u64_e32 v[8:9], s[22:23], v[16:17]
	v_ashrrev_i32_e32 v19, 31, v18
	v_mul_u64_e32 v[6:7], s[10:11], v[12:13]
	v_add_nc_u32_e32 v12, s2, v15
	v_cmp_gt_i32_e32 vcc_lo, s3, v16
	s_cselect_b32 s35, -1, 0
	v_mul_u64_e32 v[10:11], s[22:23], v[18:19]
	s_cmp_neq_f32 s27, 0
	v_cmp_le_i32_e64 s2, v12, v16
	v_dual_add_nc_u32 v14, 16, v12 :: v_dual_ashrrev_i32 v13, 31, v12
	v_lshl_or_b32 v5, v1, 5, v5
	v_cmp_gt_i64_e64 s36, s[24:25], 0
	v_cmp_gt_i32_e64 s1, s3, v4
	s_cselect_b32 s22, -1, 0
	s_and_b32 s23, vcc_lo, s2
	v_cmp_le_i32_e64 s2, v14, v16
	v_cmp_gt_i32_e64 s3, s3, v18
	v_cmp_le_i32_e64 s4, v12, v18
	v_cmp_le_i32_e64 s5, v14, v18
	v_lshl_or_b32 v1, v2, 7, v3
	v_add_nc_u32_e32 v3, 0x400, v5
	v_dual_ashrrev_i32 v5, 31, v4 :: v_dual_lshlrev_b32 v28, 2, v15
	v_lshl_add_u32 v29, v20, 5, 0x400
	v_dual_ashrrev_i32 v15, 31, v14 :: v_dual_mov_b32 v17, 0
	s_and_b32 s31, vcc_lo, s2
	s_and_b32 s33, s3, s4
	s_and_b32 s34, s3, s5
	;; [unrolled: 1-line block ×3, first 2 shown]
	s_lshl_b64 s[2:3], s[18:19], 2
	s_lshl_b64 s[4:5], s[12:13], 2
	;; [unrolled: 1-line block ×3, first 2 shown]
	s_branch .LBB458_6
.LBB458_5:                              ;   in Loop: Header=BB458_6 Depth=1
	s_wait_xcnt 0x0
	s_or_b32 exec_lo, exec_lo, s12
	s_add_co_i32 s6, s6, 0x10000
	s_delay_alu instid0(SALU_CYCLE_1)
	s_cmp_lt_u32 s6, s30
	s_cbranch_scc0 .LBB458_35
.LBB458_6:                              ; =>This Loop Header: Depth=1
                                        ;     Child Loop BB458_9 Depth 2
	v_dual_mov_b32 v16, s6 :: v_dual_mov_b32 v23, v17
	v_dual_mov_b32 v22, v17 :: v_dual_mov_b32 v19, v17
	v_mov_b32_e32 v18, v17
	global_load_b64 v[20:21], v16, s[20:21] scale_offset
	s_and_not1_b32 vcc_lo, exec_lo, s35
	s_cbranch_vccnz .LBB458_15
; %bb.7:                                ;   in Loop: Header=BB458_6 Depth=1
	s_lshl_b64 s[12:13], s[6:7], 3
	v_mov_b32_e32 v18, 0
	s_add_nc_u64 s[18:19], s[8:9], s[12:13]
	s_add_nc_u64 s[12:13], s[14:15], s[12:13]
	s_clause 0x1
	global_load_b64 v[22:23], v17, s[18:19]
	global_load_b64 v[24:25], v17, s[12:13]
	s_wait_xcnt 0x0
	s_mov_b64 s[12:13], 0
	v_mov_b32_e32 v19, v18
	s_wait_loadcnt 0x1
	v_add_nc_u64_e32 v[26:27], s[4:5], v[22:23]
	s_wait_loadcnt 0x0
	v_add_nc_u64_e32 v[30:31], s[2:3], v[24:25]
	v_dual_mov_b32 v22, v18 :: v_dual_mov_b32 v23, v18
	s_delay_alu instid0(VALU_DEP_3) | instskip(NEXT) | instid1(VALU_DEP_3)
	v_lshl_add_u64 v[24:25], v[6:7], 2, v[26:27]
	v_lshl_add_u64 v[26:27], v[4:5], 2, v[30:31]
	s_branch .LBB458_9
.LBB458_8:                              ;   in Loop: Header=BB458_9 Depth=2
	s_wait_xcnt 0x0
	s_or_b32 exec_lo, exec_lo, s18
	s_wait_loadcnt_dscnt 0x0
	ds_store_b32 v3, v31
	s_wait_dscnt 0x0
	s_barrier_signal -1
	s_barrier_wait -1
	ds_load_b128 v[30:33], v29
	ds_load_2addr_b32 v[46:47], v28 offset1:16
	ds_load_b128 v[34:37], v29 offset:512
	ds_load_2addr_b32 v[48:49], v28 offset0:32 offset1:48
	ds_load_2addr_b32 v[50:51], v28 offset0:64 offset1:80
	;; [unrolled: 1-line block ×3, first 2 shown]
	ds_load_b128 v[38:41], v29 offset:16
	ds_load_2addr_b32 v[54:55], v28 offset0:128 offset1:144
	ds_load_b128 v[42:45], v29 offset:528
	s_add_nc_u64 s[12:13], s[12:13], 8
	s_delay_alu instid0(SALU_CYCLE_1)
	v_cmp_gt_i64_e64 s18, s[24:25], s[12:13]
	s_and_b32 vcc_lo, exec_lo, s18
	s_wait_dscnt 0x8
	v_mov_b32_e32 v16, v33
	s_wait_dscnt 0x7
	v_pk_fma_f32 v[22:23], v[46:47], v[30:31], v[22:23] op_sel_hi:[1,0,1]
	s_wait_dscnt 0x6
	v_pk_fma_f32 v[18:19], v[46:47], v[34:35], v[18:19] op_sel_hi:[1,0,1]
	ds_load_2addr_b32 v[46:47], v28 offset0:160 offset1:176
	s_wait_dscnt 0x6
	v_pk_fma_f32 v[22:23], v[48:49], v[30:31], v[22:23] op_sel:[0,1,0]
	v_pk_fma_f32 v[18:19], v[48:49], v[34:35], v[18:19] op_sel:[0,1,0]
	ds_load_2addr_b32 v[30:31], v28 offset0:192 offset1:208
	v_mov_b32_e32 v34, v37
	s_wait_dscnt 0x6
	v_pk_fma_f32 v[22:23], v[50:51], v[32:33], v[22:23] op_sel_hi:[1,0,1]
	v_pk_fma_f32 v[18:19], v[50:51], v[36:37], v[18:19] op_sel_hi:[1,0,1]
	ds_load_2addr_b32 v[32:33], v28 offset0:224 offset1:240
	s_wait_dscnt 0x0
	s_barrier_signal -1
	v_pk_fma_f32 v[22:23], v[52:53], v[16:17], v[22:23] op_sel_hi:[1,0,1]
	v_pk_fma_f32 v[18:19], v[52:53], v[34:35], v[18:19] op_sel_hi:[1,0,1]
	v_dual_mov_b32 v16, v41 :: v_dual_mov_b32 v34, v45
	s_barrier_wait -1
	s_delay_alu instid0(VALU_DEP_3) | instskip(NEXT) | instid1(VALU_DEP_3)
	v_pk_fma_f32 v[22:23], v[54:55], v[38:39], v[22:23] op_sel_hi:[1,0,1]
	v_pk_fma_f32 v[18:19], v[54:55], v[42:43], v[18:19] op_sel_hi:[1,0,1]
	s_delay_alu instid0(VALU_DEP_2) | instskip(NEXT) | instid1(VALU_DEP_2)
	v_pk_fma_f32 v[22:23], v[46:47], v[38:39], v[22:23] op_sel:[0,1,0]
	v_pk_fma_f32 v[18:19], v[46:47], v[42:43], v[18:19] op_sel:[0,1,0]
	s_delay_alu instid0(VALU_DEP_2) | instskip(NEXT) | instid1(VALU_DEP_2)
	v_pk_fma_f32 v[22:23], v[30:31], v[40:41], v[22:23] op_sel_hi:[1,0,1]
	v_pk_fma_f32 v[18:19], v[30:31], v[44:45], v[18:19] op_sel_hi:[1,0,1]
	s_delay_alu instid0(VALU_DEP_2) | instskip(NEXT) | instid1(VALU_DEP_2)
	v_pk_fma_f32 v[22:23], v[32:33], v[16:17], v[22:23] op_sel_hi:[1,0,1]
	v_pk_fma_f32 v[18:19], v[32:33], v[34:35], v[18:19] op_sel_hi:[1,0,1]
	s_cbranch_vccz .LBB458_15
.LBB458_9:                              ;   Parent Loop BB458_6 Depth=1
                                        ; =>  This Inner Loop Header: Depth=2
	v_mov_b32_e32 v30, 0
	s_and_saveexec_b32 s18, s0
	s_cbranch_execz .LBB458_13
; %bb.10:                               ;   in Loop: Header=BB458_9 Depth=2
	v_dual_add_nc_u32 v16, s12, v2 :: v_dual_mov_b32 v30, 0
	s_mov_b32 s19, exec_lo
	s_delay_alu instid0(VALU_DEP_1)
	v_cmpx_gt_u64_e64 s[24:25], v[16:17]
	s_cbranch_execz .LBB458_12
; %bb.11:                               ;   in Loop: Header=BB458_9 Depth=2
	v_lshl_add_u64 v[30:31], v[16:17], 2, v[24:25]
	flat_load_b32 v30, v[30:31]
.LBB458_12:                             ;   in Loop: Header=BB458_9 Depth=2
	s_wait_xcnt 0x0
	s_or_b32 exec_lo, exec_lo, s19
.LBB458_13:                             ;   in Loop: Header=BB458_9 Depth=2
	s_delay_alu instid0(SALU_CYCLE_1)
	s_or_b32 exec_lo, exec_lo, s18
	v_dual_mov_b32 v31, 0 :: v_dual_add_nc_u32 v16, s12, v0
	s_wait_loadcnt_dscnt 0x0
	ds_store_b32 v1, v30
	v_cmp_gt_u64_e32 vcc_lo, s[24:25], v[16:17]
	s_and_b32 s19, vcc_lo, s1
	s_delay_alu instid0(SALU_CYCLE_1)
	s_and_saveexec_b32 s18, s19
	s_cbranch_execz .LBB458_8
; %bb.14:                               ;   in Loop: Header=BB458_9 Depth=2
	v_mul_u64_e32 v[30:31], s[16:17], v[16:17]
	s_delay_alu instid0(VALU_DEP_1)
	v_lshl_add_u64 v[30:31], v[30:31], 2, v[26:27]
	flat_load_b32 v31, v[30:31]
	s_branch .LBB458_8
.LBB458_15:                             ;   in Loop: Header=BB458_6 Depth=1
	s_wait_loadcnt 0x0
	v_add_nc_u64_e32 v[20:21], s[10:11], v[20:21]
	s_delay_alu instid0(VALU_DEP_1)
	v_lshl_add_u64 v[24:25], v[8:9], 2, v[20:21]
	s_wait_xcnt 0x0
	s_and_saveexec_b32 s12, s23
	s_cbranch_execz .LBB458_19
; %bb.16:                               ;   in Loop: Header=BB458_6 Depth=1
	v_mul_f32_e32 v16, s26, v22
	v_lshl_add_u64 v[26:27], v[12:13], 2, v[24:25]
	s_and_b32 vcc_lo, exec_lo, s22
	s_cbranch_vccz .LBB458_30
; %bb.17:                               ;   in Loop: Header=BB458_6 Depth=1
	flat_load_b32 v22, v[26:27]
	s_wait_loadcnt_dscnt 0x0
	v_fma_f32 v22, s27, v22, v16
	flat_store_b32 v[26:27], v22
	s_cbranch_execnz .LBB458_19
.LBB458_18:                             ;   in Loop: Header=BB458_6 Depth=1
	flat_store_b32 v[26:27], v16
.LBB458_19:                             ;   in Loop: Header=BB458_6 Depth=1
	s_wait_xcnt 0x0
	s_or_b32 exec_lo, exec_lo, s12
	s_and_saveexec_b32 s12, s31
	s_cbranch_execz .LBB458_23
; %bb.20:                               ;   in Loop: Header=BB458_6 Depth=1
	v_mul_f32_e32 v16, s26, v23
	v_lshl_add_u64 v[22:23], v[14:15], 2, v[24:25]
	s_and_not1_b32 vcc_lo, exec_lo, s22
	s_cbranch_vccnz .LBB458_31
; %bb.21:                               ;   in Loop: Header=BB458_6 Depth=1
	flat_load_b32 v24, v[22:23]
	s_wait_loadcnt_dscnt 0x0
	v_fma_f32 v24, s27, v24, v16
	flat_store_b32 v[22:23], v24
	s_cbranch_execnz .LBB458_23
.LBB458_22:                             ;   in Loop: Header=BB458_6 Depth=1
	flat_store_b32 v[22:23], v16
.LBB458_23:                             ;   in Loop: Header=BB458_6 Depth=1
	s_wait_xcnt 0x0
	s_or_b32 exec_lo, exec_lo, s12
	v_lshl_add_u64 v[20:21], v[10:11], 2, v[20:21]
	s_and_saveexec_b32 s12, s33
	s_cbranch_execz .LBB458_27
; %bb.24:                               ;   in Loop: Header=BB458_6 Depth=1
	v_mul_f32_e32 v16, s26, v18
	s_delay_alu instid0(VALU_DEP_2)
	v_lshl_add_u64 v[22:23], v[12:13], 2, v[20:21]
	s_and_not1_b32 vcc_lo, exec_lo, s22
	s_cbranch_vccnz .LBB458_32
; %bb.25:                               ;   in Loop: Header=BB458_6 Depth=1
	flat_load_b32 v18, v[22:23]
	s_wait_loadcnt_dscnt 0x0
	v_fma_f32 v18, s27, v18, v16
	flat_store_b32 v[22:23], v18
	s_cbranch_execnz .LBB458_27
.LBB458_26:                             ;   in Loop: Header=BB458_6 Depth=1
	flat_store_b32 v[22:23], v16
.LBB458_27:                             ;   in Loop: Header=BB458_6 Depth=1
	s_wait_xcnt 0x0
	s_or_b32 exec_lo, exec_lo, s12
	s_and_saveexec_b32 s12, s34
	s_cbranch_execz .LBB458_5
; %bb.28:                               ;   in Loop: Header=BB458_6 Depth=1
	v_mul_f32_e32 v16, s26, v19
	v_lshl_add_u64 v[18:19], v[14:15], 2, v[20:21]
	s_and_not1_b32 vcc_lo, exec_lo, s22
	s_cbranch_vccnz .LBB458_33
; %bb.29:                               ;   in Loop: Header=BB458_6 Depth=1
	flat_load_b32 v20, v[18:19]
	s_wait_loadcnt_dscnt 0x0
	v_fma_f32 v20, s27, v20, v16
	flat_store_b32 v[18:19], v20
	s_cbranch_execnz .LBB458_5
	s_branch .LBB458_34
.LBB458_30:                             ;   in Loop: Header=BB458_6 Depth=1
	s_branch .LBB458_18
.LBB458_31:                             ;   in Loop: Header=BB458_6 Depth=1
	s_branch .LBB458_22
.LBB458_32:                             ;   in Loop: Header=BB458_6 Depth=1
	s_branch .LBB458_26
.LBB458_33:                             ;   in Loop: Header=BB458_6 Depth=1
.LBB458_34:                             ;   in Loop: Header=BB458_6 Depth=1
	flat_store_b32 v[18:19], v16
	s_branch .LBB458_5
.LBB458_35:
	s_endpgm
	.section	.rodata,"a",@progbits
	.p2align	6, 0x0
	.amdhsa_kernel _ZL29rocblas_internal_gemmt_kernelIlLi16ELi32ELi8ELc67ELc67ELc85ELb0ELb0EffPKPKfPKPfEviT_T9_T10_S7_lS9_S7_lS8_T11_S7_li
		.amdhsa_group_segment_fixed_size 2048
		.amdhsa_private_segment_fixed_size 0
		.amdhsa_kernarg_size 108
		.amdhsa_user_sgpr_count 2
		.amdhsa_user_sgpr_dispatch_ptr 0
		.amdhsa_user_sgpr_queue_ptr 0
		.amdhsa_user_sgpr_kernarg_segment_ptr 1
		.amdhsa_user_sgpr_dispatch_id 0
		.amdhsa_user_sgpr_kernarg_preload_length 0
		.amdhsa_user_sgpr_kernarg_preload_offset 0
		.amdhsa_user_sgpr_private_segment_size 0
		.amdhsa_wavefront_size32 1
		.amdhsa_uses_dynamic_stack 0
		.amdhsa_enable_private_segment 0
		.amdhsa_system_sgpr_workgroup_id_x 1
		.amdhsa_system_sgpr_workgroup_id_y 1
		.amdhsa_system_sgpr_workgroup_id_z 1
		.amdhsa_system_sgpr_workgroup_info 0
		.amdhsa_system_vgpr_workitem_id 1
		.amdhsa_next_free_vgpr 56
		.amdhsa_next_free_sgpr 37
		.amdhsa_named_barrier_count 0
		.amdhsa_reserve_vcc 1
		.amdhsa_float_round_mode_32 0
		.amdhsa_float_round_mode_16_64 0
		.amdhsa_float_denorm_mode_32 3
		.amdhsa_float_denorm_mode_16_64 3
		.amdhsa_fp16_overflow 0
		.amdhsa_memory_ordered 1
		.amdhsa_forward_progress 1
		.amdhsa_inst_pref_size 14
		.amdhsa_round_robin_scheduling 0
		.amdhsa_exception_fp_ieee_invalid_op 0
		.amdhsa_exception_fp_denorm_src 0
		.amdhsa_exception_fp_ieee_div_zero 0
		.amdhsa_exception_fp_ieee_overflow 0
		.amdhsa_exception_fp_ieee_underflow 0
		.amdhsa_exception_fp_ieee_inexact 0
		.amdhsa_exception_int_div_zero 0
	.end_amdhsa_kernel
	.section	.text._ZL29rocblas_internal_gemmt_kernelIlLi16ELi32ELi8ELc67ELc67ELc85ELb0ELb0EffPKPKfPKPfEviT_T9_T10_S7_lS9_S7_lS8_T11_S7_li,"axG",@progbits,_ZL29rocblas_internal_gemmt_kernelIlLi16ELi32ELi8ELc67ELc67ELc85ELb0ELb0EffPKPKfPKPfEviT_T9_T10_S7_lS9_S7_lS8_T11_S7_li,comdat
.Lfunc_end458:
	.size	_ZL29rocblas_internal_gemmt_kernelIlLi16ELi32ELi8ELc67ELc67ELc85ELb0ELb0EffPKPKfPKPfEviT_T9_T10_S7_lS9_S7_lS8_T11_S7_li, .Lfunc_end458-_ZL29rocblas_internal_gemmt_kernelIlLi16ELi32ELi8ELc67ELc67ELc85ELb0ELb0EffPKPKfPKPfEviT_T9_T10_S7_lS9_S7_lS8_T11_S7_li
                                        ; -- End function
	.set _ZL29rocblas_internal_gemmt_kernelIlLi16ELi32ELi8ELc67ELc67ELc85ELb0ELb0EffPKPKfPKPfEviT_T9_T10_S7_lS9_S7_lS8_T11_S7_li.num_vgpr, 56
	.set _ZL29rocblas_internal_gemmt_kernelIlLi16ELi32ELi8ELc67ELc67ELc85ELb0ELb0EffPKPKfPKPfEviT_T9_T10_S7_lS9_S7_lS8_T11_S7_li.num_agpr, 0
	.set _ZL29rocblas_internal_gemmt_kernelIlLi16ELi32ELi8ELc67ELc67ELc85ELb0ELb0EffPKPKfPKPfEviT_T9_T10_S7_lS9_S7_lS8_T11_S7_li.numbered_sgpr, 37
	.set _ZL29rocblas_internal_gemmt_kernelIlLi16ELi32ELi8ELc67ELc67ELc85ELb0ELb0EffPKPKfPKPfEviT_T9_T10_S7_lS9_S7_lS8_T11_S7_li.num_named_barrier, 0
	.set _ZL29rocblas_internal_gemmt_kernelIlLi16ELi32ELi8ELc67ELc67ELc85ELb0ELb0EffPKPKfPKPfEviT_T9_T10_S7_lS9_S7_lS8_T11_S7_li.private_seg_size, 0
	.set _ZL29rocblas_internal_gemmt_kernelIlLi16ELi32ELi8ELc67ELc67ELc85ELb0ELb0EffPKPKfPKPfEviT_T9_T10_S7_lS9_S7_lS8_T11_S7_li.uses_vcc, 1
	.set _ZL29rocblas_internal_gemmt_kernelIlLi16ELi32ELi8ELc67ELc67ELc85ELb0ELb0EffPKPKfPKPfEviT_T9_T10_S7_lS9_S7_lS8_T11_S7_li.uses_flat_scratch, 0
	.set _ZL29rocblas_internal_gemmt_kernelIlLi16ELi32ELi8ELc67ELc67ELc85ELb0ELb0EffPKPKfPKPfEviT_T9_T10_S7_lS9_S7_lS8_T11_S7_li.has_dyn_sized_stack, 0
	.set _ZL29rocblas_internal_gemmt_kernelIlLi16ELi32ELi8ELc67ELc67ELc85ELb0ELb0EffPKPKfPKPfEviT_T9_T10_S7_lS9_S7_lS8_T11_S7_li.has_recursion, 0
	.set _ZL29rocblas_internal_gemmt_kernelIlLi16ELi32ELi8ELc67ELc67ELc85ELb0ELb0EffPKPKfPKPfEviT_T9_T10_S7_lS9_S7_lS8_T11_S7_li.has_indirect_call, 0
	.section	.AMDGPU.csdata,"",@progbits
; Kernel info:
; codeLenInByte = 1672
; TotalNumSgprs: 39
; NumVgprs: 56
; ScratchSize: 0
; MemoryBound: 0
; FloatMode: 240
; IeeeMode: 1
; LDSByteSize: 2048 bytes/workgroup (compile time only)
; SGPRBlocks: 0
; VGPRBlocks: 3
; NumSGPRsForWavesPerEU: 39
; NumVGPRsForWavesPerEU: 56
; NamedBarCnt: 0
; Occupancy: 16
; WaveLimiterHint : 1
; COMPUTE_PGM_RSRC2:SCRATCH_EN: 0
; COMPUTE_PGM_RSRC2:USER_SGPR: 2
; COMPUTE_PGM_RSRC2:TRAP_HANDLER: 0
; COMPUTE_PGM_RSRC2:TGID_X_EN: 1
; COMPUTE_PGM_RSRC2:TGID_Y_EN: 1
; COMPUTE_PGM_RSRC2:TGID_Z_EN: 1
; COMPUTE_PGM_RSRC2:TIDIG_COMP_CNT: 1
	.section	.text._ZL29rocblas_internal_gemmt_kernelIlLi16ELi32ELi8ELc78ELc78ELc76ELb0ELb0EffPKPKfPKPfEviT_T9_T10_S7_lS9_S7_lS8_T11_S7_li,"axG",@progbits,_ZL29rocblas_internal_gemmt_kernelIlLi16ELi32ELi8ELc78ELc78ELc76ELb0ELb0EffPKPKfPKPfEviT_T9_T10_S7_lS9_S7_lS8_T11_S7_li,comdat
	.globl	_ZL29rocblas_internal_gemmt_kernelIlLi16ELi32ELi8ELc78ELc78ELc76ELb0ELb0EffPKPKfPKPfEviT_T9_T10_S7_lS9_S7_lS8_T11_S7_li ; -- Begin function _ZL29rocblas_internal_gemmt_kernelIlLi16ELi32ELi8ELc78ELc78ELc76ELb0ELb0EffPKPKfPKPfEviT_T9_T10_S7_lS9_S7_lS8_T11_S7_li
	.p2align	8
	.type	_ZL29rocblas_internal_gemmt_kernelIlLi16ELi32ELi8ELc78ELc78ELc76ELb0ELb0EffPKPKfPKPfEviT_T9_T10_S7_lS9_S7_lS8_T11_S7_li,@function
_ZL29rocblas_internal_gemmt_kernelIlLi16ELi32ELi8ELc78ELc78ELc76ELb0ELb0EffPKPKfPKPfEviT_T9_T10_S7_lS9_S7_lS8_T11_S7_li: ; @_ZL29rocblas_internal_gemmt_kernelIlLi16ELi32ELi8ELc78ELc78ELc76ELb0ELb0EffPKPKfPKPfEviT_T9_T10_S7_lS9_S7_lS8_T11_S7_li
; %bb.0:
	s_clause 0x1
	s_load_b32 s23, s[0:1], 0x48
	s_load_b96 s[20:22], s[0:1], 0x8
	s_wait_kmcnt 0x0
	s_cmp_neq_f32 s23, 1.0
	s_cselect_b32 s2, -1, 0
	s_delay_alu instid0(SALU_CYCLE_1)
	s_and_b32 vcc_lo, exec_lo, s2
	s_cbranch_vccnz .LBB459_2
; %bb.1:
	s_cmp_lg_u64 s[20:21], 0
	s_cselect_b32 s2, -1, 0
	s_cmp_neq_f32 s22, 0
	s_cselect_b32 s3, -1, 0
	s_delay_alu instid0(SALU_CYCLE_1)
	s_and_b32 s2, s2, s3
.LBB459_2:
	s_delay_alu instid0(SALU_CYCLE_1)
	s_and_not1_b32 vcc_lo, exec_lo, s2
	s_cbranch_vccnz .LBB459_35
; %bb.3:
	s_load_b32 s28, s[0:1], 0x68
	s_bfe_u32 s2, ttmp6, 0x40014
	s_lshr_b32 s3, ttmp7, 16
	s_add_co_i32 s2, s2, 1
	s_bfe_u32 s5, ttmp6, 0x40008
	s_mul_i32 s4, s3, s2
	s_getreg_b32 s2, hwreg(HW_REG_IB_STS2, 6, 4)
	s_add_co_i32 s5, s5, s4
	s_cmp_eq_u32 s2, 0
	s_mov_b32 s25, 0
	s_cselect_b32 s24, s3, s5
	s_wait_kmcnt 0x0
	s_cmp_ge_u32 s24, s28
	s_cbranch_scc1 .LBB459_35
; %bb.4:
	s_clause 0x4
	s_load_b32 s29, s[0:1], 0x0
	s_load_b256 s[8:15], s[0:1], 0x18
	s_load_b64 s[26:27], s[0:1], 0x60
	s_load_b128 s[4:7], s[0:1], 0x38
	s_load_b128 s[16:19], s[0:1], 0x50
	s_wait_xcnt 0x0
	s_bfe_u32 s0, ttmp6, 0x4000c
	s_bfe_u32 s3, ttmp6, 0x40010
	s_add_co_i32 s0, s0, 1
	s_and_b32 s30, ttmp7, 0xffff
	s_add_co_i32 s3, s3, 1
	v_and_b32_e32 v13, 0x3ff, v0
	v_bfe_u32 v20, v0, 10, 10
	s_and_b32 s1, ttmp6, 15
	s_mul_i32 s0, ttmp9, s0
	s_mul_i32 s3, s30, s3
	s_bfe_u32 s31, ttmp6, 0x40004
	s_add_co_i32 s1, s1, s0
	s_add_co_i32 s31, s31, s3
	s_cmp_eq_u32 s2, 0
	v_lshl_add_u32 v1, v20, 4, v13
	s_cselect_b32 s0, s30, s31
	s_cselect_b32 s1, ttmp9, s1
	s_lshl_b32 s0, s0, 5
	s_delay_alu instid0(VALU_DEP_1)
	v_dual_lshrrev_b32 v2, 5, v1 :: v_dual_bitop2_b32 v0, 7, v0 bitop3:0x40
	v_dual_lshrrev_b32 v3, 3, v1 :: v_dual_bitop2_b32 v1, 31, v1 bitop3:0x40
	v_add_nc_u32_e32 v16, s0, v20
	s_lshl_b32 s1, s1, 5
	s_delay_alu instid0(VALU_DEP_3) | instid1(SALU_CYCLE_1)
	v_dual_lshlrev_b32 v5, 2, v0 :: v_dual_add_nc_u32 v12, s1, v13
	s_delay_alu instid0(VALU_DEP_3) | instskip(NEXT) | instid1(VALU_DEP_3)
	v_dual_add_nc_u32 v14, s0, v3 :: v_dual_bitop2_b32 v4, s1, v1 bitop3:0x54
	v_dual_add_nc_u32 v18, 16, v16 :: v_dual_ashrrev_i32 v17, 31, v16
	s_delay_alu instid0(VALU_DEP_2) | instskip(SKIP_1) | instid1(VALU_DEP_2)
	v_dual_lshlrev_b32 v1, 2, v1 :: v_dual_ashrrev_i32 v15, 31, v14
	s_cmp_neq_f32 s22, 0
	v_ashrrev_i32_e32 v19, 31, v18
	s_wait_kmcnt 0x0
	v_mul_u64_e32 v[8:9], s[18:19], v[16:17]
	v_cmp_gt_i32_e64 s1, s29, v14
	v_mul_u64_e32 v[6:7], s[4:5], v[14:15]
	v_add_nc_u32_e32 v14, 16, v12
	v_mul_u64_e32 v[10:11], s[18:19], v[18:19]
	v_cmp_le_i32_e32 vcc_lo, v16, v12
	v_cmp_gt_i32_e64 s2, s29, v12
	s_cselect_b32 s33, -1, 0
	s_cmp_neq_f32 s23, 0
	v_lshl_or_b32 v3, v3, 5, v5
	v_cmp_gt_i64_e64 s34, s[20:21], 0
	v_dual_ashrrev_i32 v5, 31, v4 :: v_dual_lshlrev_b32 v28, 2, v13
	s_cselect_b32 s18, -1, 0
	s_and_b32 s19, vcc_lo, s2
	v_cmp_le_i32_e32 vcc_lo, v18, v12
	v_ashrrev_i32_e32 v13, 31, v12
	v_cmp_le_i32_e64 s3, v16, v14
	v_cmp_gt_i32_e64 s4, s29, v14
	v_cmp_le_i32_e64 s5, v18, v14
	v_cmp_gt_i32_e64 s0, s29, v4
	v_lshl_or_b32 v1, v2, 7, v1
	v_add_nc_u32_e32 v3, 0x400, v3
	v_lshl_add_u32 v29, v20, 5, 0x400
	v_dual_ashrrev_i32 v15, 31, v14 :: v_dual_mov_b32 v17, 0
	s_and_b32 s29, s3, s4
	s_and_b32 s30, vcc_lo, s2
	s_and_b32 s31, s5, s4
	s_and_b32 s33, s33, s34
	s_lshl_b64 s[2:3], s[6:7], 2
	s_lshl_b64 s[4:5], s[12:13], 2
	;; [unrolled: 1-line block ×3, first 2 shown]
	s_branch .LBB459_6
.LBB459_5:                              ;   in Loop: Header=BB459_6 Depth=1
	s_wait_xcnt 0x0
	s_or_b32 exec_lo, exec_lo, s12
	s_add_co_i32 s24, s24, 0x10000
	s_delay_alu instid0(SALU_CYCLE_1)
	s_cmp_lt_u32 s24, s28
	s_cbranch_scc0 .LBB459_35
.LBB459_6:                              ; =>This Loop Header: Depth=1
                                        ;     Child Loop BB459_9 Depth 2
	v_dual_mov_b32 v16, s24 :: v_dual_mov_b32 v23, v17
	v_dual_mov_b32 v22, v17 :: v_dual_mov_b32 v19, v17
	v_mov_b32_e32 v18, v17
	global_load_b64 v[20:21], v16, s[16:17] scale_offset
	s_and_not1_b32 vcc_lo, exec_lo, s33
	s_cbranch_vccnz .LBB459_15
; %bb.7:                                ;   in Loop: Header=BB459_6 Depth=1
	s_lshl_b64 s[12:13], s[24:25], 3
	v_mov_b32_e32 v18, 0
	s_add_nc_u64 s[26:27], s[8:9], s[12:13]
	s_add_nc_u64 s[12:13], s[14:15], s[12:13]
	s_clause 0x1
	global_load_b64 v[22:23], v17, s[26:27]
	global_load_b64 v[24:25], v17, s[12:13]
	s_wait_xcnt 0x0
	s_mov_b64 s[12:13], 0
	v_mov_b32_e32 v19, v18
	s_wait_loadcnt 0x1
	v_add_nc_u64_e32 v[26:27], s[4:5], v[22:23]
	s_wait_loadcnt 0x0
	v_add_nc_u64_e32 v[30:31], s[2:3], v[24:25]
	v_dual_mov_b32 v22, v18 :: v_dual_mov_b32 v23, v18
	s_delay_alu instid0(VALU_DEP_3) | instskip(NEXT) | instid1(VALU_DEP_3)
	v_lshl_add_u64 v[24:25], v[4:5], 2, v[26:27]
	v_lshl_add_u64 v[26:27], v[6:7], 2, v[30:31]
	s_branch .LBB459_9
.LBB459_8:                              ;   in Loop: Header=BB459_9 Depth=2
	s_wait_xcnt 0x0
	s_or_b32 exec_lo, exec_lo, s26
	s_wait_loadcnt_dscnt 0x0
	ds_store_b32 v3, v31
	s_wait_dscnt 0x0
	s_barrier_signal -1
	s_barrier_wait -1
	ds_load_b128 v[30:33], v29
	ds_load_2addr_b32 v[46:47], v28 offset1:16
	ds_load_b128 v[34:37], v29 offset:512
	ds_load_2addr_b32 v[48:49], v28 offset0:32 offset1:48
	ds_load_2addr_b32 v[50:51], v28 offset0:64 offset1:80
	;; [unrolled: 1-line block ×3, first 2 shown]
	ds_load_b128 v[38:41], v29 offset:16
	ds_load_2addr_b32 v[54:55], v28 offset0:128 offset1:144
	ds_load_b128 v[42:45], v29 offset:528
	s_add_nc_u64 s[12:13], s[12:13], 8
	s_delay_alu instid0(SALU_CYCLE_1)
	v_cmp_gt_i64_e64 s26, s[20:21], s[12:13]
	s_and_b32 vcc_lo, exec_lo, s26
	s_wait_dscnt 0x8
	v_mov_b32_e32 v16, v33
	s_wait_dscnt 0x7
	v_pk_fma_f32 v[22:23], v[46:47], v[30:31], v[22:23] op_sel_hi:[1,0,1]
	s_wait_dscnt 0x6
	v_pk_fma_f32 v[18:19], v[46:47], v[34:35], v[18:19] op_sel_hi:[1,0,1]
	ds_load_2addr_b32 v[46:47], v28 offset0:160 offset1:176
	s_wait_dscnt 0x6
	v_pk_fma_f32 v[22:23], v[48:49], v[30:31], v[22:23] op_sel:[0,1,0]
	v_pk_fma_f32 v[18:19], v[48:49], v[34:35], v[18:19] op_sel:[0,1,0]
	ds_load_2addr_b32 v[30:31], v28 offset0:192 offset1:208
	v_mov_b32_e32 v34, v37
	s_wait_dscnt 0x6
	v_pk_fma_f32 v[22:23], v[50:51], v[32:33], v[22:23] op_sel_hi:[1,0,1]
	v_pk_fma_f32 v[18:19], v[50:51], v[36:37], v[18:19] op_sel_hi:[1,0,1]
	ds_load_2addr_b32 v[32:33], v28 offset0:224 offset1:240
	s_wait_dscnt 0x0
	s_barrier_signal -1
	v_pk_fma_f32 v[22:23], v[52:53], v[16:17], v[22:23] op_sel_hi:[1,0,1]
	v_pk_fma_f32 v[18:19], v[52:53], v[34:35], v[18:19] op_sel_hi:[1,0,1]
	v_dual_mov_b32 v16, v41 :: v_dual_mov_b32 v34, v45
	s_barrier_wait -1
	s_delay_alu instid0(VALU_DEP_3) | instskip(NEXT) | instid1(VALU_DEP_3)
	v_pk_fma_f32 v[22:23], v[54:55], v[38:39], v[22:23] op_sel_hi:[1,0,1]
	v_pk_fma_f32 v[18:19], v[54:55], v[42:43], v[18:19] op_sel_hi:[1,0,1]
	s_delay_alu instid0(VALU_DEP_2) | instskip(NEXT) | instid1(VALU_DEP_2)
	v_pk_fma_f32 v[22:23], v[46:47], v[38:39], v[22:23] op_sel:[0,1,0]
	v_pk_fma_f32 v[18:19], v[46:47], v[42:43], v[18:19] op_sel:[0,1,0]
	s_delay_alu instid0(VALU_DEP_2) | instskip(NEXT) | instid1(VALU_DEP_2)
	v_pk_fma_f32 v[22:23], v[30:31], v[40:41], v[22:23] op_sel_hi:[1,0,1]
	v_pk_fma_f32 v[18:19], v[30:31], v[44:45], v[18:19] op_sel_hi:[1,0,1]
	s_delay_alu instid0(VALU_DEP_2) | instskip(NEXT) | instid1(VALU_DEP_2)
	v_pk_fma_f32 v[22:23], v[32:33], v[16:17], v[22:23] op_sel_hi:[1,0,1]
	v_pk_fma_f32 v[18:19], v[32:33], v[34:35], v[18:19] op_sel_hi:[1,0,1]
	s_cbranch_vccz .LBB459_15
.LBB459_9:                              ;   Parent Loop BB459_6 Depth=1
                                        ; =>  This Inner Loop Header: Depth=2
	v_mov_b32_e32 v30, 0
	s_and_saveexec_b32 s26, s0
	s_cbranch_execz .LBB459_13
; %bb.10:                               ;   in Loop: Header=BB459_9 Depth=2
	v_dual_add_nc_u32 v16, s12, v2 :: v_dual_mov_b32 v30, 0
	s_mov_b32 s27, exec_lo
	s_delay_alu instid0(VALU_DEP_1)
	v_cmpx_gt_u64_e64 s[20:21], v[16:17]
	s_cbranch_execz .LBB459_12
; %bb.11:                               ;   in Loop: Header=BB459_9 Depth=2
	v_mul_u64_e32 v[30:31], s[10:11], v[16:17]
	s_delay_alu instid0(VALU_DEP_1)
	v_lshl_add_u64 v[30:31], v[30:31], 2, v[24:25]
	flat_load_b32 v30, v[30:31]
.LBB459_12:                             ;   in Loop: Header=BB459_9 Depth=2
	s_wait_xcnt 0x0
	s_or_b32 exec_lo, exec_lo, s27
.LBB459_13:                             ;   in Loop: Header=BB459_9 Depth=2
	s_delay_alu instid0(SALU_CYCLE_1)
	s_or_b32 exec_lo, exec_lo, s26
	v_dual_mov_b32 v31, 0 :: v_dual_add_nc_u32 v16, s12, v0
	s_wait_loadcnt_dscnt 0x0
	ds_store_b32 v1, v30
	v_cmp_gt_u64_e32 vcc_lo, s[20:21], v[16:17]
	s_and_b32 s27, vcc_lo, s1
	s_delay_alu instid0(SALU_CYCLE_1)
	s_and_saveexec_b32 s26, s27
	s_cbranch_execz .LBB459_8
; %bb.14:                               ;   in Loop: Header=BB459_9 Depth=2
	v_lshl_add_u64 v[30:31], v[16:17], 2, v[26:27]
	flat_load_b32 v31, v[30:31]
	s_branch .LBB459_8
.LBB459_15:                             ;   in Loop: Header=BB459_6 Depth=1
	s_wait_loadcnt 0x0
	v_add_nc_u64_e32 v[20:21], s[6:7], v[20:21]
	s_delay_alu instid0(VALU_DEP_1)
	v_lshl_add_u64 v[24:25], v[8:9], 2, v[20:21]
	s_wait_xcnt 0x0
	s_and_saveexec_b32 s12, s19
	s_cbranch_execz .LBB459_19
; %bb.16:                               ;   in Loop: Header=BB459_6 Depth=1
	v_mul_f32_e32 v16, s22, v22
	v_lshl_add_u64 v[26:27], v[12:13], 2, v[24:25]
	s_and_b32 vcc_lo, exec_lo, s18
	s_cbranch_vccz .LBB459_30
; %bb.17:                               ;   in Loop: Header=BB459_6 Depth=1
	flat_load_b32 v22, v[26:27]
	s_wait_loadcnt_dscnt 0x0
	v_fma_f32 v22, s23, v22, v16
	flat_store_b32 v[26:27], v22
	s_cbranch_execnz .LBB459_19
.LBB459_18:                             ;   in Loop: Header=BB459_6 Depth=1
	flat_store_b32 v[26:27], v16
.LBB459_19:                             ;   in Loop: Header=BB459_6 Depth=1
	s_wait_xcnt 0x0
	s_or_b32 exec_lo, exec_lo, s12
	s_and_saveexec_b32 s12, s29
	s_cbranch_execz .LBB459_23
; %bb.20:                               ;   in Loop: Header=BB459_6 Depth=1
	v_mul_f32_e32 v16, s22, v23
	v_lshl_add_u64 v[22:23], v[14:15], 2, v[24:25]
	s_and_not1_b32 vcc_lo, exec_lo, s18
	s_cbranch_vccnz .LBB459_31
; %bb.21:                               ;   in Loop: Header=BB459_6 Depth=1
	flat_load_b32 v24, v[22:23]
	s_wait_loadcnt_dscnt 0x0
	v_fma_f32 v24, s23, v24, v16
	flat_store_b32 v[22:23], v24
	s_cbranch_execnz .LBB459_23
.LBB459_22:                             ;   in Loop: Header=BB459_6 Depth=1
	flat_store_b32 v[22:23], v16
.LBB459_23:                             ;   in Loop: Header=BB459_6 Depth=1
	s_wait_xcnt 0x0
	s_or_b32 exec_lo, exec_lo, s12
	v_lshl_add_u64 v[20:21], v[10:11], 2, v[20:21]
	s_and_saveexec_b32 s12, s30
	s_cbranch_execz .LBB459_27
; %bb.24:                               ;   in Loop: Header=BB459_6 Depth=1
	v_mul_f32_e32 v16, s22, v18
	s_delay_alu instid0(VALU_DEP_2)
	v_lshl_add_u64 v[22:23], v[12:13], 2, v[20:21]
	s_and_not1_b32 vcc_lo, exec_lo, s18
	s_cbranch_vccnz .LBB459_32
; %bb.25:                               ;   in Loop: Header=BB459_6 Depth=1
	flat_load_b32 v18, v[22:23]
	s_wait_loadcnt_dscnt 0x0
	v_fma_f32 v18, s23, v18, v16
	flat_store_b32 v[22:23], v18
	s_cbranch_execnz .LBB459_27
.LBB459_26:                             ;   in Loop: Header=BB459_6 Depth=1
	flat_store_b32 v[22:23], v16
.LBB459_27:                             ;   in Loop: Header=BB459_6 Depth=1
	s_wait_xcnt 0x0
	s_or_b32 exec_lo, exec_lo, s12
	s_and_saveexec_b32 s12, s31
	s_cbranch_execz .LBB459_5
; %bb.28:                               ;   in Loop: Header=BB459_6 Depth=1
	v_mul_f32_e32 v16, s22, v19
	v_lshl_add_u64 v[18:19], v[14:15], 2, v[20:21]
	s_and_not1_b32 vcc_lo, exec_lo, s18
	s_cbranch_vccnz .LBB459_33
; %bb.29:                               ;   in Loop: Header=BB459_6 Depth=1
	flat_load_b32 v20, v[18:19]
	s_wait_loadcnt_dscnt 0x0
	v_fma_f32 v20, s23, v20, v16
	flat_store_b32 v[18:19], v20
	s_cbranch_execnz .LBB459_5
	s_branch .LBB459_34
.LBB459_30:                             ;   in Loop: Header=BB459_6 Depth=1
	s_branch .LBB459_18
.LBB459_31:                             ;   in Loop: Header=BB459_6 Depth=1
	s_branch .LBB459_22
.LBB459_32:                             ;   in Loop: Header=BB459_6 Depth=1
	s_branch .LBB459_26
.LBB459_33:                             ;   in Loop: Header=BB459_6 Depth=1
.LBB459_34:                             ;   in Loop: Header=BB459_6 Depth=1
	flat_store_b32 v[18:19], v16
	s_branch .LBB459_5
.LBB459_35:
	s_endpgm
	.section	.rodata,"a",@progbits
	.p2align	6, 0x0
	.amdhsa_kernel _ZL29rocblas_internal_gemmt_kernelIlLi16ELi32ELi8ELc78ELc78ELc76ELb0ELb0EffPKPKfPKPfEviT_T9_T10_S7_lS9_S7_lS8_T11_S7_li
		.amdhsa_group_segment_fixed_size 2048
		.amdhsa_private_segment_fixed_size 0
		.amdhsa_kernarg_size 108
		.amdhsa_user_sgpr_count 2
		.amdhsa_user_sgpr_dispatch_ptr 0
		.amdhsa_user_sgpr_queue_ptr 0
		.amdhsa_user_sgpr_kernarg_segment_ptr 1
		.amdhsa_user_sgpr_dispatch_id 0
		.amdhsa_user_sgpr_kernarg_preload_length 0
		.amdhsa_user_sgpr_kernarg_preload_offset 0
		.amdhsa_user_sgpr_private_segment_size 0
		.amdhsa_wavefront_size32 1
		.amdhsa_uses_dynamic_stack 0
		.amdhsa_enable_private_segment 0
		.amdhsa_system_sgpr_workgroup_id_x 1
		.amdhsa_system_sgpr_workgroup_id_y 1
		.amdhsa_system_sgpr_workgroup_id_z 1
		.amdhsa_system_sgpr_workgroup_info 0
		.amdhsa_system_vgpr_workitem_id 1
		.amdhsa_next_free_vgpr 56
		.amdhsa_next_free_sgpr 35
		.amdhsa_named_barrier_count 0
		.amdhsa_reserve_vcc 1
		.amdhsa_float_round_mode_32 0
		.amdhsa_float_round_mode_16_64 0
		.amdhsa_float_denorm_mode_32 3
		.amdhsa_float_denorm_mode_16_64 3
		.amdhsa_fp16_overflow 0
		.amdhsa_memory_ordered 1
		.amdhsa_forward_progress 1
		.amdhsa_inst_pref_size 14
		.amdhsa_round_robin_scheduling 0
		.amdhsa_exception_fp_ieee_invalid_op 0
		.amdhsa_exception_fp_denorm_src 0
		.amdhsa_exception_fp_ieee_div_zero 0
		.amdhsa_exception_fp_ieee_overflow 0
		.amdhsa_exception_fp_ieee_underflow 0
		.amdhsa_exception_fp_ieee_inexact 0
		.amdhsa_exception_int_div_zero 0
	.end_amdhsa_kernel
	.section	.text._ZL29rocblas_internal_gemmt_kernelIlLi16ELi32ELi8ELc78ELc78ELc76ELb0ELb0EffPKPKfPKPfEviT_T9_T10_S7_lS9_S7_lS8_T11_S7_li,"axG",@progbits,_ZL29rocblas_internal_gemmt_kernelIlLi16ELi32ELi8ELc78ELc78ELc76ELb0ELb0EffPKPKfPKPfEviT_T9_T10_S7_lS9_S7_lS8_T11_S7_li,comdat
.Lfunc_end459:
	.size	_ZL29rocblas_internal_gemmt_kernelIlLi16ELi32ELi8ELc78ELc78ELc76ELb0ELb0EffPKPKfPKPfEviT_T9_T10_S7_lS9_S7_lS8_T11_S7_li, .Lfunc_end459-_ZL29rocblas_internal_gemmt_kernelIlLi16ELi32ELi8ELc78ELc78ELc76ELb0ELb0EffPKPKfPKPfEviT_T9_T10_S7_lS9_S7_lS8_T11_S7_li
                                        ; -- End function
	.set _ZL29rocblas_internal_gemmt_kernelIlLi16ELi32ELi8ELc78ELc78ELc76ELb0ELb0EffPKPKfPKPfEviT_T9_T10_S7_lS9_S7_lS8_T11_S7_li.num_vgpr, 56
	.set _ZL29rocblas_internal_gemmt_kernelIlLi16ELi32ELi8ELc78ELc78ELc76ELb0ELb0EffPKPKfPKPfEviT_T9_T10_S7_lS9_S7_lS8_T11_S7_li.num_agpr, 0
	.set _ZL29rocblas_internal_gemmt_kernelIlLi16ELi32ELi8ELc78ELc78ELc76ELb0ELb0EffPKPKfPKPfEviT_T9_T10_S7_lS9_S7_lS8_T11_S7_li.numbered_sgpr, 35
	.set _ZL29rocblas_internal_gemmt_kernelIlLi16ELi32ELi8ELc78ELc78ELc76ELb0ELb0EffPKPKfPKPfEviT_T9_T10_S7_lS9_S7_lS8_T11_S7_li.num_named_barrier, 0
	.set _ZL29rocblas_internal_gemmt_kernelIlLi16ELi32ELi8ELc78ELc78ELc76ELb0ELb0EffPKPKfPKPfEviT_T9_T10_S7_lS9_S7_lS8_T11_S7_li.private_seg_size, 0
	.set _ZL29rocblas_internal_gemmt_kernelIlLi16ELi32ELi8ELc78ELc78ELc76ELb0ELb0EffPKPKfPKPfEviT_T9_T10_S7_lS9_S7_lS8_T11_S7_li.uses_vcc, 1
	.set _ZL29rocblas_internal_gemmt_kernelIlLi16ELi32ELi8ELc78ELc78ELc76ELb0ELb0EffPKPKfPKPfEviT_T9_T10_S7_lS9_S7_lS8_T11_S7_li.uses_flat_scratch, 0
	.set _ZL29rocblas_internal_gemmt_kernelIlLi16ELi32ELi8ELc78ELc78ELc76ELb0ELb0EffPKPKfPKPfEviT_T9_T10_S7_lS9_S7_lS8_T11_S7_li.has_dyn_sized_stack, 0
	.set _ZL29rocblas_internal_gemmt_kernelIlLi16ELi32ELi8ELc78ELc78ELc76ELb0ELb0EffPKPKfPKPfEviT_T9_T10_S7_lS9_S7_lS8_T11_S7_li.has_recursion, 0
	.set _ZL29rocblas_internal_gemmt_kernelIlLi16ELi32ELi8ELc78ELc78ELc76ELb0ELb0EffPKPKfPKPfEviT_T9_T10_S7_lS9_S7_lS8_T11_S7_li.has_indirect_call, 0
	.section	.AMDGPU.csdata,"",@progbits
; Kernel info:
; codeLenInByte = 1672
; TotalNumSgprs: 37
; NumVgprs: 56
; ScratchSize: 0
; MemoryBound: 0
; FloatMode: 240
; IeeeMode: 1
; LDSByteSize: 2048 bytes/workgroup (compile time only)
; SGPRBlocks: 0
; VGPRBlocks: 3
; NumSGPRsForWavesPerEU: 37
; NumVGPRsForWavesPerEU: 56
; NamedBarCnt: 0
; Occupancy: 16
; WaveLimiterHint : 1
; COMPUTE_PGM_RSRC2:SCRATCH_EN: 0
; COMPUTE_PGM_RSRC2:USER_SGPR: 2
; COMPUTE_PGM_RSRC2:TRAP_HANDLER: 0
; COMPUTE_PGM_RSRC2:TGID_X_EN: 1
; COMPUTE_PGM_RSRC2:TGID_Y_EN: 1
; COMPUTE_PGM_RSRC2:TGID_Z_EN: 1
; COMPUTE_PGM_RSRC2:TIDIG_COMP_CNT: 1
	.section	.text._ZL29rocblas_internal_gemmt_kernelIlLi16ELi32ELi8ELc78ELc84ELc76ELb0ELb0EffPKPKfPKPfEviT_T9_T10_S7_lS9_S7_lS8_T11_S7_li,"axG",@progbits,_ZL29rocblas_internal_gemmt_kernelIlLi16ELi32ELi8ELc78ELc84ELc76ELb0ELb0EffPKPKfPKPfEviT_T9_T10_S7_lS9_S7_lS8_T11_S7_li,comdat
	.globl	_ZL29rocblas_internal_gemmt_kernelIlLi16ELi32ELi8ELc78ELc84ELc76ELb0ELb0EffPKPKfPKPfEviT_T9_T10_S7_lS9_S7_lS8_T11_S7_li ; -- Begin function _ZL29rocblas_internal_gemmt_kernelIlLi16ELi32ELi8ELc78ELc84ELc76ELb0ELb0EffPKPKfPKPfEviT_T9_T10_S7_lS9_S7_lS8_T11_S7_li
	.p2align	8
	.type	_ZL29rocblas_internal_gemmt_kernelIlLi16ELi32ELi8ELc78ELc84ELc76ELb0ELb0EffPKPKfPKPfEviT_T9_T10_S7_lS9_S7_lS8_T11_S7_li,@function
_ZL29rocblas_internal_gemmt_kernelIlLi16ELi32ELi8ELc78ELc84ELc76ELb0ELb0EffPKPKfPKPfEviT_T9_T10_S7_lS9_S7_lS8_T11_S7_li: ; @_ZL29rocblas_internal_gemmt_kernelIlLi16ELi32ELi8ELc78ELc84ELc76ELb0ELb0EffPKPKfPKPfEviT_T9_T10_S7_lS9_S7_lS8_T11_S7_li
; %bb.0:
	s_clause 0x1
	s_load_b32 s27, s[0:1], 0x48
	s_load_b96 s[24:26], s[0:1], 0x8
	s_wait_kmcnt 0x0
	s_cmp_neq_f32 s27, 1.0
	s_cselect_b32 s2, -1, 0
	s_delay_alu instid0(SALU_CYCLE_1)
	s_and_b32 vcc_lo, exec_lo, s2
	s_cbranch_vccnz .LBB460_2
; %bb.1:
	s_cmp_lg_u64 s[24:25], 0
	s_cselect_b32 s2, -1, 0
	s_cmp_neq_f32 s26, 0
	s_cselect_b32 s3, -1, 0
	s_delay_alu instid0(SALU_CYCLE_1)
	s_and_b32 s2, s2, s3
.LBB460_2:
	s_delay_alu instid0(SALU_CYCLE_1)
	s_and_not1_b32 vcc_lo, exec_lo, s2
	s_cbranch_vccnz .LBB460_35
; %bb.3:
	s_load_b32 s28, s[0:1], 0x68
	s_bfe_u32 s2, ttmp6, 0x40014
	s_lshr_b32 s3, ttmp7, 16
	s_add_co_i32 s2, s2, 1
	s_bfe_u32 s5, ttmp6, 0x40008
	s_mul_i32 s4, s3, s2
	s_getreg_b32 s2, hwreg(HW_REG_IB_STS2, 6, 4)
	s_add_co_i32 s5, s5, s4
	s_cmp_eq_u32 s2, 0
	s_mov_b32 s7, 0
	s_cselect_b32 s6, s3, s5
	s_wait_kmcnt 0x0
	s_cmp_ge_u32 s6, s28
	s_cbranch_scc1 .LBB460_35
; %bb.4:
	s_bfe_u32 s5, ttmp6, 0x4000c
	s_bfe_u32 s29, ttmp6, 0x40010
	s_add_co_i32 s5, s5, 1
	s_and_b32 s30, ttmp7, 0xffff
	s_add_co_i32 s29, s29, 1
	v_and_b32_e32 v13, 0x3ff, v0
	v_bfe_u32 v15, v0, 10, 10
	s_and_b32 s3, ttmp6, 15
	s_mul_i32 s5, ttmp9, s5
	s_mul_i32 s29, s30, s29
	s_bfe_u32 s31, ttmp6, 0x40004
	s_add_co_i32 s3, s3, s5
	s_add_co_i32 s31, s31, s29
	s_cmp_eq_u32 s2, 0
	s_clause 0x1
	s_load_b32 s4, s[0:1], 0x0
	s_load_b256 s[8:15], s[0:1], 0x18
	v_lshl_add_u32 v1, v15, 4, v13
	s_clause 0x2
	s_load_b128 s[16:19], s[0:1], 0x38
	s_load_b128 s[20:23], s[0:1], 0x50
	s_load_b64 s[34:35], s[0:1], 0x60
	s_wait_xcnt 0x0
	s_cselect_b32 s0, s30, s31
	s_cselect_b32 s1, ttmp9, s3
	s_lshl_b32 s0, s0, 5
	s_delay_alu instid0(SALU_CYCLE_1) | instskip(SKIP_2) | instid1(VALU_DEP_2)
	v_dual_add_nc_u32 v16, s0, v15 :: v_dual_bitop2_b32 v3, 31, v1 bitop3:0x40
	s_lshl_b32 s2, s1, 5
	v_dual_lshrrev_b32 v2, 5, v1 :: v_dual_bitop2_b32 v0, 7, v0 bitop3:0x40
	v_dual_lshrrev_b32 v1, 3, v1 :: v_dual_bitop2_b32 v4, s2, v3 bitop3:0x54
	s_delay_alu instid0(VALU_DEP_3) | instskip(NEXT) | instid1(VALU_DEP_3)
	v_add_nc_u32_e32 v18, 16, v16
	v_dual_lshlrev_b32 v5, 2, v0 :: v_dual_lshlrev_b32 v3, 2, v3
	s_delay_alu instid0(VALU_DEP_3) | instskip(NEXT) | instid1(VALU_DEP_3)
	v_dual_add_nc_u32 v6, s0, v1 :: v_dual_ashrrev_i32 v17, 31, v16
	v_ashrrev_i32_e32 v19, 31, v18
	s_delay_alu instid0(VALU_DEP_3)
	v_lshl_or_b32 v7, v1, 5, v5
	v_dual_ashrrev_i32 v5, 31, v4 :: v_dual_add_nc_u32 v12, s2, v13
	s_wait_kmcnt 0x0
	v_mul_u64_e32 v[8:9], s[22:23], v[16:17]
	v_mul_u64_e32 v[10:11], s[22:23], v[18:19]
	s_cmp_neq_f32 s26, 0
	v_cmp_gt_i64_e64 s36, s[24:25], 0
	v_add_nc_u32_e32 v14, 16, v12
	v_cmp_le_i32_e32 vcc_lo, v16, v12
	v_cmp_gt_i32_e64 s2, s4, v12
	s_cselect_b32 s33, -1, 0
	s_cmp_neq_f32 s27, 0
	v_cmp_gt_i32_e64 s0, s4, v4
	v_lshl_or_b32 v1, v2, 7, v3
	v_cmp_gt_i32_e64 s1, s4, v6
	v_add_nc_u32_e32 v3, 0x400, v7
	v_dual_ashrrev_i32 v7, 31, v6 :: v_dual_lshlrev_b32 v28, 2, v13
	s_cselect_b32 s22, -1, 0
	s_and_b32 s23, vcc_lo, s2
	v_cmp_le_i32_e32 vcc_lo, v18, v12
	v_ashrrev_i32_e32 v13, 31, v12
	v_cmp_le_i32_e64 s3, v16, v14
	v_cmp_gt_i32_e64 s4, s4, v14
	v_cmp_le_i32_e64 s5, v18, v14
	v_lshl_add_u32 v29, v15, 5, 0x400
	v_dual_ashrrev_i32 v15, 31, v14 :: v_dual_mov_b32 v17, 0
	s_and_b32 s29, s3, s4
	s_and_b32 s30, vcc_lo, s2
	s_and_b32 s31, s5, s4
	s_and_b32 s33, s33, s36
	s_lshl_b64 s[2:3], s[18:19], 2
	s_lshl_b64 s[4:5], s[12:13], 2
	;; [unrolled: 1-line block ×3, first 2 shown]
	s_branch .LBB460_6
.LBB460_5:                              ;   in Loop: Header=BB460_6 Depth=1
	s_wait_xcnt 0x0
	s_or_b32 exec_lo, exec_lo, s18
	s_add_co_i32 s6, s6, 0x10000
	s_delay_alu instid0(SALU_CYCLE_1)
	s_cmp_lt_u32 s6, s28
	s_cbranch_scc0 .LBB460_35
.LBB460_6:                              ; =>This Loop Header: Depth=1
                                        ;     Child Loop BB460_9 Depth 2
	v_dual_mov_b32 v16, s6 :: v_dual_mov_b32 v23, v17
	v_dual_mov_b32 v22, v17 :: v_dual_mov_b32 v19, v17
	v_mov_b32_e32 v18, v17
	global_load_b64 v[20:21], v16, s[20:21] scale_offset
	s_and_not1_b32 vcc_lo, exec_lo, s33
	s_cbranch_vccnz .LBB460_15
; %bb.7:                                ;   in Loop: Header=BB460_6 Depth=1
	s_lshl_b64 s[18:19], s[6:7], 3
	v_mov_b32_e32 v18, 0
	s_add_nc_u64 s[34:35], s[8:9], s[18:19]
	s_add_nc_u64 s[18:19], s[14:15], s[18:19]
	s_clause 0x1
	global_load_b64 v[22:23], v17, s[34:35]
	global_load_b64 v[24:25], v17, s[18:19]
	s_wait_xcnt 0x0
	s_mov_b64 s[18:19], 0
	v_mov_b32_e32 v19, v18
	s_wait_loadcnt 0x1
	v_add_nc_u64_e32 v[26:27], s[4:5], v[22:23]
	s_wait_loadcnt 0x0
	v_add_nc_u64_e32 v[30:31], s[2:3], v[24:25]
	v_dual_mov_b32 v22, v18 :: v_dual_mov_b32 v23, v18
	s_delay_alu instid0(VALU_DEP_3) | instskip(NEXT) | instid1(VALU_DEP_3)
	v_lshl_add_u64 v[24:25], v[4:5], 2, v[26:27]
	v_lshl_add_u64 v[26:27], v[6:7], 2, v[30:31]
	s_branch .LBB460_9
.LBB460_8:                              ;   in Loop: Header=BB460_9 Depth=2
	s_wait_xcnt 0x0
	s_or_b32 exec_lo, exec_lo, s34
	s_wait_loadcnt_dscnt 0x0
	ds_store_b32 v3, v31
	s_wait_dscnt 0x0
	s_barrier_signal -1
	s_barrier_wait -1
	ds_load_b128 v[30:33], v29
	ds_load_2addr_b32 v[46:47], v28 offset1:16
	ds_load_b128 v[34:37], v29 offset:512
	ds_load_2addr_b32 v[48:49], v28 offset0:32 offset1:48
	ds_load_2addr_b32 v[50:51], v28 offset0:64 offset1:80
	;; [unrolled: 1-line block ×3, first 2 shown]
	ds_load_b128 v[38:41], v29 offset:16
	ds_load_2addr_b32 v[54:55], v28 offset0:128 offset1:144
	ds_load_b128 v[42:45], v29 offset:528
	s_add_nc_u64 s[18:19], s[18:19], 8
	s_delay_alu instid0(SALU_CYCLE_1)
	v_cmp_gt_i64_e64 s34, s[24:25], s[18:19]
	s_and_b32 vcc_lo, exec_lo, s34
	s_wait_dscnt 0x8
	v_mov_b32_e32 v16, v33
	s_wait_dscnt 0x7
	v_pk_fma_f32 v[22:23], v[46:47], v[30:31], v[22:23] op_sel_hi:[1,0,1]
	s_wait_dscnt 0x6
	v_pk_fma_f32 v[18:19], v[46:47], v[34:35], v[18:19] op_sel_hi:[1,0,1]
	ds_load_2addr_b32 v[46:47], v28 offset0:160 offset1:176
	s_wait_dscnt 0x6
	v_pk_fma_f32 v[22:23], v[48:49], v[30:31], v[22:23] op_sel:[0,1,0]
	v_pk_fma_f32 v[18:19], v[48:49], v[34:35], v[18:19] op_sel:[0,1,0]
	ds_load_2addr_b32 v[30:31], v28 offset0:192 offset1:208
	v_mov_b32_e32 v34, v37
	s_wait_dscnt 0x6
	v_pk_fma_f32 v[22:23], v[50:51], v[32:33], v[22:23] op_sel_hi:[1,0,1]
	v_pk_fma_f32 v[18:19], v[50:51], v[36:37], v[18:19] op_sel_hi:[1,0,1]
	ds_load_2addr_b32 v[32:33], v28 offset0:224 offset1:240
	s_wait_dscnt 0x0
	s_barrier_signal -1
	v_pk_fma_f32 v[22:23], v[52:53], v[16:17], v[22:23] op_sel_hi:[1,0,1]
	v_pk_fma_f32 v[18:19], v[52:53], v[34:35], v[18:19] op_sel_hi:[1,0,1]
	v_dual_mov_b32 v16, v41 :: v_dual_mov_b32 v34, v45
	s_barrier_wait -1
	s_delay_alu instid0(VALU_DEP_3) | instskip(NEXT) | instid1(VALU_DEP_3)
	v_pk_fma_f32 v[22:23], v[54:55], v[38:39], v[22:23] op_sel_hi:[1,0,1]
	v_pk_fma_f32 v[18:19], v[54:55], v[42:43], v[18:19] op_sel_hi:[1,0,1]
	s_delay_alu instid0(VALU_DEP_2) | instskip(NEXT) | instid1(VALU_DEP_2)
	v_pk_fma_f32 v[22:23], v[46:47], v[38:39], v[22:23] op_sel:[0,1,0]
	v_pk_fma_f32 v[18:19], v[46:47], v[42:43], v[18:19] op_sel:[0,1,0]
	s_delay_alu instid0(VALU_DEP_2) | instskip(NEXT) | instid1(VALU_DEP_2)
	v_pk_fma_f32 v[22:23], v[30:31], v[40:41], v[22:23] op_sel_hi:[1,0,1]
	v_pk_fma_f32 v[18:19], v[30:31], v[44:45], v[18:19] op_sel_hi:[1,0,1]
	s_delay_alu instid0(VALU_DEP_2) | instskip(NEXT) | instid1(VALU_DEP_2)
	v_pk_fma_f32 v[22:23], v[32:33], v[16:17], v[22:23] op_sel_hi:[1,0,1]
	v_pk_fma_f32 v[18:19], v[32:33], v[34:35], v[18:19] op_sel_hi:[1,0,1]
	s_cbranch_vccz .LBB460_15
.LBB460_9:                              ;   Parent Loop BB460_6 Depth=1
                                        ; =>  This Inner Loop Header: Depth=2
	v_mov_b32_e32 v30, 0
	s_and_saveexec_b32 s34, s0
	s_cbranch_execz .LBB460_13
; %bb.10:                               ;   in Loop: Header=BB460_9 Depth=2
	v_dual_add_nc_u32 v16, s18, v2 :: v_dual_mov_b32 v30, 0
	s_mov_b32 s35, exec_lo
	s_delay_alu instid0(VALU_DEP_1)
	v_cmpx_gt_u64_e64 s[24:25], v[16:17]
	s_cbranch_execz .LBB460_12
; %bb.11:                               ;   in Loop: Header=BB460_9 Depth=2
	v_mul_u64_e32 v[30:31], s[10:11], v[16:17]
	s_delay_alu instid0(VALU_DEP_1)
	v_lshl_add_u64 v[30:31], v[30:31], 2, v[24:25]
	flat_load_b32 v30, v[30:31]
.LBB460_12:                             ;   in Loop: Header=BB460_9 Depth=2
	s_wait_xcnt 0x0
	s_or_b32 exec_lo, exec_lo, s35
.LBB460_13:                             ;   in Loop: Header=BB460_9 Depth=2
	s_delay_alu instid0(SALU_CYCLE_1)
	s_or_b32 exec_lo, exec_lo, s34
	v_dual_mov_b32 v31, 0 :: v_dual_add_nc_u32 v16, s18, v0
	s_wait_loadcnt_dscnt 0x0
	ds_store_b32 v1, v30
	v_cmp_gt_u64_e32 vcc_lo, s[24:25], v[16:17]
	s_and_b32 s35, vcc_lo, s1
	s_delay_alu instid0(SALU_CYCLE_1)
	s_and_saveexec_b32 s34, s35
	s_cbranch_execz .LBB460_8
; %bb.14:                               ;   in Loop: Header=BB460_9 Depth=2
	v_mul_u64_e32 v[30:31], s[16:17], v[16:17]
	s_delay_alu instid0(VALU_DEP_1)
	v_lshl_add_u64 v[30:31], v[30:31], 2, v[26:27]
	flat_load_b32 v31, v[30:31]
	s_branch .LBB460_8
.LBB460_15:                             ;   in Loop: Header=BB460_6 Depth=1
	s_wait_loadcnt 0x0
	v_add_nc_u64_e32 v[20:21], s[12:13], v[20:21]
	s_delay_alu instid0(VALU_DEP_1)
	v_lshl_add_u64 v[24:25], v[8:9], 2, v[20:21]
	s_wait_xcnt 0x0
	s_and_saveexec_b32 s18, s23
	s_cbranch_execz .LBB460_19
; %bb.16:                               ;   in Loop: Header=BB460_6 Depth=1
	v_mul_f32_e32 v16, s26, v22
	v_lshl_add_u64 v[26:27], v[12:13], 2, v[24:25]
	s_and_b32 vcc_lo, exec_lo, s22
	s_cbranch_vccz .LBB460_30
; %bb.17:                               ;   in Loop: Header=BB460_6 Depth=1
	flat_load_b32 v22, v[26:27]
	s_wait_loadcnt_dscnt 0x0
	v_fma_f32 v22, s27, v22, v16
	flat_store_b32 v[26:27], v22
	s_cbranch_execnz .LBB460_19
.LBB460_18:                             ;   in Loop: Header=BB460_6 Depth=1
	flat_store_b32 v[26:27], v16
.LBB460_19:                             ;   in Loop: Header=BB460_6 Depth=1
	s_wait_xcnt 0x0
	s_or_b32 exec_lo, exec_lo, s18
	s_and_saveexec_b32 s18, s29
	s_cbranch_execz .LBB460_23
; %bb.20:                               ;   in Loop: Header=BB460_6 Depth=1
	v_mul_f32_e32 v16, s26, v23
	v_lshl_add_u64 v[22:23], v[14:15], 2, v[24:25]
	s_and_not1_b32 vcc_lo, exec_lo, s22
	s_cbranch_vccnz .LBB460_31
; %bb.21:                               ;   in Loop: Header=BB460_6 Depth=1
	flat_load_b32 v24, v[22:23]
	s_wait_loadcnt_dscnt 0x0
	v_fma_f32 v24, s27, v24, v16
	flat_store_b32 v[22:23], v24
	s_cbranch_execnz .LBB460_23
.LBB460_22:                             ;   in Loop: Header=BB460_6 Depth=1
	flat_store_b32 v[22:23], v16
.LBB460_23:                             ;   in Loop: Header=BB460_6 Depth=1
	s_wait_xcnt 0x0
	s_or_b32 exec_lo, exec_lo, s18
	v_lshl_add_u64 v[20:21], v[10:11], 2, v[20:21]
	s_and_saveexec_b32 s18, s30
	s_cbranch_execz .LBB460_27
; %bb.24:                               ;   in Loop: Header=BB460_6 Depth=1
	v_mul_f32_e32 v16, s26, v18
	s_delay_alu instid0(VALU_DEP_2)
	v_lshl_add_u64 v[22:23], v[12:13], 2, v[20:21]
	s_and_not1_b32 vcc_lo, exec_lo, s22
	s_cbranch_vccnz .LBB460_32
; %bb.25:                               ;   in Loop: Header=BB460_6 Depth=1
	flat_load_b32 v18, v[22:23]
	s_wait_loadcnt_dscnt 0x0
	v_fma_f32 v18, s27, v18, v16
	flat_store_b32 v[22:23], v18
	s_cbranch_execnz .LBB460_27
.LBB460_26:                             ;   in Loop: Header=BB460_6 Depth=1
	flat_store_b32 v[22:23], v16
.LBB460_27:                             ;   in Loop: Header=BB460_6 Depth=1
	s_wait_xcnt 0x0
	s_or_b32 exec_lo, exec_lo, s18
	s_and_saveexec_b32 s18, s31
	s_cbranch_execz .LBB460_5
; %bb.28:                               ;   in Loop: Header=BB460_6 Depth=1
	v_mul_f32_e32 v16, s26, v19
	v_lshl_add_u64 v[18:19], v[14:15], 2, v[20:21]
	s_and_not1_b32 vcc_lo, exec_lo, s22
	s_cbranch_vccnz .LBB460_33
; %bb.29:                               ;   in Loop: Header=BB460_6 Depth=1
	flat_load_b32 v20, v[18:19]
	s_wait_loadcnt_dscnt 0x0
	v_fma_f32 v20, s27, v20, v16
	flat_store_b32 v[18:19], v20
	s_cbranch_execnz .LBB460_5
	s_branch .LBB460_34
.LBB460_30:                             ;   in Loop: Header=BB460_6 Depth=1
	s_branch .LBB460_18
.LBB460_31:                             ;   in Loop: Header=BB460_6 Depth=1
	s_branch .LBB460_22
.LBB460_32:                             ;   in Loop: Header=BB460_6 Depth=1
	s_branch .LBB460_26
.LBB460_33:                             ;   in Loop: Header=BB460_6 Depth=1
.LBB460_34:                             ;   in Loop: Header=BB460_6 Depth=1
	flat_store_b32 v[18:19], v16
	s_branch .LBB460_5
.LBB460_35:
	s_endpgm
	.section	.rodata,"a",@progbits
	.p2align	6, 0x0
	.amdhsa_kernel _ZL29rocblas_internal_gemmt_kernelIlLi16ELi32ELi8ELc78ELc84ELc76ELb0ELb0EffPKPKfPKPfEviT_T9_T10_S7_lS9_S7_lS8_T11_S7_li
		.amdhsa_group_segment_fixed_size 2048
		.amdhsa_private_segment_fixed_size 0
		.amdhsa_kernarg_size 108
		.amdhsa_user_sgpr_count 2
		.amdhsa_user_sgpr_dispatch_ptr 0
		.amdhsa_user_sgpr_queue_ptr 0
		.amdhsa_user_sgpr_kernarg_segment_ptr 1
		.amdhsa_user_sgpr_dispatch_id 0
		.amdhsa_user_sgpr_kernarg_preload_length 0
		.amdhsa_user_sgpr_kernarg_preload_offset 0
		.amdhsa_user_sgpr_private_segment_size 0
		.amdhsa_wavefront_size32 1
		.amdhsa_uses_dynamic_stack 0
		.amdhsa_enable_private_segment 0
		.amdhsa_system_sgpr_workgroup_id_x 1
		.amdhsa_system_sgpr_workgroup_id_y 1
		.amdhsa_system_sgpr_workgroup_id_z 1
		.amdhsa_system_sgpr_workgroup_info 0
		.amdhsa_system_vgpr_workitem_id 1
		.amdhsa_next_free_vgpr 56
		.amdhsa_next_free_sgpr 37
		.amdhsa_named_barrier_count 0
		.amdhsa_reserve_vcc 1
		.amdhsa_float_round_mode_32 0
		.amdhsa_float_round_mode_16_64 0
		.amdhsa_float_denorm_mode_32 3
		.amdhsa_float_denorm_mode_16_64 3
		.amdhsa_fp16_overflow 0
		.amdhsa_memory_ordered 1
		.amdhsa_forward_progress 1
		.amdhsa_inst_pref_size 14
		.amdhsa_round_robin_scheduling 0
		.amdhsa_exception_fp_ieee_invalid_op 0
		.amdhsa_exception_fp_denorm_src 0
		.amdhsa_exception_fp_ieee_div_zero 0
		.amdhsa_exception_fp_ieee_overflow 0
		.amdhsa_exception_fp_ieee_underflow 0
		.amdhsa_exception_fp_ieee_inexact 0
		.amdhsa_exception_int_div_zero 0
	.end_amdhsa_kernel
	.section	.text._ZL29rocblas_internal_gemmt_kernelIlLi16ELi32ELi8ELc78ELc84ELc76ELb0ELb0EffPKPKfPKPfEviT_T9_T10_S7_lS9_S7_lS8_T11_S7_li,"axG",@progbits,_ZL29rocblas_internal_gemmt_kernelIlLi16ELi32ELi8ELc78ELc84ELc76ELb0ELb0EffPKPKfPKPfEviT_T9_T10_S7_lS9_S7_lS8_T11_S7_li,comdat
.Lfunc_end460:
	.size	_ZL29rocblas_internal_gemmt_kernelIlLi16ELi32ELi8ELc78ELc84ELc76ELb0ELb0EffPKPKfPKPfEviT_T9_T10_S7_lS9_S7_lS8_T11_S7_li, .Lfunc_end460-_ZL29rocblas_internal_gemmt_kernelIlLi16ELi32ELi8ELc78ELc84ELc76ELb0ELb0EffPKPKfPKPfEviT_T9_T10_S7_lS9_S7_lS8_T11_S7_li
                                        ; -- End function
	.set _ZL29rocblas_internal_gemmt_kernelIlLi16ELi32ELi8ELc78ELc84ELc76ELb0ELb0EffPKPKfPKPfEviT_T9_T10_S7_lS9_S7_lS8_T11_S7_li.num_vgpr, 56
	.set _ZL29rocblas_internal_gemmt_kernelIlLi16ELi32ELi8ELc78ELc84ELc76ELb0ELb0EffPKPKfPKPfEviT_T9_T10_S7_lS9_S7_lS8_T11_S7_li.num_agpr, 0
	.set _ZL29rocblas_internal_gemmt_kernelIlLi16ELi32ELi8ELc78ELc84ELc76ELb0ELb0EffPKPKfPKPfEviT_T9_T10_S7_lS9_S7_lS8_T11_S7_li.numbered_sgpr, 37
	.set _ZL29rocblas_internal_gemmt_kernelIlLi16ELi32ELi8ELc78ELc84ELc76ELb0ELb0EffPKPKfPKPfEviT_T9_T10_S7_lS9_S7_lS8_T11_S7_li.num_named_barrier, 0
	.set _ZL29rocblas_internal_gemmt_kernelIlLi16ELi32ELi8ELc78ELc84ELc76ELb0ELb0EffPKPKfPKPfEviT_T9_T10_S7_lS9_S7_lS8_T11_S7_li.private_seg_size, 0
	.set _ZL29rocblas_internal_gemmt_kernelIlLi16ELi32ELi8ELc78ELc84ELc76ELb0ELb0EffPKPKfPKPfEviT_T9_T10_S7_lS9_S7_lS8_T11_S7_li.uses_vcc, 1
	.set _ZL29rocblas_internal_gemmt_kernelIlLi16ELi32ELi8ELc78ELc84ELc76ELb0ELb0EffPKPKfPKPfEviT_T9_T10_S7_lS9_S7_lS8_T11_S7_li.uses_flat_scratch, 0
	.set _ZL29rocblas_internal_gemmt_kernelIlLi16ELi32ELi8ELc78ELc84ELc76ELb0ELb0EffPKPKfPKPfEviT_T9_T10_S7_lS9_S7_lS8_T11_S7_li.has_dyn_sized_stack, 0
	.set _ZL29rocblas_internal_gemmt_kernelIlLi16ELi32ELi8ELc78ELc84ELc76ELb0ELb0EffPKPKfPKPfEviT_T9_T10_S7_lS9_S7_lS8_T11_S7_li.has_recursion, 0
	.set _ZL29rocblas_internal_gemmt_kernelIlLi16ELi32ELi8ELc78ELc84ELc76ELb0ELb0EffPKPKfPKPfEviT_T9_T10_S7_lS9_S7_lS8_T11_S7_li.has_indirect_call, 0
	.section	.AMDGPU.csdata,"",@progbits
; Kernel info:
; codeLenInByte = 1680
; TotalNumSgprs: 39
; NumVgprs: 56
; ScratchSize: 0
; MemoryBound: 0
; FloatMode: 240
; IeeeMode: 1
; LDSByteSize: 2048 bytes/workgroup (compile time only)
; SGPRBlocks: 0
; VGPRBlocks: 3
; NumSGPRsForWavesPerEU: 39
; NumVGPRsForWavesPerEU: 56
; NamedBarCnt: 0
; Occupancy: 16
; WaveLimiterHint : 1
; COMPUTE_PGM_RSRC2:SCRATCH_EN: 0
; COMPUTE_PGM_RSRC2:USER_SGPR: 2
; COMPUTE_PGM_RSRC2:TRAP_HANDLER: 0
; COMPUTE_PGM_RSRC2:TGID_X_EN: 1
; COMPUTE_PGM_RSRC2:TGID_Y_EN: 1
; COMPUTE_PGM_RSRC2:TGID_Z_EN: 1
; COMPUTE_PGM_RSRC2:TIDIG_COMP_CNT: 1
	.section	.text._ZL29rocblas_internal_gemmt_kernelIlLi16ELi32ELi8ELc78ELc67ELc76ELb0ELb0EffPKPKfPKPfEviT_T9_T10_S7_lS9_S7_lS8_T11_S7_li,"axG",@progbits,_ZL29rocblas_internal_gemmt_kernelIlLi16ELi32ELi8ELc78ELc67ELc76ELb0ELb0EffPKPKfPKPfEviT_T9_T10_S7_lS9_S7_lS8_T11_S7_li,comdat
	.globl	_ZL29rocblas_internal_gemmt_kernelIlLi16ELi32ELi8ELc78ELc67ELc76ELb0ELb0EffPKPKfPKPfEviT_T9_T10_S7_lS9_S7_lS8_T11_S7_li ; -- Begin function _ZL29rocblas_internal_gemmt_kernelIlLi16ELi32ELi8ELc78ELc67ELc76ELb0ELb0EffPKPKfPKPfEviT_T9_T10_S7_lS9_S7_lS8_T11_S7_li
	.p2align	8
	.type	_ZL29rocblas_internal_gemmt_kernelIlLi16ELi32ELi8ELc78ELc67ELc76ELb0ELb0EffPKPKfPKPfEviT_T9_T10_S7_lS9_S7_lS8_T11_S7_li,@function
_ZL29rocblas_internal_gemmt_kernelIlLi16ELi32ELi8ELc78ELc67ELc76ELb0ELb0EffPKPKfPKPfEviT_T9_T10_S7_lS9_S7_lS8_T11_S7_li: ; @_ZL29rocblas_internal_gemmt_kernelIlLi16ELi32ELi8ELc78ELc67ELc76ELb0ELb0EffPKPKfPKPfEviT_T9_T10_S7_lS9_S7_lS8_T11_S7_li
; %bb.0:
	s_clause 0x1
	s_load_b32 s27, s[0:1], 0x48
	s_load_b96 s[24:26], s[0:1], 0x8
	s_wait_kmcnt 0x0
	s_cmp_neq_f32 s27, 1.0
	s_cselect_b32 s2, -1, 0
	s_delay_alu instid0(SALU_CYCLE_1)
	s_and_b32 vcc_lo, exec_lo, s2
	s_cbranch_vccnz .LBB461_2
; %bb.1:
	s_cmp_lg_u64 s[24:25], 0
	s_cselect_b32 s2, -1, 0
	s_cmp_neq_f32 s26, 0
	s_cselect_b32 s3, -1, 0
	s_delay_alu instid0(SALU_CYCLE_1)
	s_and_b32 s2, s2, s3
.LBB461_2:
	s_delay_alu instid0(SALU_CYCLE_1)
	s_and_not1_b32 vcc_lo, exec_lo, s2
	s_cbranch_vccnz .LBB461_35
; %bb.3:
	s_load_b32 s28, s[0:1], 0x68
	s_bfe_u32 s2, ttmp6, 0x40014
	s_lshr_b32 s3, ttmp7, 16
	s_add_co_i32 s2, s2, 1
	s_bfe_u32 s5, ttmp6, 0x40008
	s_mul_i32 s4, s3, s2
	s_getreg_b32 s2, hwreg(HW_REG_IB_STS2, 6, 4)
	s_add_co_i32 s5, s5, s4
	s_cmp_eq_u32 s2, 0
	s_mov_b32 s7, 0
	s_cselect_b32 s6, s3, s5
	s_wait_kmcnt 0x0
	s_cmp_ge_u32 s6, s28
	s_cbranch_scc1 .LBB461_35
; %bb.4:
	s_bfe_u32 s5, ttmp6, 0x4000c
	s_bfe_u32 s29, ttmp6, 0x40010
	s_add_co_i32 s5, s5, 1
	s_and_b32 s30, ttmp7, 0xffff
	s_add_co_i32 s29, s29, 1
	v_and_b32_e32 v13, 0x3ff, v0
	v_bfe_u32 v15, v0, 10, 10
	s_and_b32 s3, ttmp6, 15
	s_mul_i32 s5, ttmp9, s5
	s_mul_i32 s29, s30, s29
	s_bfe_u32 s31, ttmp6, 0x40004
	s_add_co_i32 s3, s3, s5
	s_add_co_i32 s31, s31, s29
	s_cmp_eq_u32 s2, 0
	s_clause 0x1
	s_load_b32 s4, s[0:1], 0x0
	s_load_b256 s[8:15], s[0:1], 0x18
	v_lshl_add_u32 v1, v15, 4, v13
	s_clause 0x2
	s_load_b128 s[16:19], s[0:1], 0x38
	s_load_b128 s[20:23], s[0:1], 0x50
	s_load_b64 s[34:35], s[0:1], 0x60
	s_wait_xcnt 0x0
	s_cselect_b32 s0, s30, s31
	s_cselect_b32 s1, ttmp9, s3
	s_lshl_b32 s0, s0, 5
	s_delay_alu instid0(SALU_CYCLE_1) | instskip(SKIP_2) | instid1(VALU_DEP_2)
	v_dual_add_nc_u32 v16, s0, v15 :: v_dual_bitop2_b32 v3, 31, v1 bitop3:0x40
	s_lshl_b32 s2, s1, 5
	v_dual_lshrrev_b32 v2, 5, v1 :: v_dual_bitop2_b32 v0, 7, v0 bitop3:0x40
	v_dual_lshrrev_b32 v1, 3, v1 :: v_dual_bitop2_b32 v4, s2, v3 bitop3:0x54
	s_delay_alu instid0(VALU_DEP_3) | instskip(NEXT) | instid1(VALU_DEP_3)
	v_add_nc_u32_e32 v18, 16, v16
	v_dual_lshlrev_b32 v5, 2, v0 :: v_dual_lshlrev_b32 v3, 2, v3
	s_delay_alu instid0(VALU_DEP_3) | instskip(NEXT) | instid1(VALU_DEP_3)
	v_dual_add_nc_u32 v6, s0, v1 :: v_dual_ashrrev_i32 v17, 31, v16
	v_ashrrev_i32_e32 v19, 31, v18
	s_delay_alu instid0(VALU_DEP_3)
	v_lshl_or_b32 v7, v1, 5, v5
	v_dual_ashrrev_i32 v5, 31, v4 :: v_dual_add_nc_u32 v12, s2, v13
	s_wait_kmcnt 0x0
	v_mul_u64_e32 v[8:9], s[22:23], v[16:17]
	v_mul_u64_e32 v[10:11], s[22:23], v[18:19]
	s_cmp_neq_f32 s26, 0
	v_cmp_gt_i64_e64 s36, s[24:25], 0
	v_add_nc_u32_e32 v14, 16, v12
	v_cmp_le_i32_e32 vcc_lo, v16, v12
	v_cmp_gt_i32_e64 s2, s4, v12
	s_cselect_b32 s33, -1, 0
	s_cmp_neq_f32 s27, 0
	v_cmp_gt_i32_e64 s0, s4, v4
	v_lshl_or_b32 v1, v2, 7, v3
	v_cmp_gt_i32_e64 s1, s4, v6
	v_add_nc_u32_e32 v3, 0x400, v7
	v_dual_ashrrev_i32 v7, 31, v6 :: v_dual_lshlrev_b32 v28, 2, v13
	s_cselect_b32 s22, -1, 0
	s_and_b32 s23, vcc_lo, s2
	v_cmp_le_i32_e32 vcc_lo, v18, v12
	v_ashrrev_i32_e32 v13, 31, v12
	v_cmp_le_i32_e64 s3, v16, v14
	v_cmp_gt_i32_e64 s4, s4, v14
	v_cmp_le_i32_e64 s5, v18, v14
	v_lshl_add_u32 v29, v15, 5, 0x400
	v_dual_ashrrev_i32 v15, 31, v14 :: v_dual_mov_b32 v17, 0
	s_and_b32 s29, s3, s4
	s_and_b32 s30, vcc_lo, s2
	s_and_b32 s31, s5, s4
	s_and_b32 s33, s33, s36
	s_lshl_b64 s[2:3], s[18:19], 2
	s_lshl_b64 s[4:5], s[12:13], 2
	;; [unrolled: 1-line block ×3, first 2 shown]
	s_branch .LBB461_6
.LBB461_5:                              ;   in Loop: Header=BB461_6 Depth=1
	s_wait_xcnt 0x0
	s_or_b32 exec_lo, exec_lo, s18
	s_add_co_i32 s6, s6, 0x10000
	s_delay_alu instid0(SALU_CYCLE_1)
	s_cmp_lt_u32 s6, s28
	s_cbranch_scc0 .LBB461_35
.LBB461_6:                              ; =>This Loop Header: Depth=1
                                        ;     Child Loop BB461_9 Depth 2
	v_dual_mov_b32 v16, s6 :: v_dual_mov_b32 v23, v17
	v_dual_mov_b32 v22, v17 :: v_dual_mov_b32 v19, v17
	v_mov_b32_e32 v18, v17
	global_load_b64 v[20:21], v16, s[20:21] scale_offset
	s_and_not1_b32 vcc_lo, exec_lo, s33
	s_cbranch_vccnz .LBB461_15
; %bb.7:                                ;   in Loop: Header=BB461_6 Depth=1
	s_lshl_b64 s[18:19], s[6:7], 3
	v_mov_b32_e32 v18, 0
	s_add_nc_u64 s[34:35], s[8:9], s[18:19]
	s_add_nc_u64 s[18:19], s[14:15], s[18:19]
	s_clause 0x1
	global_load_b64 v[22:23], v17, s[34:35]
	global_load_b64 v[24:25], v17, s[18:19]
	s_wait_xcnt 0x0
	s_mov_b64 s[18:19], 0
	v_mov_b32_e32 v19, v18
	s_wait_loadcnt 0x1
	v_add_nc_u64_e32 v[26:27], s[4:5], v[22:23]
	s_wait_loadcnt 0x0
	v_add_nc_u64_e32 v[30:31], s[2:3], v[24:25]
	v_dual_mov_b32 v22, v18 :: v_dual_mov_b32 v23, v18
	s_delay_alu instid0(VALU_DEP_3) | instskip(NEXT) | instid1(VALU_DEP_3)
	v_lshl_add_u64 v[24:25], v[4:5], 2, v[26:27]
	v_lshl_add_u64 v[26:27], v[6:7], 2, v[30:31]
	s_branch .LBB461_9
.LBB461_8:                              ;   in Loop: Header=BB461_9 Depth=2
	s_wait_xcnt 0x0
	s_or_b32 exec_lo, exec_lo, s34
	s_wait_loadcnt_dscnt 0x0
	ds_store_b32 v3, v31
	s_wait_dscnt 0x0
	s_barrier_signal -1
	s_barrier_wait -1
	ds_load_b128 v[30:33], v29
	ds_load_2addr_b32 v[46:47], v28 offset1:16
	ds_load_b128 v[34:37], v29 offset:512
	ds_load_2addr_b32 v[48:49], v28 offset0:32 offset1:48
	ds_load_2addr_b32 v[50:51], v28 offset0:64 offset1:80
	;; [unrolled: 1-line block ×3, first 2 shown]
	ds_load_b128 v[38:41], v29 offset:16
	ds_load_2addr_b32 v[54:55], v28 offset0:128 offset1:144
	ds_load_b128 v[42:45], v29 offset:528
	s_add_nc_u64 s[18:19], s[18:19], 8
	s_delay_alu instid0(SALU_CYCLE_1)
	v_cmp_gt_i64_e64 s34, s[24:25], s[18:19]
	s_and_b32 vcc_lo, exec_lo, s34
	s_wait_dscnt 0x8
	v_mov_b32_e32 v16, v33
	s_wait_dscnt 0x7
	v_pk_fma_f32 v[22:23], v[46:47], v[30:31], v[22:23] op_sel_hi:[1,0,1]
	s_wait_dscnt 0x6
	v_pk_fma_f32 v[18:19], v[46:47], v[34:35], v[18:19] op_sel_hi:[1,0,1]
	ds_load_2addr_b32 v[46:47], v28 offset0:160 offset1:176
	s_wait_dscnt 0x6
	v_pk_fma_f32 v[22:23], v[48:49], v[30:31], v[22:23] op_sel:[0,1,0]
	v_pk_fma_f32 v[18:19], v[48:49], v[34:35], v[18:19] op_sel:[0,1,0]
	ds_load_2addr_b32 v[30:31], v28 offset0:192 offset1:208
	v_mov_b32_e32 v34, v37
	s_wait_dscnt 0x6
	v_pk_fma_f32 v[22:23], v[50:51], v[32:33], v[22:23] op_sel_hi:[1,0,1]
	v_pk_fma_f32 v[18:19], v[50:51], v[36:37], v[18:19] op_sel_hi:[1,0,1]
	ds_load_2addr_b32 v[32:33], v28 offset0:224 offset1:240
	s_wait_dscnt 0x0
	s_barrier_signal -1
	v_pk_fma_f32 v[22:23], v[52:53], v[16:17], v[22:23] op_sel_hi:[1,0,1]
	v_pk_fma_f32 v[18:19], v[52:53], v[34:35], v[18:19] op_sel_hi:[1,0,1]
	v_dual_mov_b32 v16, v41 :: v_dual_mov_b32 v34, v45
	s_barrier_wait -1
	s_delay_alu instid0(VALU_DEP_3) | instskip(NEXT) | instid1(VALU_DEP_3)
	v_pk_fma_f32 v[22:23], v[54:55], v[38:39], v[22:23] op_sel_hi:[1,0,1]
	v_pk_fma_f32 v[18:19], v[54:55], v[42:43], v[18:19] op_sel_hi:[1,0,1]
	s_delay_alu instid0(VALU_DEP_2) | instskip(NEXT) | instid1(VALU_DEP_2)
	v_pk_fma_f32 v[22:23], v[46:47], v[38:39], v[22:23] op_sel:[0,1,0]
	v_pk_fma_f32 v[18:19], v[46:47], v[42:43], v[18:19] op_sel:[0,1,0]
	s_delay_alu instid0(VALU_DEP_2) | instskip(NEXT) | instid1(VALU_DEP_2)
	v_pk_fma_f32 v[22:23], v[30:31], v[40:41], v[22:23] op_sel_hi:[1,0,1]
	v_pk_fma_f32 v[18:19], v[30:31], v[44:45], v[18:19] op_sel_hi:[1,0,1]
	s_delay_alu instid0(VALU_DEP_2) | instskip(NEXT) | instid1(VALU_DEP_2)
	v_pk_fma_f32 v[22:23], v[32:33], v[16:17], v[22:23] op_sel_hi:[1,0,1]
	v_pk_fma_f32 v[18:19], v[32:33], v[34:35], v[18:19] op_sel_hi:[1,0,1]
	s_cbranch_vccz .LBB461_15
.LBB461_9:                              ;   Parent Loop BB461_6 Depth=1
                                        ; =>  This Inner Loop Header: Depth=2
	v_mov_b32_e32 v30, 0
	s_and_saveexec_b32 s34, s0
	s_cbranch_execz .LBB461_13
; %bb.10:                               ;   in Loop: Header=BB461_9 Depth=2
	v_dual_add_nc_u32 v16, s18, v2 :: v_dual_mov_b32 v30, 0
	s_mov_b32 s35, exec_lo
	s_delay_alu instid0(VALU_DEP_1)
	v_cmpx_gt_u64_e64 s[24:25], v[16:17]
	s_cbranch_execz .LBB461_12
; %bb.11:                               ;   in Loop: Header=BB461_9 Depth=2
	v_mul_u64_e32 v[30:31], s[10:11], v[16:17]
	s_delay_alu instid0(VALU_DEP_1)
	v_lshl_add_u64 v[30:31], v[30:31], 2, v[24:25]
	flat_load_b32 v30, v[30:31]
.LBB461_12:                             ;   in Loop: Header=BB461_9 Depth=2
	s_wait_xcnt 0x0
	s_or_b32 exec_lo, exec_lo, s35
.LBB461_13:                             ;   in Loop: Header=BB461_9 Depth=2
	s_delay_alu instid0(SALU_CYCLE_1)
	s_or_b32 exec_lo, exec_lo, s34
	v_dual_mov_b32 v31, 0 :: v_dual_add_nc_u32 v16, s18, v0
	s_wait_loadcnt_dscnt 0x0
	ds_store_b32 v1, v30
	v_cmp_gt_u64_e32 vcc_lo, s[24:25], v[16:17]
	s_and_b32 s35, vcc_lo, s1
	s_delay_alu instid0(SALU_CYCLE_1)
	s_and_saveexec_b32 s34, s35
	s_cbranch_execz .LBB461_8
; %bb.14:                               ;   in Loop: Header=BB461_9 Depth=2
	v_mul_u64_e32 v[30:31], s[16:17], v[16:17]
	s_delay_alu instid0(VALU_DEP_1)
	v_lshl_add_u64 v[30:31], v[30:31], 2, v[26:27]
	flat_load_b32 v31, v[30:31]
	s_branch .LBB461_8
.LBB461_15:                             ;   in Loop: Header=BB461_6 Depth=1
	s_wait_loadcnt 0x0
	v_add_nc_u64_e32 v[20:21], s[12:13], v[20:21]
	s_delay_alu instid0(VALU_DEP_1)
	v_lshl_add_u64 v[24:25], v[8:9], 2, v[20:21]
	s_wait_xcnt 0x0
	s_and_saveexec_b32 s18, s23
	s_cbranch_execz .LBB461_19
; %bb.16:                               ;   in Loop: Header=BB461_6 Depth=1
	v_mul_f32_e32 v16, s26, v22
	v_lshl_add_u64 v[26:27], v[12:13], 2, v[24:25]
	s_and_b32 vcc_lo, exec_lo, s22
	s_cbranch_vccz .LBB461_30
; %bb.17:                               ;   in Loop: Header=BB461_6 Depth=1
	flat_load_b32 v22, v[26:27]
	s_wait_loadcnt_dscnt 0x0
	v_fma_f32 v22, s27, v22, v16
	flat_store_b32 v[26:27], v22
	s_cbranch_execnz .LBB461_19
.LBB461_18:                             ;   in Loop: Header=BB461_6 Depth=1
	flat_store_b32 v[26:27], v16
.LBB461_19:                             ;   in Loop: Header=BB461_6 Depth=1
	s_wait_xcnt 0x0
	s_or_b32 exec_lo, exec_lo, s18
	s_and_saveexec_b32 s18, s29
	s_cbranch_execz .LBB461_23
; %bb.20:                               ;   in Loop: Header=BB461_6 Depth=1
	v_mul_f32_e32 v16, s26, v23
	v_lshl_add_u64 v[22:23], v[14:15], 2, v[24:25]
	s_and_not1_b32 vcc_lo, exec_lo, s22
	s_cbranch_vccnz .LBB461_31
; %bb.21:                               ;   in Loop: Header=BB461_6 Depth=1
	flat_load_b32 v24, v[22:23]
	s_wait_loadcnt_dscnt 0x0
	v_fma_f32 v24, s27, v24, v16
	flat_store_b32 v[22:23], v24
	s_cbranch_execnz .LBB461_23
.LBB461_22:                             ;   in Loop: Header=BB461_6 Depth=1
	flat_store_b32 v[22:23], v16
.LBB461_23:                             ;   in Loop: Header=BB461_6 Depth=1
	s_wait_xcnt 0x0
	s_or_b32 exec_lo, exec_lo, s18
	v_lshl_add_u64 v[20:21], v[10:11], 2, v[20:21]
	s_and_saveexec_b32 s18, s30
	s_cbranch_execz .LBB461_27
; %bb.24:                               ;   in Loop: Header=BB461_6 Depth=1
	v_mul_f32_e32 v16, s26, v18
	s_delay_alu instid0(VALU_DEP_2)
	v_lshl_add_u64 v[22:23], v[12:13], 2, v[20:21]
	s_and_not1_b32 vcc_lo, exec_lo, s22
	s_cbranch_vccnz .LBB461_32
; %bb.25:                               ;   in Loop: Header=BB461_6 Depth=1
	flat_load_b32 v18, v[22:23]
	s_wait_loadcnt_dscnt 0x0
	v_fma_f32 v18, s27, v18, v16
	flat_store_b32 v[22:23], v18
	s_cbranch_execnz .LBB461_27
.LBB461_26:                             ;   in Loop: Header=BB461_6 Depth=1
	flat_store_b32 v[22:23], v16
.LBB461_27:                             ;   in Loop: Header=BB461_6 Depth=1
	s_wait_xcnt 0x0
	s_or_b32 exec_lo, exec_lo, s18
	s_and_saveexec_b32 s18, s31
	s_cbranch_execz .LBB461_5
; %bb.28:                               ;   in Loop: Header=BB461_6 Depth=1
	v_mul_f32_e32 v16, s26, v19
	v_lshl_add_u64 v[18:19], v[14:15], 2, v[20:21]
	s_and_not1_b32 vcc_lo, exec_lo, s22
	s_cbranch_vccnz .LBB461_33
; %bb.29:                               ;   in Loop: Header=BB461_6 Depth=1
	flat_load_b32 v20, v[18:19]
	s_wait_loadcnt_dscnt 0x0
	v_fma_f32 v20, s27, v20, v16
	flat_store_b32 v[18:19], v20
	s_cbranch_execnz .LBB461_5
	s_branch .LBB461_34
.LBB461_30:                             ;   in Loop: Header=BB461_6 Depth=1
	s_branch .LBB461_18
.LBB461_31:                             ;   in Loop: Header=BB461_6 Depth=1
	s_branch .LBB461_22
.LBB461_32:                             ;   in Loop: Header=BB461_6 Depth=1
	s_branch .LBB461_26
.LBB461_33:                             ;   in Loop: Header=BB461_6 Depth=1
.LBB461_34:                             ;   in Loop: Header=BB461_6 Depth=1
	flat_store_b32 v[18:19], v16
	s_branch .LBB461_5
.LBB461_35:
	s_endpgm
	.section	.rodata,"a",@progbits
	.p2align	6, 0x0
	.amdhsa_kernel _ZL29rocblas_internal_gemmt_kernelIlLi16ELi32ELi8ELc78ELc67ELc76ELb0ELb0EffPKPKfPKPfEviT_T9_T10_S7_lS9_S7_lS8_T11_S7_li
		.amdhsa_group_segment_fixed_size 2048
		.amdhsa_private_segment_fixed_size 0
		.amdhsa_kernarg_size 108
		.amdhsa_user_sgpr_count 2
		.amdhsa_user_sgpr_dispatch_ptr 0
		.amdhsa_user_sgpr_queue_ptr 0
		.amdhsa_user_sgpr_kernarg_segment_ptr 1
		.amdhsa_user_sgpr_dispatch_id 0
		.amdhsa_user_sgpr_kernarg_preload_length 0
		.amdhsa_user_sgpr_kernarg_preload_offset 0
		.amdhsa_user_sgpr_private_segment_size 0
		.amdhsa_wavefront_size32 1
		.amdhsa_uses_dynamic_stack 0
		.amdhsa_enable_private_segment 0
		.amdhsa_system_sgpr_workgroup_id_x 1
		.amdhsa_system_sgpr_workgroup_id_y 1
		.amdhsa_system_sgpr_workgroup_id_z 1
		.amdhsa_system_sgpr_workgroup_info 0
		.amdhsa_system_vgpr_workitem_id 1
		.amdhsa_next_free_vgpr 56
		.amdhsa_next_free_sgpr 37
		.amdhsa_named_barrier_count 0
		.amdhsa_reserve_vcc 1
		.amdhsa_float_round_mode_32 0
		.amdhsa_float_round_mode_16_64 0
		.amdhsa_float_denorm_mode_32 3
		.amdhsa_float_denorm_mode_16_64 3
		.amdhsa_fp16_overflow 0
		.amdhsa_memory_ordered 1
		.amdhsa_forward_progress 1
		.amdhsa_inst_pref_size 14
		.amdhsa_round_robin_scheduling 0
		.amdhsa_exception_fp_ieee_invalid_op 0
		.amdhsa_exception_fp_denorm_src 0
		.amdhsa_exception_fp_ieee_div_zero 0
		.amdhsa_exception_fp_ieee_overflow 0
		.amdhsa_exception_fp_ieee_underflow 0
		.amdhsa_exception_fp_ieee_inexact 0
		.amdhsa_exception_int_div_zero 0
	.end_amdhsa_kernel
	.section	.text._ZL29rocblas_internal_gemmt_kernelIlLi16ELi32ELi8ELc78ELc67ELc76ELb0ELb0EffPKPKfPKPfEviT_T9_T10_S7_lS9_S7_lS8_T11_S7_li,"axG",@progbits,_ZL29rocblas_internal_gemmt_kernelIlLi16ELi32ELi8ELc78ELc67ELc76ELb0ELb0EffPKPKfPKPfEviT_T9_T10_S7_lS9_S7_lS8_T11_S7_li,comdat
.Lfunc_end461:
	.size	_ZL29rocblas_internal_gemmt_kernelIlLi16ELi32ELi8ELc78ELc67ELc76ELb0ELb0EffPKPKfPKPfEviT_T9_T10_S7_lS9_S7_lS8_T11_S7_li, .Lfunc_end461-_ZL29rocblas_internal_gemmt_kernelIlLi16ELi32ELi8ELc78ELc67ELc76ELb0ELb0EffPKPKfPKPfEviT_T9_T10_S7_lS9_S7_lS8_T11_S7_li
                                        ; -- End function
	.set _ZL29rocblas_internal_gemmt_kernelIlLi16ELi32ELi8ELc78ELc67ELc76ELb0ELb0EffPKPKfPKPfEviT_T9_T10_S7_lS9_S7_lS8_T11_S7_li.num_vgpr, 56
	.set _ZL29rocblas_internal_gemmt_kernelIlLi16ELi32ELi8ELc78ELc67ELc76ELb0ELb0EffPKPKfPKPfEviT_T9_T10_S7_lS9_S7_lS8_T11_S7_li.num_agpr, 0
	.set _ZL29rocblas_internal_gemmt_kernelIlLi16ELi32ELi8ELc78ELc67ELc76ELb0ELb0EffPKPKfPKPfEviT_T9_T10_S7_lS9_S7_lS8_T11_S7_li.numbered_sgpr, 37
	.set _ZL29rocblas_internal_gemmt_kernelIlLi16ELi32ELi8ELc78ELc67ELc76ELb0ELb0EffPKPKfPKPfEviT_T9_T10_S7_lS9_S7_lS8_T11_S7_li.num_named_barrier, 0
	.set _ZL29rocblas_internal_gemmt_kernelIlLi16ELi32ELi8ELc78ELc67ELc76ELb0ELb0EffPKPKfPKPfEviT_T9_T10_S7_lS9_S7_lS8_T11_S7_li.private_seg_size, 0
	.set _ZL29rocblas_internal_gemmt_kernelIlLi16ELi32ELi8ELc78ELc67ELc76ELb0ELb0EffPKPKfPKPfEviT_T9_T10_S7_lS9_S7_lS8_T11_S7_li.uses_vcc, 1
	.set _ZL29rocblas_internal_gemmt_kernelIlLi16ELi32ELi8ELc78ELc67ELc76ELb0ELb0EffPKPKfPKPfEviT_T9_T10_S7_lS9_S7_lS8_T11_S7_li.uses_flat_scratch, 0
	.set _ZL29rocblas_internal_gemmt_kernelIlLi16ELi32ELi8ELc78ELc67ELc76ELb0ELb0EffPKPKfPKPfEviT_T9_T10_S7_lS9_S7_lS8_T11_S7_li.has_dyn_sized_stack, 0
	.set _ZL29rocblas_internal_gemmt_kernelIlLi16ELi32ELi8ELc78ELc67ELc76ELb0ELb0EffPKPKfPKPfEviT_T9_T10_S7_lS9_S7_lS8_T11_S7_li.has_recursion, 0
	.set _ZL29rocblas_internal_gemmt_kernelIlLi16ELi32ELi8ELc78ELc67ELc76ELb0ELb0EffPKPKfPKPfEviT_T9_T10_S7_lS9_S7_lS8_T11_S7_li.has_indirect_call, 0
	.section	.AMDGPU.csdata,"",@progbits
; Kernel info:
; codeLenInByte = 1680
; TotalNumSgprs: 39
; NumVgprs: 56
; ScratchSize: 0
; MemoryBound: 0
; FloatMode: 240
; IeeeMode: 1
; LDSByteSize: 2048 bytes/workgroup (compile time only)
; SGPRBlocks: 0
; VGPRBlocks: 3
; NumSGPRsForWavesPerEU: 39
; NumVGPRsForWavesPerEU: 56
; NamedBarCnt: 0
; Occupancy: 16
; WaveLimiterHint : 1
; COMPUTE_PGM_RSRC2:SCRATCH_EN: 0
; COMPUTE_PGM_RSRC2:USER_SGPR: 2
; COMPUTE_PGM_RSRC2:TRAP_HANDLER: 0
; COMPUTE_PGM_RSRC2:TGID_X_EN: 1
; COMPUTE_PGM_RSRC2:TGID_Y_EN: 1
; COMPUTE_PGM_RSRC2:TGID_Z_EN: 1
; COMPUTE_PGM_RSRC2:TIDIG_COMP_CNT: 1
	.section	.text._ZL29rocblas_internal_gemmt_kernelIlLi16ELi32ELi8ELc84ELc78ELc76ELb0ELb0EffPKPKfPKPfEviT_T9_T10_S7_lS9_S7_lS8_T11_S7_li,"axG",@progbits,_ZL29rocblas_internal_gemmt_kernelIlLi16ELi32ELi8ELc84ELc78ELc76ELb0ELb0EffPKPKfPKPfEviT_T9_T10_S7_lS9_S7_lS8_T11_S7_li,comdat
	.globl	_ZL29rocblas_internal_gemmt_kernelIlLi16ELi32ELi8ELc84ELc78ELc76ELb0ELb0EffPKPKfPKPfEviT_T9_T10_S7_lS9_S7_lS8_T11_S7_li ; -- Begin function _ZL29rocblas_internal_gemmt_kernelIlLi16ELi32ELi8ELc84ELc78ELc76ELb0ELb0EffPKPKfPKPfEviT_T9_T10_S7_lS9_S7_lS8_T11_S7_li
	.p2align	8
	.type	_ZL29rocblas_internal_gemmt_kernelIlLi16ELi32ELi8ELc84ELc78ELc76ELb0ELb0EffPKPKfPKPfEviT_T9_T10_S7_lS9_S7_lS8_T11_S7_li,@function
_ZL29rocblas_internal_gemmt_kernelIlLi16ELi32ELi8ELc84ELc78ELc76ELb0ELb0EffPKPKfPKPfEviT_T9_T10_S7_lS9_S7_lS8_T11_S7_li: ; @_ZL29rocblas_internal_gemmt_kernelIlLi16ELi32ELi8ELc84ELc78ELc76ELb0ELb0EffPKPKfPKPfEviT_T9_T10_S7_lS9_S7_lS8_T11_S7_li
; %bb.0:
	s_clause 0x1
	s_load_b32 s23, s[0:1], 0x48
	s_load_b96 s[20:22], s[0:1], 0x8
	s_wait_kmcnt 0x0
	s_cmp_neq_f32 s23, 1.0
	s_cselect_b32 s2, -1, 0
	s_delay_alu instid0(SALU_CYCLE_1)
	s_and_b32 vcc_lo, exec_lo, s2
	s_cbranch_vccnz .LBB462_2
; %bb.1:
	s_cmp_lg_u64 s[20:21], 0
	s_cselect_b32 s2, -1, 0
	s_cmp_neq_f32 s22, 0
	s_cselect_b32 s3, -1, 0
	s_delay_alu instid0(SALU_CYCLE_1)
	s_and_b32 s2, s2, s3
.LBB462_2:
	s_delay_alu instid0(SALU_CYCLE_1)
	s_and_not1_b32 vcc_lo, exec_lo, s2
	s_cbranch_vccnz .LBB462_35
; %bb.3:
	s_load_b32 s26, s[0:1], 0x68
	s_bfe_u32 s2, ttmp6, 0x40014
	s_lshr_b32 s3, ttmp7, 16
	s_add_co_i32 s2, s2, 1
	s_bfe_u32 s5, ttmp6, 0x40008
	s_mul_i32 s4, s3, s2
	s_getreg_b32 s2, hwreg(HW_REG_IB_STS2, 6, 4)
	s_add_co_i32 s5, s5, s4
	s_cmp_eq_u32 s2, 0
	s_mov_b32 s25, 0
	s_cselect_b32 s24, s3, s5
	s_wait_kmcnt 0x0
	s_cmp_ge_u32 s24, s26
	s_cbranch_scc1 .LBB462_35
; %bb.4:
	s_bfe_u32 s3, ttmp6, 0x4000c
	s_bfe_u32 s29, ttmp6, 0x40010
	s_add_co_i32 s3, s3, 1
	s_and_b32 s30, ttmp7, 0xffff
	s_add_co_i32 s29, s29, 1
	v_and_b32_e32 v20, 0x3ff, v0
	v_bfe_u32 v21, v0, 10, 10
	s_and_b32 s28, ttmp6, 15
	s_mul_i32 s3, ttmp9, s3
	s_mul_i32 s29, s30, s29
	s_bfe_u32 s31, ttmp6, 0x40004
	s_add_co_i32 s28, s28, s3
	s_add_co_i32 s31, s31, s29
	s_cmp_eq_u32 s2, 0
	v_lshl_add_u32 v1, v21, 4, v20
	s_clause 0x2
	s_load_b256 s[8:15], s[0:1], 0x18
	s_load_b128 s[4:7], s[0:1], 0x38
	s_load_b128 s[16:19], s[0:1], 0x50
	s_cselect_b32 s3, s30, s31
	s_cselect_b32 s2, ttmp9, s28
	s_lshl_b32 s3, s3, 5
	v_dual_lshrrev_b32 v2, 5, v1 :: v_dual_bitop2_b32 v0, 7, v0 bitop3:0x40
	v_dual_lshrrev_b32 v3, 3, v1 :: v_dual_bitop2_b32 v1, 31, v1 bitop3:0x40
	v_add_nc_u32_e32 v16, s3, v21
	s_lshl_b32 s2, s2, 5
	s_clause 0x1
	s_load_b32 s27, s[0:1], 0x0
	s_load_b64 s[34:35], s[0:1], 0x60
	v_dual_add_nc_u32 v14, s3, v3 :: v_dual_bitop2_b32 v12, s2, v1 bitop3:0x54
	v_dual_add_nc_u32 v18, 16, v16 :: v_dual_ashrrev_i32 v17, 31, v16
	s_delay_alu instid0(VALU_DEP_2) | instskip(NEXT) | instid1(VALU_DEP_2)
	v_dual_lshlrev_b32 v1, 2, v1 :: v_dual_ashrrev_i32 v15, 31, v14
	v_dual_ashrrev_i32 v13, 31, v12 :: v_dual_ashrrev_i32 v19, 31, v18
	s_wait_kmcnt 0x0
	s_delay_alu instid0(VALU_DEP_3)
	v_mul_u64_e32 v[8:9], s[18:19], v[16:17]
	s_cmp_neq_f32 s22, 0
	v_mul_u64_e32 v[6:7], s[4:5], v[14:15]
	v_mul_u64_e32 v[4:5], s[10:11], v[12:13]
	v_lshlrev_b32_e32 v13, 2, v0
	v_mul_u64_e32 v[10:11], s[18:19], v[18:19]
	v_lshlrev_b32_e32 v28, 2, v20
	s_cselect_b32 s30, -1, 0
	s_cmp_neq_f32 s23, 0
	v_lshl_or_b32 v3, v3, 5, v13
	v_cmp_gt_i32_e64 s0, s27, v12
	v_add_nc_u32_e32 v12, s2, v20
	v_cmp_gt_i32_e64 s1, s27, v14
	v_cmp_gt_i64_e64 s10, s[20:21], 0
	s_cselect_b32 s18, -1, 0
	v_lshl_or_b32 v1, v2, 7, v1
	v_dual_add_nc_u32 v14, 16, v12 :: v_dual_ashrrev_i32 v13, 31, v12
	v_cmp_le_i32_e32 vcc_lo, v16, v12
	v_cmp_gt_i32_e64 s2, s27, v12
	v_add_nc_u32_e32 v3, 0x400, v3
	s_delay_alu instid0(VALU_DEP_4)
	v_cmp_le_i32_e64 s3, v16, v14
	v_cmp_gt_i32_e64 s4, s27, v14
	v_cmp_le_i32_e64 s5, v18, v14
	s_and_b32 s19, vcc_lo, s2
	v_cmp_le_i32_e32 vcc_lo, v18, v12
	v_lshl_add_u32 v29, v21, 5, 0x400
	v_dual_ashrrev_i32 v15, 31, v14 :: v_dual_mov_b32 v17, 0
	s_and_b32 s27, s3, s4
	s_and_b32 s28, vcc_lo, s2
	s_and_b32 s29, s5, s4
	s_and_b32 s30, s30, s10
	s_lshl_b64 s[2:3], s[6:7], 2
	s_lshl_b64 s[4:5], s[12:13], 2
	;; [unrolled: 1-line block ×3, first 2 shown]
	s_branch .LBB462_6
.LBB462_5:                              ;   in Loop: Header=BB462_6 Depth=1
	s_wait_xcnt 0x0
	s_or_b32 exec_lo, exec_lo, s10
	s_add_co_i32 s24, s24, 0x10000
	s_delay_alu instid0(SALU_CYCLE_1)
	s_cmp_lt_u32 s24, s26
	s_cbranch_scc0 .LBB462_35
.LBB462_6:                              ; =>This Loop Header: Depth=1
                                        ;     Child Loop BB462_9 Depth 2
	v_dual_mov_b32 v16, s24 :: v_dual_mov_b32 v23, v17
	v_dual_mov_b32 v22, v17 :: v_dual_mov_b32 v19, v17
	v_mov_b32_e32 v18, v17
	global_load_b64 v[20:21], v16, s[16:17] scale_offset
	s_and_not1_b32 vcc_lo, exec_lo, s30
	s_cbranch_vccnz .LBB462_15
; %bb.7:                                ;   in Loop: Header=BB462_6 Depth=1
	s_lshl_b64 s[10:11], s[24:25], 3
	v_mov_b32_e32 v18, 0
	s_add_nc_u64 s[12:13], s[8:9], s[10:11]
	s_add_nc_u64 s[10:11], s[14:15], s[10:11]
	s_clause 0x1
	global_load_b64 v[22:23], v17, s[12:13]
	global_load_b64 v[24:25], v17, s[10:11]
	s_wait_xcnt 0x0
	s_mov_b64 s[10:11], 0
	v_mov_b32_e32 v19, v18
	s_wait_loadcnt 0x1
	v_add_nc_u64_e32 v[26:27], s[4:5], v[22:23]
	s_wait_loadcnt 0x0
	v_add_nc_u64_e32 v[30:31], s[2:3], v[24:25]
	v_dual_mov_b32 v22, v18 :: v_dual_mov_b32 v23, v18
	s_delay_alu instid0(VALU_DEP_3) | instskip(NEXT) | instid1(VALU_DEP_3)
	v_lshl_add_u64 v[24:25], v[4:5], 2, v[26:27]
	v_lshl_add_u64 v[26:27], v[6:7], 2, v[30:31]
	s_branch .LBB462_9
.LBB462_8:                              ;   in Loop: Header=BB462_9 Depth=2
	s_wait_xcnt 0x0
	s_or_b32 exec_lo, exec_lo, s12
	s_wait_loadcnt_dscnt 0x0
	ds_store_b32 v3, v31
	s_wait_dscnt 0x0
	s_barrier_signal -1
	s_barrier_wait -1
	ds_load_b128 v[30:33], v29
	ds_load_2addr_b32 v[46:47], v28 offset1:16
	ds_load_b128 v[34:37], v29 offset:512
	ds_load_2addr_b32 v[48:49], v28 offset0:32 offset1:48
	ds_load_2addr_b32 v[50:51], v28 offset0:64 offset1:80
	;; [unrolled: 1-line block ×3, first 2 shown]
	ds_load_b128 v[38:41], v29 offset:16
	ds_load_2addr_b32 v[54:55], v28 offset0:128 offset1:144
	ds_load_b128 v[42:45], v29 offset:528
	s_add_nc_u64 s[10:11], s[10:11], 8
	s_delay_alu instid0(SALU_CYCLE_1)
	v_cmp_gt_i64_e64 s12, s[20:21], s[10:11]
	s_and_b32 vcc_lo, exec_lo, s12
	s_wait_dscnt 0x8
	v_mov_b32_e32 v16, v33
	s_wait_dscnt 0x7
	v_pk_fma_f32 v[22:23], v[46:47], v[30:31], v[22:23] op_sel_hi:[1,0,1]
	s_wait_dscnt 0x6
	v_pk_fma_f32 v[18:19], v[46:47], v[34:35], v[18:19] op_sel_hi:[1,0,1]
	ds_load_2addr_b32 v[46:47], v28 offset0:160 offset1:176
	s_wait_dscnt 0x6
	v_pk_fma_f32 v[22:23], v[48:49], v[30:31], v[22:23] op_sel:[0,1,0]
	v_pk_fma_f32 v[18:19], v[48:49], v[34:35], v[18:19] op_sel:[0,1,0]
	ds_load_2addr_b32 v[30:31], v28 offset0:192 offset1:208
	v_mov_b32_e32 v34, v37
	s_wait_dscnt 0x6
	v_pk_fma_f32 v[22:23], v[50:51], v[32:33], v[22:23] op_sel_hi:[1,0,1]
	v_pk_fma_f32 v[18:19], v[50:51], v[36:37], v[18:19] op_sel_hi:[1,0,1]
	ds_load_2addr_b32 v[32:33], v28 offset0:224 offset1:240
	s_wait_dscnt 0x0
	s_barrier_signal -1
	v_pk_fma_f32 v[22:23], v[52:53], v[16:17], v[22:23] op_sel_hi:[1,0,1]
	v_pk_fma_f32 v[18:19], v[52:53], v[34:35], v[18:19] op_sel_hi:[1,0,1]
	v_dual_mov_b32 v16, v41 :: v_dual_mov_b32 v34, v45
	s_barrier_wait -1
	s_delay_alu instid0(VALU_DEP_3) | instskip(NEXT) | instid1(VALU_DEP_3)
	v_pk_fma_f32 v[22:23], v[54:55], v[38:39], v[22:23] op_sel_hi:[1,0,1]
	v_pk_fma_f32 v[18:19], v[54:55], v[42:43], v[18:19] op_sel_hi:[1,0,1]
	s_delay_alu instid0(VALU_DEP_2) | instskip(NEXT) | instid1(VALU_DEP_2)
	v_pk_fma_f32 v[22:23], v[46:47], v[38:39], v[22:23] op_sel:[0,1,0]
	v_pk_fma_f32 v[18:19], v[46:47], v[42:43], v[18:19] op_sel:[0,1,0]
	s_delay_alu instid0(VALU_DEP_2) | instskip(NEXT) | instid1(VALU_DEP_2)
	v_pk_fma_f32 v[22:23], v[30:31], v[40:41], v[22:23] op_sel_hi:[1,0,1]
	v_pk_fma_f32 v[18:19], v[30:31], v[44:45], v[18:19] op_sel_hi:[1,0,1]
	s_delay_alu instid0(VALU_DEP_2) | instskip(NEXT) | instid1(VALU_DEP_2)
	v_pk_fma_f32 v[22:23], v[32:33], v[16:17], v[22:23] op_sel_hi:[1,0,1]
	v_pk_fma_f32 v[18:19], v[32:33], v[34:35], v[18:19] op_sel_hi:[1,0,1]
	s_cbranch_vccz .LBB462_15
.LBB462_9:                              ;   Parent Loop BB462_6 Depth=1
                                        ; =>  This Inner Loop Header: Depth=2
	v_mov_b32_e32 v30, 0
	s_and_saveexec_b32 s12, s0
	s_cbranch_execz .LBB462_13
; %bb.10:                               ;   in Loop: Header=BB462_9 Depth=2
	v_dual_add_nc_u32 v16, s10, v2 :: v_dual_mov_b32 v30, 0
	s_mov_b32 s13, exec_lo
	s_delay_alu instid0(VALU_DEP_1)
	v_cmpx_gt_u64_e64 s[20:21], v[16:17]
	s_cbranch_execz .LBB462_12
; %bb.11:                               ;   in Loop: Header=BB462_9 Depth=2
	v_lshl_add_u64 v[30:31], v[16:17], 2, v[24:25]
	flat_load_b32 v30, v[30:31]
.LBB462_12:                             ;   in Loop: Header=BB462_9 Depth=2
	s_wait_xcnt 0x0
	s_or_b32 exec_lo, exec_lo, s13
.LBB462_13:                             ;   in Loop: Header=BB462_9 Depth=2
	s_delay_alu instid0(SALU_CYCLE_1)
	s_or_b32 exec_lo, exec_lo, s12
	v_dual_mov_b32 v31, 0 :: v_dual_add_nc_u32 v16, s10, v0
	s_wait_loadcnt_dscnt 0x0
	ds_store_b32 v1, v30
	v_cmp_gt_u64_e32 vcc_lo, s[20:21], v[16:17]
	s_and_b32 s13, vcc_lo, s1
	s_delay_alu instid0(SALU_CYCLE_1)
	s_and_saveexec_b32 s12, s13
	s_cbranch_execz .LBB462_8
; %bb.14:                               ;   in Loop: Header=BB462_9 Depth=2
	v_lshl_add_u64 v[30:31], v[16:17], 2, v[26:27]
	flat_load_b32 v31, v[30:31]
	s_branch .LBB462_8
.LBB462_15:                             ;   in Loop: Header=BB462_6 Depth=1
	s_wait_loadcnt 0x0
	v_add_nc_u64_e32 v[20:21], s[6:7], v[20:21]
	s_delay_alu instid0(VALU_DEP_1)
	v_lshl_add_u64 v[24:25], v[8:9], 2, v[20:21]
	s_wait_xcnt 0x0
	s_and_saveexec_b32 s10, s19
	s_cbranch_execz .LBB462_19
; %bb.16:                               ;   in Loop: Header=BB462_6 Depth=1
	v_mul_f32_e32 v16, s22, v22
	v_lshl_add_u64 v[26:27], v[12:13], 2, v[24:25]
	s_and_b32 vcc_lo, exec_lo, s18
	s_cbranch_vccz .LBB462_30
; %bb.17:                               ;   in Loop: Header=BB462_6 Depth=1
	flat_load_b32 v22, v[26:27]
	s_wait_loadcnt_dscnt 0x0
	v_fma_f32 v22, s23, v22, v16
	flat_store_b32 v[26:27], v22
	s_cbranch_execnz .LBB462_19
.LBB462_18:                             ;   in Loop: Header=BB462_6 Depth=1
	flat_store_b32 v[26:27], v16
.LBB462_19:                             ;   in Loop: Header=BB462_6 Depth=1
	s_wait_xcnt 0x0
	s_or_b32 exec_lo, exec_lo, s10
	s_and_saveexec_b32 s10, s27
	s_cbranch_execz .LBB462_23
; %bb.20:                               ;   in Loop: Header=BB462_6 Depth=1
	v_mul_f32_e32 v16, s22, v23
	v_lshl_add_u64 v[22:23], v[14:15], 2, v[24:25]
	s_and_not1_b32 vcc_lo, exec_lo, s18
	s_cbranch_vccnz .LBB462_31
; %bb.21:                               ;   in Loop: Header=BB462_6 Depth=1
	flat_load_b32 v24, v[22:23]
	s_wait_loadcnt_dscnt 0x0
	v_fma_f32 v24, s23, v24, v16
	flat_store_b32 v[22:23], v24
	s_cbranch_execnz .LBB462_23
.LBB462_22:                             ;   in Loop: Header=BB462_6 Depth=1
	flat_store_b32 v[22:23], v16
.LBB462_23:                             ;   in Loop: Header=BB462_6 Depth=1
	s_wait_xcnt 0x0
	s_or_b32 exec_lo, exec_lo, s10
	v_lshl_add_u64 v[20:21], v[10:11], 2, v[20:21]
	s_and_saveexec_b32 s10, s28
	s_cbranch_execz .LBB462_27
; %bb.24:                               ;   in Loop: Header=BB462_6 Depth=1
	v_mul_f32_e32 v16, s22, v18
	s_delay_alu instid0(VALU_DEP_2)
	v_lshl_add_u64 v[22:23], v[12:13], 2, v[20:21]
	s_and_not1_b32 vcc_lo, exec_lo, s18
	s_cbranch_vccnz .LBB462_32
; %bb.25:                               ;   in Loop: Header=BB462_6 Depth=1
	flat_load_b32 v18, v[22:23]
	s_wait_loadcnt_dscnt 0x0
	v_fma_f32 v18, s23, v18, v16
	flat_store_b32 v[22:23], v18
	s_cbranch_execnz .LBB462_27
.LBB462_26:                             ;   in Loop: Header=BB462_6 Depth=1
	flat_store_b32 v[22:23], v16
.LBB462_27:                             ;   in Loop: Header=BB462_6 Depth=1
	s_wait_xcnt 0x0
	s_or_b32 exec_lo, exec_lo, s10
	s_and_saveexec_b32 s10, s29
	s_cbranch_execz .LBB462_5
; %bb.28:                               ;   in Loop: Header=BB462_6 Depth=1
	v_mul_f32_e32 v16, s22, v19
	v_lshl_add_u64 v[18:19], v[14:15], 2, v[20:21]
	s_and_not1_b32 vcc_lo, exec_lo, s18
	s_cbranch_vccnz .LBB462_33
; %bb.29:                               ;   in Loop: Header=BB462_6 Depth=1
	flat_load_b32 v20, v[18:19]
	s_wait_loadcnt_dscnt 0x0
	v_fma_f32 v20, s23, v20, v16
	flat_store_b32 v[18:19], v20
	s_cbranch_execnz .LBB462_5
	s_branch .LBB462_34
.LBB462_30:                             ;   in Loop: Header=BB462_6 Depth=1
	s_branch .LBB462_18
.LBB462_31:                             ;   in Loop: Header=BB462_6 Depth=1
	s_branch .LBB462_22
.LBB462_32:                             ;   in Loop: Header=BB462_6 Depth=1
	s_branch .LBB462_26
.LBB462_33:                             ;   in Loop: Header=BB462_6 Depth=1
.LBB462_34:                             ;   in Loop: Header=BB462_6 Depth=1
	flat_store_b32 v[18:19], v16
	s_branch .LBB462_5
.LBB462_35:
	s_endpgm
	.section	.rodata,"a",@progbits
	.p2align	6, 0x0
	.amdhsa_kernel _ZL29rocblas_internal_gemmt_kernelIlLi16ELi32ELi8ELc84ELc78ELc76ELb0ELb0EffPKPKfPKPfEviT_T9_T10_S7_lS9_S7_lS8_T11_S7_li
		.amdhsa_group_segment_fixed_size 2048
		.amdhsa_private_segment_fixed_size 0
		.amdhsa_kernarg_size 108
		.amdhsa_user_sgpr_count 2
		.amdhsa_user_sgpr_dispatch_ptr 0
		.amdhsa_user_sgpr_queue_ptr 0
		.amdhsa_user_sgpr_kernarg_segment_ptr 1
		.amdhsa_user_sgpr_dispatch_id 0
		.amdhsa_user_sgpr_kernarg_preload_length 0
		.amdhsa_user_sgpr_kernarg_preload_offset 0
		.amdhsa_user_sgpr_private_segment_size 0
		.amdhsa_wavefront_size32 1
		.amdhsa_uses_dynamic_stack 0
		.amdhsa_enable_private_segment 0
		.amdhsa_system_sgpr_workgroup_id_x 1
		.amdhsa_system_sgpr_workgroup_id_y 1
		.amdhsa_system_sgpr_workgroup_id_z 1
		.amdhsa_system_sgpr_workgroup_info 0
		.amdhsa_system_vgpr_workitem_id 1
		.amdhsa_next_free_vgpr 56
		.amdhsa_next_free_sgpr 36
		.amdhsa_named_barrier_count 0
		.amdhsa_reserve_vcc 1
		.amdhsa_float_round_mode_32 0
		.amdhsa_float_round_mode_16_64 0
		.amdhsa_float_denorm_mode_32 3
		.amdhsa_float_denorm_mode_16_64 3
		.amdhsa_fp16_overflow 0
		.amdhsa_memory_ordered 1
		.amdhsa_forward_progress 1
		.amdhsa_inst_pref_size 13
		.amdhsa_round_robin_scheduling 0
		.amdhsa_exception_fp_ieee_invalid_op 0
		.amdhsa_exception_fp_denorm_src 0
		.amdhsa_exception_fp_ieee_div_zero 0
		.amdhsa_exception_fp_ieee_overflow 0
		.amdhsa_exception_fp_ieee_underflow 0
		.amdhsa_exception_fp_ieee_inexact 0
		.amdhsa_exception_int_div_zero 0
	.end_amdhsa_kernel
	.section	.text._ZL29rocblas_internal_gemmt_kernelIlLi16ELi32ELi8ELc84ELc78ELc76ELb0ELb0EffPKPKfPKPfEviT_T9_T10_S7_lS9_S7_lS8_T11_S7_li,"axG",@progbits,_ZL29rocblas_internal_gemmt_kernelIlLi16ELi32ELi8ELc84ELc78ELc76ELb0ELb0EffPKPKfPKPfEviT_T9_T10_S7_lS9_S7_lS8_T11_S7_li,comdat
.Lfunc_end462:
	.size	_ZL29rocblas_internal_gemmt_kernelIlLi16ELi32ELi8ELc84ELc78ELc76ELb0ELb0EffPKPKfPKPfEviT_T9_T10_S7_lS9_S7_lS8_T11_S7_li, .Lfunc_end462-_ZL29rocblas_internal_gemmt_kernelIlLi16ELi32ELi8ELc84ELc78ELc76ELb0ELb0EffPKPKfPKPfEviT_T9_T10_S7_lS9_S7_lS8_T11_S7_li
                                        ; -- End function
	.set _ZL29rocblas_internal_gemmt_kernelIlLi16ELi32ELi8ELc84ELc78ELc76ELb0ELb0EffPKPKfPKPfEviT_T9_T10_S7_lS9_S7_lS8_T11_S7_li.num_vgpr, 56
	.set _ZL29rocblas_internal_gemmt_kernelIlLi16ELi32ELi8ELc84ELc78ELc76ELb0ELb0EffPKPKfPKPfEviT_T9_T10_S7_lS9_S7_lS8_T11_S7_li.num_agpr, 0
	.set _ZL29rocblas_internal_gemmt_kernelIlLi16ELi32ELi8ELc84ELc78ELc76ELb0ELb0EffPKPKfPKPfEviT_T9_T10_S7_lS9_S7_lS8_T11_S7_li.numbered_sgpr, 36
	.set _ZL29rocblas_internal_gemmt_kernelIlLi16ELi32ELi8ELc84ELc78ELc76ELb0ELb0EffPKPKfPKPfEviT_T9_T10_S7_lS9_S7_lS8_T11_S7_li.num_named_barrier, 0
	.set _ZL29rocblas_internal_gemmt_kernelIlLi16ELi32ELi8ELc84ELc78ELc76ELb0ELb0EffPKPKfPKPfEviT_T9_T10_S7_lS9_S7_lS8_T11_S7_li.private_seg_size, 0
	.set _ZL29rocblas_internal_gemmt_kernelIlLi16ELi32ELi8ELc84ELc78ELc76ELb0ELb0EffPKPKfPKPfEviT_T9_T10_S7_lS9_S7_lS8_T11_S7_li.uses_vcc, 1
	.set _ZL29rocblas_internal_gemmt_kernelIlLi16ELi32ELi8ELc84ELc78ELc76ELb0ELb0EffPKPKfPKPfEviT_T9_T10_S7_lS9_S7_lS8_T11_S7_li.uses_flat_scratch, 0
	.set _ZL29rocblas_internal_gemmt_kernelIlLi16ELi32ELi8ELc84ELc78ELc76ELb0ELb0EffPKPKfPKPfEviT_T9_T10_S7_lS9_S7_lS8_T11_S7_li.has_dyn_sized_stack, 0
	.set _ZL29rocblas_internal_gemmt_kernelIlLi16ELi32ELi8ELc84ELc78ELc76ELb0ELb0EffPKPKfPKPfEviT_T9_T10_S7_lS9_S7_lS8_T11_S7_li.has_recursion, 0
	.set _ZL29rocblas_internal_gemmt_kernelIlLi16ELi32ELi8ELc84ELc78ELc76ELb0ELb0EffPKPKfPKPfEviT_T9_T10_S7_lS9_S7_lS8_T11_S7_li.has_indirect_call, 0
	.section	.AMDGPU.csdata,"",@progbits
; Kernel info:
; codeLenInByte = 1664
; TotalNumSgprs: 38
; NumVgprs: 56
; ScratchSize: 0
; MemoryBound: 0
; FloatMode: 240
; IeeeMode: 1
; LDSByteSize: 2048 bytes/workgroup (compile time only)
; SGPRBlocks: 0
; VGPRBlocks: 3
; NumSGPRsForWavesPerEU: 38
; NumVGPRsForWavesPerEU: 56
; NamedBarCnt: 0
; Occupancy: 16
; WaveLimiterHint : 1
; COMPUTE_PGM_RSRC2:SCRATCH_EN: 0
; COMPUTE_PGM_RSRC2:USER_SGPR: 2
; COMPUTE_PGM_RSRC2:TRAP_HANDLER: 0
; COMPUTE_PGM_RSRC2:TGID_X_EN: 1
; COMPUTE_PGM_RSRC2:TGID_Y_EN: 1
; COMPUTE_PGM_RSRC2:TGID_Z_EN: 1
; COMPUTE_PGM_RSRC2:TIDIG_COMP_CNT: 1
	.section	.text._ZL29rocblas_internal_gemmt_kernelIlLi16ELi32ELi8ELc84ELc84ELc76ELb0ELb0EffPKPKfPKPfEviT_T9_T10_S7_lS9_S7_lS8_T11_S7_li,"axG",@progbits,_ZL29rocblas_internal_gemmt_kernelIlLi16ELi32ELi8ELc84ELc84ELc76ELb0ELb0EffPKPKfPKPfEviT_T9_T10_S7_lS9_S7_lS8_T11_S7_li,comdat
	.globl	_ZL29rocblas_internal_gemmt_kernelIlLi16ELi32ELi8ELc84ELc84ELc76ELb0ELb0EffPKPKfPKPfEviT_T9_T10_S7_lS9_S7_lS8_T11_S7_li ; -- Begin function _ZL29rocblas_internal_gemmt_kernelIlLi16ELi32ELi8ELc84ELc84ELc76ELb0ELb0EffPKPKfPKPfEviT_T9_T10_S7_lS9_S7_lS8_T11_S7_li
	.p2align	8
	.type	_ZL29rocblas_internal_gemmt_kernelIlLi16ELi32ELi8ELc84ELc84ELc76ELb0ELb0EffPKPKfPKPfEviT_T9_T10_S7_lS9_S7_lS8_T11_S7_li,@function
_ZL29rocblas_internal_gemmt_kernelIlLi16ELi32ELi8ELc84ELc84ELc76ELb0ELb0EffPKPKfPKPfEviT_T9_T10_S7_lS9_S7_lS8_T11_S7_li: ; @_ZL29rocblas_internal_gemmt_kernelIlLi16ELi32ELi8ELc84ELc84ELc76ELb0ELb0EffPKPKfPKPfEviT_T9_T10_S7_lS9_S7_lS8_T11_S7_li
; %bb.0:
	s_clause 0x1
	s_load_b32 s27, s[0:1], 0x48
	s_load_b96 s[24:26], s[0:1], 0x8
	s_wait_kmcnt 0x0
	s_cmp_neq_f32 s27, 1.0
	s_cselect_b32 s2, -1, 0
	s_delay_alu instid0(SALU_CYCLE_1)
	s_and_b32 vcc_lo, exec_lo, s2
	s_cbranch_vccnz .LBB463_2
; %bb.1:
	s_cmp_lg_u64 s[24:25], 0
	s_cselect_b32 s2, -1, 0
	s_cmp_neq_f32 s26, 0
	s_cselect_b32 s3, -1, 0
	s_delay_alu instid0(SALU_CYCLE_1)
	s_and_b32 s2, s2, s3
.LBB463_2:
	s_delay_alu instid0(SALU_CYCLE_1)
	s_and_not1_b32 vcc_lo, exec_lo, s2
	s_cbranch_vccnz .LBB463_35
; %bb.3:
	s_load_b32 s30, s[0:1], 0x68
	s_bfe_u32 s2, ttmp6, 0x40014
	s_lshr_b32 s3, ttmp7, 16
	s_add_co_i32 s2, s2, 1
	s_bfe_u32 s5, ttmp6, 0x40008
	s_mul_i32 s4, s3, s2
	s_getreg_b32 s2, hwreg(HW_REG_IB_STS2, 6, 4)
	s_add_co_i32 s5, s5, s4
	s_cmp_eq_u32 s2, 0
	s_mov_b32 s7, 0
	s_cselect_b32 s6, s3, s5
	s_wait_kmcnt 0x0
	s_cmp_ge_u32 s6, s30
	s_cbranch_scc1 .LBB463_35
; %bb.4:
	s_clause 0x4
	s_load_b32 s4, s[0:1], 0x0
	s_load_b256 s[8:15], s[0:1], 0x18
	s_load_b64 s[28:29], s[0:1], 0x60
	s_load_b128 s[16:19], s[0:1], 0x38
	s_load_b128 s[20:23], s[0:1], 0x50
	s_wait_xcnt 0x0
	s_bfe_u32 s0, ttmp6, 0x4000c
	s_bfe_u32 s3, ttmp6, 0x40010
	s_add_co_i32 s0, s0, 1
	s_and_b32 s5, ttmp7, 0xffff
	s_add_co_i32 s3, s3, 1
	v_and_b32_e32 v14, 0x3ff, v0
	v_bfe_u32 v15, v0, 10, 10
	s_and_b32 s1, ttmp6, 15
	s_mul_i32 s0, ttmp9, s0
	s_mul_i32 s3, s5, s3
	s_bfe_u32 s31, ttmp6, 0x40004
	s_add_co_i32 s1, s1, s0
	s_add_co_i32 s31, s31, s3
	s_cmp_eq_u32 s2, 0
	v_lshl_add_u32 v1, v15, 4, v14
	s_cselect_b32 s0, s5, s31
	s_cselect_b32 s1, ttmp9, s1
	s_lshl_b32 s0, s0, 5
	s_delay_alu instid0(VALU_DEP_1) | instskip(SKIP_3) | instid1(VALU_DEP_3)
	v_dual_lshrrev_b32 v2, 5, v1 :: v_dual_bitop2_b32 v0, 7, v0 bitop3:0x40
	v_dual_lshrrev_b32 v1, 3, v1 :: v_dual_bitop2_b32 v3, 31, v1 bitop3:0x40
	v_add_nc_u32_e32 v16, s0, v15
	s_lshl_b32 s2, s1, 5
	v_lshlrev_b32_e32 v5, 2, v0
	s_cmp_neq_f32 s26, 0
	v_dual_add_nc_u32 v4, s0, v1 :: v_dual_bitop2_b32 v12, s2, v3 bitop3:0x54
	v_dual_add_nc_u32 v18, 16, v16 :: v_dual_ashrrev_i32 v17, 31, v16
	v_dual_lshlrev_b32 v3, 2, v3 :: v_dual_lshlrev_b32 v28, 2, v14
	s_delay_alu instid0(VALU_DEP_2) | instskip(SKIP_1) | instid1(VALU_DEP_3)
	v_dual_ashrrev_i32 v13, 31, v12 :: v_dual_ashrrev_i32 v19, 31, v18
	s_wait_kmcnt 0x0
	v_mul_u64_e32 v[8:9], s[22:23], v[16:17]
	v_cmp_gt_i32_e64 s0, s4, v12
	s_cselect_b32 s35, -1, 0
	v_mul_u64_e32 v[6:7], s[10:11], v[12:13]
	v_mul_u64_e32 v[10:11], s[22:23], v[18:19]
	v_add_nc_u32_e32 v12, s2, v14
	v_lshl_or_b32 v5, v1, 5, v5
	v_lshl_or_b32 v1, v2, 7, v3
	s_cmp_neq_f32 s27, 0
	v_cmp_gt_i64_e64 s36, s[24:25], 0
	v_dual_add_nc_u32 v14, 16, v12 :: v_dual_ashrrev_i32 v13, 31, v12
	v_add_nc_u32_e32 v3, 0x400, v5
	v_ashrrev_i32_e32 v5, 31, v4
	v_cmp_le_i32_e32 vcc_lo, v16, v12
	v_cmp_gt_i32_e64 s2, s4, v12
	v_cmp_gt_i32_e64 s1, s4, v4
	s_cselect_b32 s22, -1, 0
	v_cmp_le_i32_e64 s3, v16, v14
	v_cmp_gt_i32_e64 s4, s4, v14
	s_and_b32 s23, vcc_lo, s2
	v_cmp_le_i32_e32 vcc_lo, v18, v12
	v_cmp_le_i32_e64 s5, v18, v14
	v_lshl_add_u32 v29, v15, 5, 0x400
	v_dual_ashrrev_i32 v15, 31, v14 :: v_dual_mov_b32 v17, 0
	s_and_b32 s31, s3, s4
	s_and_b32 s33, vcc_lo, s2
	s_and_b32 s34, s5, s4
	s_and_b32 s35, s35, s36
	s_lshl_b64 s[2:3], s[18:19], 2
	s_lshl_b64 s[4:5], s[12:13], 2
	s_lshl_b64 s[10:11], s[28:29], 2
	s_branch .LBB463_6
.LBB463_5:                              ;   in Loop: Header=BB463_6 Depth=1
	s_wait_xcnt 0x0
	s_or_b32 exec_lo, exec_lo, s12
	s_add_co_i32 s6, s6, 0x10000
	s_delay_alu instid0(SALU_CYCLE_1)
	s_cmp_lt_u32 s6, s30
	s_cbranch_scc0 .LBB463_35
.LBB463_6:                              ; =>This Loop Header: Depth=1
                                        ;     Child Loop BB463_9 Depth 2
	v_dual_mov_b32 v16, s6 :: v_dual_mov_b32 v23, v17
	v_dual_mov_b32 v22, v17 :: v_dual_mov_b32 v19, v17
	v_mov_b32_e32 v18, v17
	global_load_b64 v[20:21], v16, s[20:21] scale_offset
	s_and_not1_b32 vcc_lo, exec_lo, s35
	s_cbranch_vccnz .LBB463_15
; %bb.7:                                ;   in Loop: Header=BB463_6 Depth=1
	s_lshl_b64 s[12:13], s[6:7], 3
	v_mov_b32_e32 v18, 0
	s_add_nc_u64 s[18:19], s[8:9], s[12:13]
	s_add_nc_u64 s[12:13], s[14:15], s[12:13]
	s_clause 0x1
	global_load_b64 v[22:23], v17, s[18:19]
	global_load_b64 v[24:25], v17, s[12:13]
	s_wait_xcnt 0x0
	s_mov_b64 s[12:13], 0
	v_mov_b32_e32 v19, v18
	s_wait_loadcnt 0x1
	v_add_nc_u64_e32 v[26:27], s[4:5], v[22:23]
	s_wait_loadcnt 0x0
	v_add_nc_u64_e32 v[30:31], s[2:3], v[24:25]
	v_dual_mov_b32 v22, v18 :: v_dual_mov_b32 v23, v18
	s_delay_alu instid0(VALU_DEP_3) | instskip(NEXT) | instid1(VALU_DEP_3)
	v_lshl_add_u64 v[24:25], v[6:7], 2, v[26:27]
	v_lshl_add_u64 v[26:27], v[4:5], 2, v[30:31]
	s_branch .LBB463_9
.LBB463_8:                              ;   in Loop: Header=BB463_9 Depth=2
	s_wait_xcnt 0x0
	s_or_b32 exec_lo, exec_lo, s18
	s_wait_loadcnt_dscnt 0x0
	ds_store_b32 v3, v31
	s_wait_dscnt 0x0
	s_barrier_signal -1
	s_barrier_wait -1
	ds_load_b128 v[30:33], v29
	ds_load_2addr_b32 v[46:47], v28 offset1:16
	ds_load_b128 v[34:37], v29 offset:512
	ds_load_2addr_b32 v[48:49], v28 offset0:32 offset1:48
	ds_load_2addr_b32 v[50:51], v28 offset0:64 offset1:80
	;; [unrolled: 1-line block ×3, first 2 shown]
	ds_load_b128 v[38:41], v29 offset:16
	ds_load_2addr_b32 v[54:55], v28 offset0:128 offset1:144
	ds_load_b128 v[42:45], v29 offset:528
	s_add_nc_u64 s[12:13], s[12:13], 8
	s_delay_alu instid0(SALU_CYCLE_1)
	v_cmp_gt_i64_e64 s18, s[24:25], s[12:13]
	s_and_b32 vcc_lo, exec_lo, s18
	s_wait_dscnt 0x8
	v_mov_b32_e32 v16, v33
	s_wait_dscnt 0x7
	v_pk_fma_f32 v[22:23], v[46:47], v[30:31], v[22:23] op_sel_hi:[1,0,1]
	s_wait_dscnt 0x6
	v_pk_fma_f32 v[18:19], v[46:47], v[34:35], v[18:19] op_sel_hi:[1,0,1]
	ds_load_2addr_b32 v[46:47], v28 offset0:160 offset1:176
	s_wait_dscnt 0x6
	v_pk_fma_f32 v[22:23], v[48:49], v[30:31], v[22:23] op_sel:[0,1,0]
	v_pk_fma_f32 v[18:19], v[48:49], v[34:35], v[18:19] op_sel:[0,1,0]
	ds_load_2addr_b32 v[30:31], v28 offset0:192 offset1:208
	v_mov_b32_e32 v34, v37
	s_wait_dscnt 0x6
	v_pk_fma_f32 v[22:23], v[50:51], v[32:33], v[22:23] op_sel_hi:[1,0,1]
	v_pk_fma_f32 v[18:19], v[50:51], v[36:37], v[18:19] op_sel_hi:[1,0,1]
	ds_load_2addr_b32 v[32:33], v28 offset0:224 offset1:240
	s_wait_dscnt 0x0
	s_barrier_signal -1
	v_pk_fma_f32 v[22:23], v[52:53], v[16:17], v[22:23] op_sel_hi:[1,0,1]
	v_pk_fma_f32 v[18:19], v[52:53], v[34:35], v[18:19] op_sel_hi:[1,0,1]
	v_dual_mov_b32 v16, v41 :: v_dual_mov_b32 v34, v45
	s_barrier_wait -1
	s_delay_alu instid0(VALU_DEP_3) | instskip(NEXT) | instid1(VALU_DEP_3)
	v_pk_fma_f32 v[22:23], v[54:55], v[38:39], v[22:23] op_sel_hi:[1,0,1]
	v_pk_fma_f32 v[18:19], v[54:55], v[42:43], v[18:19] op_sel_hi:[1,0,1]
	s_delay_alu instid0(VALU_DEP_2) | instskip(NEXT) | instid1(VALU_DEP_2)
	v_pk_fma_f32 v[22:23], v[46:47], v[38:39], v[22:23] op_sel:[0,1,0]
	v_pk_fma_f32 v[18:19], v[46:47], v[42:43], v[18:19] op_sel:[0,1,0]
	s_delay_alu instid0(VALU_DEP_2) | instskip(NEXT) | instid1(VALU_DEP_2)
	v_pk_fma_f32 v[22:23], v[30:31], v[40:41], v[22:23] op_sel_hi:[1,0,1]
	v_pk_fma_f32 v[18:19], v[30:31], v[44:45], v[18:19] op_sel_hi:[1,0,1]
	s_delay_alu instid0(VALU_DEP_2) | instskip(NEXT) | instid1(VALU_DEP_2)
	v_pk_fma_f32 v[22:23], v[32:33], v[16:17], v[22:23] op_sel_hi:[1,0,1]
	v_pk_fma_f32 v[18:19], v[32:33], v[34:35], v[18:19] op_sel_hi:[1,0,1]
	s_cbranch_vccz .LBB463_15
.LBB463_9:                              ;   Parent Loop BB463_6 Depth=1
                                        ; =>  This Inner Loop Header: Depth=2
	v_mov_b32_e32 v30, 0
	s_and_saveexec_b32 s18, s0
	s_cbranch_execz .LBB463_13
; %bb.10:                               ;   in Loop: Header=BB463_9 Depth=2
	v_dual_add_nc_u32 v16, s12, v2 :: v_dual_mov_b32 v30, 0
	s_mov_b32 s19, exec_lo
	s_delay_alu instid0(VALU_DEP_1)
	v_cmpx_gt_u64_e64 s[24:25], v[16:17]
	s_cbranch_execz .LBB463_12
; %bb.11:                               ;   in Loop: Header=BB463_9 Depth=2
	v_lshl_add_u64 v[30:31], v[16:17], 2, v[24:25]
	flat_load_b32 v30, v[30:31]
.LBB463_12:                             ;   in Loop: Header=BB463_9 Depth=2
	s_wait_xcnt 0x0
	s_or_b32 exec_lo, exec_lo, s19
.LBB463_13:                             ;   in Loop: Header=BB463_9 Depth=2
	s_delay_alu instid0(SALU_CYCLE_1)
	s_or_b32 exec_lo, exec_lo, s18
	v_dual_mov_b32 v31, 0 :: v_dual_add_nc_u32 v16, s12, v0
	s_wait_loadcnt_dscnt 0x0
	ds_store_b32 v1, v30
	v_cmp_gt_u64_e32 vcc_lo, s[24:25], v[16:17]
	s_and_b32 s19, vcc_lo, s1
	s_delay_alu instid0(SALU_CYCLE_1)
	s_and_saveexec_b32 s18, s19
	s_cbranch_execz .LBB463_8
; %bb.14:                               ;   in Loop: Header=BB463_9 Depth=2
	v_mul_u64_e32 v[30:31], s[16:17], v[16:17]
	s_delay_alu instid0(VALU_DEP_1)
	v_lshl_add_u64 v[30:31], v[30:31], 2, v[26:27]
	flat_load_b32 v31, v[30:31]
	s_branch .LBB463_8
.LBB463_15:                             ;   in Loop: Header=BB463_6 Depth=1
	s_wait_loadcnt 0x0
	v_add_nc_u64_e32 v[20:21], s[10:11], v[20:21]
	s_delay_alu instid0(VALU_DEP_1)
	v_lshl_add_u64 v[24:25], v[8:9], 2, v[20:21]
	s_wait_xcnt 0x0
	s_and_saveexec_b32 s12, s23
	s_cbranch_execz .LBB463_19
; %bb.16:                               ;   in Loop: Header=BB463_6 Depth=1
	v_mul_f32_e32 v16, s26, v22
	v_lshl_add_u64 v[26:27], v[12:13], 2, v[24:25]
	s_and_b32 vcc_lo, exec_lo, s22
	s_cbranch_vccz .LBB463_30
; %bb.17:                               ;   in Loop: Header=BB463_6 Depth=1
	flat_load_b32 v22, v[26:27]
	s_wait_loadcnt_dscnt 0x0
	v_fma_f32 v22, s27, v22, v16
	flat_store_b32 v[26:27], v22
	s_cbranch_execnz .LBB463_19
.LBB463_18:                             ;   in Loop: Header=BB463_6 Depth=1
	flat_store_b32 v[26:27], v16
.LBB463_19:                             ;   in Loop: Header=BB463_6 Depth=1
	s_wait_xcnt 0x0
	s_or_b32 exec_lo, exec_lo, s12
	s_and_saveexec_b32 s12, s31
	s_cbranch_execz .LBB463_23
; %bb.20:                               ;   in Loop: Header=BB463_6 Depth=1
	v_mul_f32_e32 v16, s26, v23
	v_lshl_add_u64 v[22:23], v[14:15], 2, v[24:25]
	s_and_not1_b32 vcc_lo, exec_lo, s22
	s_cbranch_vccnz .LBB463_31
; %bb.21:                               ;   in Loop: Header=BB463_6 Depth=1
	flat_load_b32 v24, v[22:23]
	s_wait_loadcnt_dscnt 0x0
	v_fma_f32 v24, s27, v24, v16
	flat_store_b32 v[22:23], v24
	s_cbranch_execnz .LBB463_23
.LBB463_22:                             ;   in Loop: Header=BB463_6 Depth=1
	flat_store_b32 v[22:23], v16
.LBB463_23:                             ;   in Loop: Header=BB463_6 Depth=1
	s_wait_xcnt 0x0
	s_or_b32 exec_lo, exec_lo, s12
	v_lshl_add_u64 v[20:21], v[10:11], 2, v[20:21]
	s_and_saveexec_b32 s12, s33
	s_cbranch_execz .LBB463_27
; %bb.24:                               ;   in Loop: Header=BB463_6 Depth=1
	v_mul_f32_e32 v16, s26, v18
	s_delay_alu instid0(VALU_DEP_2)
	v_lshl_add_u64 v[22:23], v[12:13], 2, v[20:21]
	s_and_not1_b32 vcc_lo, exec_lo, s22
	s_cbranch_vccnz .LBB463_32
; %bb.25:                               ;   in Loop: Header=BB463_6 Depth=1
	flat_load_b32 v18, v[22:23]
	s_wait_loadcnt_dscnt 0x0
	v_fma_f32 v18, s27, v18, v16
	flat_store_b32 v[22:23], v18
	s_cbranch_execnz .LBB463_27
.LBB463_26:                             ;   in Loop: Header=BB463_6 Depth=1
	flat_store_b32 v[22:23], v16
.LBB463_27:                             ;   in Loop: Header=BB463_6 Depth=1
	s_wait_xcnt 0x0
	s_or_b32 exec_lo, exec_lo, s12
	s_and_saveexec_b32 s12, s34
	s_cbranch_execz .LBB463_5
; %bb.28:                               ;   in Loop: Header=BB463_6 Depth=1
	v_mul_f32_e32 v16, s26, v19
	v_lshl_add_u64 v[18:19], v[14:15], 2, v[20:21]
	s_and_not1_b32 vcc_lo, exec_lo, s22
	s_cbranch_vccnz .LBB463_33
; %bb.29:                               ;   in Loop: Header=BB463_6 Depth=1
	flat_load_b32 v20, v[18:19]
	s_wait_loadcnt_dscnt 0x0
	v_fma_f32 v20, s27, v20, v16
	flat_store_b32 v[18:19], v20
	s_cbranch_execnz .LBB463_5
	s_branch .LBB463_34
.LBB463_30:                             ;   in Loop: Header=BB463_6 Depth=1
	s_branch .LBB463_18
.LBB463_31:                             ;   in Loop: Header=BB463_6 Depth=1
	s_branch .LBB463_22
.LBB463_32:                             ;   in Loop: Header=BB463_6 Depth=1
	s_branch .LBB463_26
.LBB463_33:                             ;   in Loop: Header=BB463_6 Depth=1
.LBB463_34:                             ;   in Loop: Header=BB463_6 Depth=1
	flat_store_b32 v[18:19], v16
	s_branch .LBB463_5
.LBB463_35:
	s_endpgm
	.section	.rodata,"a",@progbits
	.p2align	6, 0x0
	.amdhsa_kernel _ZL29rocblas_internal_gemmt_kernelIlLi16ELi32ELi8ELc84ELc84ELc76ELb0ELb0EffPKPKfPKPfEviT_T9_T10_S7_lS9_S7_lS8_T11_S7_li
		.amdhsa_group_segment_fixed_size 2048
		.amdhsa_private_segment_fixed_size 0
		.amdhsa_kernarg_size 108
		.amdhsa_user_sgpr_count 2
		.amdhsa_user_sgpr_dispatch_ptr 0
		.amdhsa_user_sgpr_queue_ptr 0
		.amdhsa_user_sgpr_kernarg_segment_ptr 1
		.amdhsa_user_sgpr_dispatch_id 0
		.amdhsa_user_sgpr_kernarg_preload_length 0
		.amdhsa_user_sgpr_kernarg_preload_offset 0
		.amdhsa_user_sgpr_private_segment_size 0
		.amdhsa_wavefront_size32 1
		.amdhsa_uses_dynamic_stack 0
		.amdhsa_enable_private_segment 0
		.amdhsa_system_sgpr_workgroup_id_x 1
		.amdhsa_system_sgpr_workgroup_id_y 1
		.amdhsa_system_sgpr_workgroup_id_z 1
		.amdhsa_system_sgpr_workgroup_info 0
		.amdhsa_system_vgpr_workitem_id 1
		.amdhsa_next_free_vgpr 56
		.amdhsa_next_free_sgpr 37
		.amdhsa_named_barrier_count 0
		.amdhsa_reserve_vcc 1
		.amdhsa_float_round_mode_32 0
		.amdhsa_float_round_mode_16_64 0
		.amdhsa_float_denorm_mode_32 3
		.amdhsa_float_denorm_mode_16_64 3
		.amdhsa_fp16_overflow 0
		.amdhsa_memory_ordered 1
		.amdhsa_forward_progress 1
		.amdhsa_inst_pref_size 13
		.amdhsa_round_robin_scheduling 0
		.amdhsa_exception_fp_ieee_invalid_op 0
		.amdhsa_exception_fp_denorm_src 0
		.amdhsa_exception_fp_ieee_div_zero 0
		.amdhsa_exception_fp_ieee_overflow 0
		.amdhsa_exception_fp_ieee_underflow 0
		.amdhsa_exception_fp_ieee_inexact 0
		.amdhsa_exception_int_div_zero 0
	.end_amdhsa_kernel
	.section	.text._ZL29rocblas_internal_gemmt_kernelIlLi16ELi32ELi8ELc84ELc84ELc76ELb0ELb0EffPKPKfPKPfEviT_T9_T10_S7_lS9_S7_lS8_T11_S7_li,"axG",@progbits,_ZL29rocblas_internal_gemmt_kernelIlLi16ELi32ELi8ELc84ELc84ELc76ELb0ELb0EffPKPKfPKPfEviT_T9_T10_S7_lS9_S7_lS8_T11_S7_li,comdat
.Lfunc_end463:
	.size	_ZL29rocblas_internal_gemmt_kernelIlLi16ELi32ELi8ELc84ELc84ELc76ELb0ELb0EffPKPKfPKPfEviT_T9_T10_S7_lS9_S7_lS8_T11_S7_li, .Lfunc_end463-_ZL29rocblas_internal_gemmt_kernelIlLi16ELi32ELi8ELc84ELc84ELc76ELb0ELb0EffPKPKfPKPfEviT_T9_T10_S7_lS9_S7_lS8_T11_S7_li
                                        ; -- End function
	.set _ZL29rocblas_internal_gemmt_kernelIlLi16ELi32ELi8ELc84ELc84ELc76ELb0ELb0EffPKPKfPKPfEviT_T9_T10_S7_lS9_S7_lS8_T11_S7_li.num_vgpr, 56
	.set _ZL29rocblas_internal_gemmt_kernelIlLi16ELi32ELi8ELc84ELc84ELc76ELb0ELb0EffPKPKfPKPfEviT_T9_T10_S7_lS9_S7_lS8_T11_S7_li.num_agpr, 0
	.set _ZL29rocblas_internal_gemmt_kernelIlLi16ELi32ELi8ELc84ELc84ELc76ELb0ELb0EffPKPKfPKPfEviT_T9_T10_S7_lS9_S7_lS8_T11_S7_li.numbered_sgpr, 37
	.set _ZL29rocblas_internal_gemmt_kernelIlLi16ELi32ELi8ELc84ELc84ELc76ELb0ELb0EffPKPKfPKPfEviT_T9_T10_S7_lS9_S7_lS8_T11_S7_li.num_named_barrier, 0
	.set _ZL29rocblas_internal_gemmt_kernelIlLi16ELi32ELi8ELc84ELc84ELc76ELb0ELb0EffPKPKfPKPfEviT_T9_T10_S7_lS9_S7_lS8_T11_S7_li.private_seg_size, 0
	.set _ZL29rocblas_internal_gemmt_kernelIlLi16ELi32ELi8ELc84ELc84ELc76ELb0ELb0EffPKPKfPKPfEviT_T9_T10_S7_lS9_S7_lS8_T11_S7_li.uses_vcc, 1
	.set _ZL29rocblas_internal_gemmt_kernelIlLi16ELi32ELi8ELc84ELc84ELc76ELb0ELb0EffPKPKfPKPfEviT_T9_T10_S7_lS9_S7_lS8_T11_S7_li.uses_flat_scratch, 0
	.set _ZL29rocblas_internal_gemmt_kernelIlLi16ELi32ELi8ELc84ELc84ELc76ELb0ELb0EffPKPKfPKPfEviT_T9_T10_S7_lS9_S7_lS8_T11_S7_li.has_dyn_sized_stack, 0
	.set _ZL29rocblas_internal_gemmt_kernelIlLi16ELi32ELi8ELc84ELc84ELc76ELb0ELb0EffPKPKfPKPfEviT_T9_T10_S7_lS9_S7_lS8_T11_S7_li.has_recursion, 0
	.set _ZL29rocblas_internal_gemmt_kernelIlLi16ELi32ELi8ELc84ELc84ELc76ELb0ELb0EffPKPKfPKPfEviT_T9_T10_S7_lS9_S7_lS8_T11_S7_li.has_indirect_call, 0
	.section	.AMDGPU.csdata,"",@progbits
; Kernel info:
; codeLenInByte = 1664
; TotalNumSgprs: 39
; NumVgprs: 56
; ScratchSize: 0
; MemoryBound: 0
; FloatMode: 240
; IeeeMode: 1
; LDSByteSize: 2048 bytes/workgroup (compile time only)
; SGPRBlocks: 0
; VGPRBlocks: 3
; NumSGPRsForWavesPerEU: 39
; NumVGPRsForWavesPerEU: 56
; NamedBarCnt: 0
; Occupancy: 16
; WaveLimiterHint : 1
; COMPUTE_PGM_RSRC2:SCRATCH_EN: 0
; COMPUTE_PGM_RSRC2:USER_SGPR: 2
; COMPUTE_PGM_RSRC2:TRAP_HANDLER: 0
; COMPUTE_PGM_RSRC2:TGID_X_EN: 1
; COMPUTE_PGM_RSRC2:TGID_Y_EN: 1
; COMPUTE_PGM_RSRC2:TGID_Z_EN: 1
; COMPUTE_PGM_RSRC2:TIDIG_COMP_CNT: 1
	.section	.text._ZL29rocblas_internal_gemmt_kernelIlLi16ELi32ELi8ELc84ELc67ELc76ELb0ELb0EffPKPKfPKPfEviT_T9_T10_S7_lS9_S7_lS8_T11_S7_li,"axG",@progbits,_ZL29rocblas_internal_gemmt_kernelIlLi16ELi32ELi8ELc84ELc67ELc76ELb0ELb0EffPKPKfPKPfEviT_T9_T10_S7_lS9_S7_lS8_T11_S7_li,comdat
	.globl	_ZL29rocblas_internal_gemmt_kernelIlLi16ELi32ELi8ELc84ELc67ELc76ELb0ELb0EffPKPKfPKPfEviT_T9_T10_S7_lS9_S7_lS8_T11_S7_li ; -- Begin function _ZL29rocblas_internal_gemmt_kernelIlLi16ELi32ELi8ELc84ELc67ELc76ELb0ELb0EffPKPKfPKPfEviT_T9_T10_S7_lS9_S7_lS8_T11_S7_li
	.p2align	8
	.type	_ZL29rocblas_internal_gemmt_kernelIlLi16ELi32ELi8ELc84ELc67ELc76ELb0ELb0EffPKPKfPKPfEviT_T9_T10_S7_lS9_S7_lS8_T11_S7_li,@function
_ZL29rocblas_internal_gemmt_kernelIlLi16ELi32ELi8ELc84ELc67ELc76ELb0ELb0EffPKPKfPKPfEviT_T9_T10_S7_lS9_S7_lS8_T11_S7_li: ; @_ZL29rocblas_internal_gemmt_kernelIlLi16ELi32ELi8ELc84ELc67ELc76ELb0ELb0EffPKPKfPKPfEviT_T9_T10_S7_lS9_S7_lS8_T11_S7_li
; %bb.0:
	s_clause 0x1
	s_load_b32 s27, s[0:1], 0x48
	s_load_b96 s[24:26], s[0:1], 0x8
	s_wait_kmcnt 0x0
	s_cmp_neq_f32 s27, 1.0
	s_cselect_b32 s2, -1, 0
	s_delay_alu instid0(SALU_CYCLE_1)
	s_and_b32 vcc_lo, exec_lo, s2
	s_cbranch_vccnz .LBB464_2
; %bb.1:
	s_cmp_lg_u64 s[24:25], 0
	s_cselect_b32 s2, -1, 0
	s_cmp_neq_f32 s26, 0
	s_cselect_b32 s3, -1, 0
	s_delay_alu instid0(SALU_CYCLE_1)
	s_and_b32 s2, s2, s3
.LBB464_2:
	s_delay_alu instid0(SALU_CYCLE_1)
	s_and_not1_b32 vcc_lo, exec_lo, s2
	s_cbranch_vccnz .LBB464_35
; %bb.3:
	s_load_b32 s30, s[0:1], 0x68
	s_bfe_u32 s2, ttmp6, 0x40014
	s_lshr_b32 s3, ttmp7, 16
	s_add_co_i32 s2, s2, 1
	s_bfe_u32 s5, ttmp6, 0x40008
	s_mul_i32 s4, s3, s2
	s_getreg_b32 s2, hwreg(HW_REG_IB_STS2, 6, 4)
	s_add_co_i32 s5, s5, s4
	s_cmp_eq_u32 s2, 0
	s_mov_b32 s7, 0
	s_cselect_b32 s6, s3, s5
	s_wait_kmcnt 0x0
	s_cmp_ge_u32 s6, s30
	s_cbranch_scc1 .LBB464_35
; %bb.4:
	s_clause 0x4
	s_load_b32 s4, s[0:1], 0x0
	s_load_b256 s[8:15], s[0:1], 0x18
	s_load_b64 s[28:29], s[0:1], 0x60
	s_load_b128 s[16:19], s[0:1], 0x38
	s_load_b128 s[20:23], s[0:1], 0x50
	s_wait_xcnt 0x0
	s_bfe_u32 s0, ttmp6, 0x4000c
	s_bfe_u32 s3, ttmp6, 0x40010
	s_add_co_i32 s0, s0, 1
	s_and_b32 s5, ttmp7, 0xffff
	s_add_co_i32 s3, s3, 1
	v_and_b32_e32 v14, 0x3ff, v0
	v_bfe_u32 v15, v0, 10, 10
	s_and_b32 s1, ttmp6, 15
	s_mul_i32 s0, ttmp9, s0
	s_mul_i32 s3, s5, s3
	s_bfe_u32 s31, ttmp6, 0x40004
	s_add_co_i32 s1, s1, s0
	s_add_co_i32 s31, s31, s3
	s_cmp_eq_u32 s2, 0
	v_lshl_add_u32 v1, v15, 4, v14
	s_cselect_b32 s0, s5, s31
	s_cselect_b32 s1, ttmp9, s1
	s_lshl_b32 s0, s0, 5
	s_delay_alu instid0(VALU_DEP_1) | instskip(SKIP_3) | instid1(VALU_DEP_3)
	v_dual_lshrrev_b32 v2, 5, v1 :: v_dual_bitop2_b32 v0, 7, v0 bitop3:0x40
	v_dual_lshrrev_b32 v1, 3, v1 :: v_dual_bitop2_b32 v3, 31, v1 bitop3:0x40
	v_add_nc_u32_e32 v16, s0, v15
	s_lshl_b32 s2, s1, 5
	v_lshlrev_b32_e32 v5, 2, v0
	s_cmp_neq_f32 s26, 0
	v_dual_add_nc_u32 v4, s0, v1 :: v_dual_bitop2_b32 v12, s2, v3 bitop3:0x54
	v_dual_add_nc_u32 v18, 16, v16 :: v_dual_ashrrev_i32 v17, 31, v16
	v_dual_lshlrev_b32 v3, 2, v3 :: v_dual_lshlrev_b32 v28, 2, v14
	s_delay_alu instid0(VALU_DEP_2) | instskip(SKIP_1) | instid1(VALU_DEP_3)
	v_dual_ashrrev_i32 v13, 31, v12 :: v_dual_ashrrev_i32 v19, 31, v18
	s_wait_kmcnt 0x0
	v_mul_u64_e32 v[8:9], s[22:23], v[16:17]
	v_cmp_gt_i32_e64 s0, s4, v12
	s_cselect_b32 s35, -1, 0
	v_mul_u64_e32 v[6:7], s[10:11], v[12:13]
	v_mul_u64_e32 v[10:11], s[22:23], v[18:19]
	v_add_nc_u32_e32 v12, s2, v14
	v_lshl_or_b32 v5, v1, 5, v5
	v_lshl_or_b32 v1, v2, 7, v3
	s_cmp_neq_f32 s27, 0
	v_cmp_gt_i64_e64 s36, s[24:25], 0
	v_dual_add_nc_u32 v14, 16, v12 :: v_dual_ashrrev_i32 v13, 31, v12
	v_add_nc_u32_e32 v3, 0x400, v5
	v_ashrrev_i32_e32 v5, 31, v4
	v_cmp_le_i32_e32 vcc_lo, v16, v12
	v_cmp_gt_i32_e64 s2, s4, v12
	v_cmp_gt_i32_e64 s1, s4, v4
	s_cselect_b32 s22, -1, 0
	v_cmp_le_i32_e64 s3, v16, v14
	v_cmp_gt_i32_e64 s4, s4, v14
	s_and_b32 s23, vcc_lo, s2
	v_cmp_le_i32_e32 vcc_lo, v18, v12
	v_cmp_le_i32_e64 s5, v18, v14
	v_lshl_add_u32 v29, v15, 5, 0x400
	v_dual_ashrrev_i32 v15, 31, v14 :: v_dual_mov_b32 v17, 0
	s_and_b32 s31, s3, s4
	s_and_b32 s33, vcc_lo, s2
	s_and_b32 s34, s5, s4
	s_and_b32 s35, s35, s36
	s_lshl_b64 s[2:3], s[18:19], 2
	s_lshl_b64 s[4:5], s[12:13], 2
	s_lshl_b64 s[10:11], s[28:29], 2
	s_branch .LBB464_6
.LBB464_5:                              ;   in Loop: Header=BB464_6 Depth=1
	s_wait_xcnt 0x0
	s_or_b32 exec_lo, exec_lo, s12
	s_add_co_i32 s6, s6, 0x10000
	s_delay_alu instid0(SALU_CYCLE_1)
	s_cmp_lt_u32 s6, s30
	s_cbranch_scc0 .LBB464_35
.LBB464_6:                              ; =>This Loop Header: Depth=1
                                        ;     Child Loop BB464_9 Depth 2
	v_dual_mov_b32 v16, s6 :: v_dual_mov_b32 v23, v17
	v_dual_mov_b32 v22, v17 :: v_dual_mov_b32 v19, v17
	v_mov_b32_e32 v18, v17
	global_load_b64 v[20:21], v16, s[20:21] scale_offset
	s_and_not1_b32 vcc_lo, exec_lo, s35
	s_cbranch_vccnz .LBB464_15
; %bb.7:                                ;   in Loop: Header=BB464_6 Depth=1
	s_lshl_b64 s[12:13], s[6:7], 3
	v_mov_b32_e32 v18, 0
	s_add_nc_u64 s[18:19], s[8:9], s[12:13]
	s_add_nc_u64 s[12:13], s[14:15], s[12:13]
	s_clause 0x1
	global_load_b64 v[22:23], v17, s[18:19]
	global_load_b64 v[24:25], v17, s[12:13]
	s_wait_xcnt 0x0
	s_mov_b64 s[12:13], 0
	v_mov_b32_e32 v19, v18
	s_wait_loadcnt 0x1
	v_add_nc_u64_e32 v[26:27], s[4:5], v[22:23]
	s_wait_loadcnt 0x0
	v_add_nc_u64_e32 v[30:31], s[2:3], v[24:25]
	v_dual_mov_b32 v22, v18 :: v_dual_mov_b32 v23, v18
	s_delay_alu instid0(VALU_DEP_3) | instskip(NEXT) | instid1(VALU_DEP_3)
	v_lshl_add_u64 v[24:25], v[6:7], 2, v[26:27]
	v_lshl_add_u64 v[26:27], v[4:5], 2, v[30:31]
	s_branch .LBB464_9
.LBB464_8:                              ;   in Loop: Header=BB464_9 Depth=2
	s_wait_xcnt 0x0
	s_or_b32 exec_lo, exec_lo, s18
	s_wait_loadcnt_dscnt 0x0
	ds_store_b32 v3, v31
	s_wait_dscnt 0x0
	s_barrier_signal -1
	s_barrier_wait -1
	ds_load_b128 v[30:33], v29
	ds_load_2addr_b32 v[46:47], v28 offset1:16
	ds_load_b128 v[34:37], v29 offset:512
	ds_load_2addr_b32 v[48:49], v28 offset0:32 offset1:48
	ds_load_2addr_b32 v[50:51], v28 offset0:64 offset1:80
	;; [unrolled: 1-line block ×3, first 2 shown]
	ds_load_b128 v[38:41], v29 offset:16
	ds_load_2addr_b32 v[54:55], v28 offset0:128 offset1:144
	ds_load_b128 v[42:45], v29 offset:528
	s_add_nc_u64 s[12:13], s[12:13], 8
	s_delay_alu instid0(SALU_CYCLE_1)
	v_cmp_gt_i64_e64 s18, s[24:25], s[12:13]
	s_and_b32 vcc_lo, exec_lo, s18
	s_wait_dscnt 0x8
	v_mov_b32_e32 v16, v33
	s_wait_dscnt 0x7
	v_pk_fma_f32 v[22:23], v[46:47], v[30:31], v[22:23] op_sel_hi:[1,0,1]
	s_wait_dscnt 0x6
	v_pk_fma_f32 v[18:19], v[46:47], v[34:35], v[18:19] op_sel_hi:[1,0,1]
	ds_load_2addr_b32 v[46:47], v28 offset0:160 offset1:176
	s_wait_dscnt 0x6
	v_pk_fma_f32 v[22:23], v[48:49], v[30:31], v[22:23] op_sel:[0,1,0]
	v_pk_fma_f32 v[18:19], v[48:49], v[34:35], v[18:19] op_sel:[0,1,0]
	ds_load_2addr_b32 v[30:31], v28 offset0:192 offset1:208
	v_mov_b32_e32 v34, v37
	s_wait_dscnt 0x6
	v_pk_fma_f32 v[22:23], v[50:51], v[32:33], v[22:23] op_sel_hi:[1,0,1]
	v_pk_fma_f32 v[18:19], v[50:51], v[36:37], v[18:19] op_sel_hi:[1,0,1]
	ds_load_2addr_b32 v[32:33], v28 offset0:224 offset1:240
	s_wait_dscnt 0x0
	s_barrier_signal -1
	v_pk_fma_f32 v[22:23], v[52:53], v[16:17], v[22:23] op_sel_hi:[1,0,1]
	v_pk_fma_f32 v[18:19], v[52:53], v[34:35], v[18:19] op_sel_hi:[1,0,1]
	v_dual_mov_b32 v16, v41 :: v_dual_mov_b32 v34, v45
	s_barrier_wait -1
	s_delay_alu instid0(VALU_DEP_3) | instskip(NEXT) | instid1(VALU_DEP_3)
	v_pk_fma_f32 v[22:23], v[54:55], v[38:39], v[22:23] op_sel_hi:[1,0,1]
	v_pk_fma_f32 v[18:19], v[54:55], v[42:43], v[18:19] op_sel_hi:[1,0,1]
	s_delay_alu instid0(VALU_DEP_2) | instskip(NEXT) | instid1(VALU_DEP_2)
	v_pk_fma_f32 v[22:23], v[46:47], v[38:39], v[22:23] op_sel:[0,1,0]
	v_pk_fma_f32 v[18:19], v[46:47], v[42:43], v[18:19] op_sel:[0,1,0]
	s_delay_alu instid0(VALU_DEP_2) | instskip(NEXT) | instid1(VALU_DEP_2)
	v_pk_fma_f32 v[22:23], v[30:31], v[40:41], v[22:23] op_sel_hi:[1,0,1]
	v_pk_fma_f32 v[18:19], v[30:31], v[44:45], v[18:19] op_sel_hi:[1,0,1]
	s_delay_alu instid0(VALU_DEP_2) | instskip(NEXT) | instid1(VALU_DEP_2)
	v_pk_fma_f32 v[22:23], v[32:33], v[16:17], v[22:23] op_sel_hi:[1,0,1]
	v_pk_fma_f32 v[18:19], v[32:33], v[34:35], v[18:19] op_sel_hi:[1,0,1]
	s_cbranch_vccz .LBB464_15
.LBB464_9:                              ;   Parent Loop BB464_6 Depth=1
                                        ; =>  This Inner Loop Header: Depth=2
	v_mov_b32_e32 v30, 0
	s_and_saveexec_b32 s18, s0
	s_cbranch_execz .LBB464_13
; %bb.10:                               ;   in Loop: Header=BB464_9 Depth=2
	v_dual_add_nc_u32 v16, s12, v2 :: v_dual_mov_b32 v30, 0
	s_mov_b32 s19, exec_lo
	s_delay_alu instid0(VALU_DEP_1)
	v_cmpx_gt_u64_e64 s[24:25], v[16:17]
	s_cbranch_execz .LBB464_12
; %bb.11:                               ;   in Loop: Header=BB464_9 Depth=2
	v_lshl_add_u64 v[30:31], v[16:17], 2, v[24:25]
	flat_load_b32 v30, v[30:31]
.LBB464_12:                             ;   in Loop: Header=BB464_9 Depth=2
	s_wait_xcnt 0x0
	s_or_b32 exec_lo, exec_lo, s19
.LBB464_13:                             ;   in Loop: Header=BB464_9 Depth=2
	s_delay_alu instid0(SALU_CYCLE_1)
	s_or_b32 exec_lo, exec_lo, s18
	v_dual_mov_b32 v31, 0 :: v_dual_add_nc_u32 v16, s12, v0
	s_wait_loadcnt_dscnt 0x0
	ds_store_b32 v1, v30
	v_cmp_gt_u64_e32 vcc_lo, s[24:25], v[16:17]
	s_and_b32 s19, vcc_lo, s1
	s_delay_alu instid0(SALU_CYCLE_1)
	s_and_saveexec_b32 s18, s19
	s_cbranch_execz .LBB464_8
; %bb.14:                               ;   in Loop: Header=BB464_9 Depth=2
	v_mul_u64_e32 v[30:31], s[16:17], v[16:17]
	s_delay_alu instid0(VALU_DEP_1)
	v_lshl_add_u64 v[30:31], v[30:31], 2, v[26:27]
	flat_load_b32 v31, v[30:31]
	s_branch .LBB464_8
.LBB464_15:                             ;   in Loop: Header=BB464_6 Depth=1
	s_wait_loadcnt 0x0
	v_add_nc_u64_e32 v[20:21], s[10:11], v[20:21]
	s_delay_alu instid0(VALU_DEP_1)
	v_lshl_add_u64 v[24:25], v[8:9], 2, v[20:21]
	s_wait_xcnt 0x0
	s_and_saveexec_b32 s12, s23
	s_cbranch_execz .LBB464_19
; %bb.16:                               ;   in Loop: Header=BB464_6 Depth=1
	v_mul_f32_e32 v16, s26, v22
	v_lshl_add_u64 v[26:27], v[12:13], 2, v[24:25]
	s_and_b32 vcc_lo, exec_lo, s22
	s_cbranch_vccz .LBB464_30
; %bb.17:                               ;   in Loop: Header=BB464_6 Depth=1
	flat_load_b32 v22, v[26:27]
	s_wait_loadcnt_dscnt 0x0
	v_fma_f32 v22, s27, v22, v16
	flat_store_b32 v[26:27], v22
	s_cbranch_execnz .LBB464_19
.LBB464_18:                             ;   in Loop: Header=BB464_6 Depth=1
	flat_store_b32 v[26:27], v16
.LBB464_19:                             ;   in Loop: Header=BB464_6 Depth=1
	s_wait_xcnt 0x0
	s_or_b32 exec_lo, exec_lo, s12
	s_and_saveexec_b32 s12, s31
	s_cbranch_execz .LBB464_23
; %bb.20:                               ;   in Loop: Header=BB464_6 Depth=1
	v_mul_f32_e32 v16, s26, v23
	v_lshl_add_u64 v[22:23], v[14:15], 2, v[24:25]
	s_and_not1_b32 vcc_lo, exec_lo, s22
	s_cbranch_vccnz .LBB464_31
; %bb.21:                               ;   in Loop: Header=BB464_6 Depth=1
	flat_load_b32 v24, v[22:23]
	s_wait_loadcnt_dscnt 0x0
	v_fma_f32 v24, s27, v24, v16
	flat_store_b32 v[22:23], v24
	s_cbranch_execnz .LBB464_23
.LBB464_22:                             ;   in Loop: Header=BB464_6 Depth=1
	flat_store_b32 v[22:23], v16
.LBB464_23:                             ;   in Loop: Header=BB464_6 Depth=1
	s_wait_xcnt 0x0
	s_or_b32 exec_lo, exec_lo, s12
	v_lshl_add_u64 v[20:21], v[10:11], 2, v[20:21]
	s_and_saveexec_b32 s12, s33
	s_cbranch_execz .LBB464_27
; %bb.24:                               ;   in Loop: Header=BB464_6 Depth=1
	v_mul_f32_e32 v16, s26, v18
	s_delay_alu instid0(VALU_DEP_2)
	v_lshl_add_u64 v[22:23], v[12:13], 2, v[20:21]
	s_and_not1_b32 vcc_lo, exec_lo, s22
	s_cbranch_vccnz .LBB464_32
; %bb.25:                               ;   in Loop: Header=BB464_6 Depth=1
	flat_load_b32 v18, v[22:23]
	s_wait_loadcnt_dscnt 0x0
	v_fma_f32 v18, s27, v18, v16
	flat_store_b32 v[22:23], v18
	s_cbranch_execnz .LBB464_27
.LBB464_26:                             ;   in Loop: Header=BB464_6 Depth=1
	flat_store_b32 v[22:23], v16
.LBB464_27:                             ;   in Loop: Header=BB464_6 Depth=1
	s_wait_xcnt 0x0
	s_or_b32 exec_lo, exec_lo, s12
	s_and_saveexec_b32 s12, s34
	s_cbranch_execz .LBB464_5
; %bb.28:                               ;   in Loop: Header=BB464_6 Depth=1
	v_mul_f32_e32 v16, s26, v19
	v_lshl_add_u64 v[18:19], v[14:15], 2, v[20:21]
	s_and_not1_b32 vcc_lo, exec_lo, s22
	s_cbranch_vccnz .LBB464_33
; %bb.29:                               ;   in Loop: Header=BB464_6 Depth=1
	flat_load_b32 v20, v[18:19]
	s_wait_loadcnt_dscnt 0x0
	v_fma_f32 v20, s27, v20, v16
	flat_store_b32 v[18:19], v20
	s_cbranch_execnz .LBB464_5
	s_branch .LBB464_34
.LBB464_30:                             ;   in Loop: Header=BB464_6 Depth=1
	s_branch .LBB464_18
.LBB464_31:                             ;   in Loop: Header=BB464_6 Depth=1
	s_branch .LBB464_22
.LBB464_32:                             ;   in Loop: Header=BB464_6 Depth=1
	s_branch .LBB464_26
.LBB464_33:                             ;   in Loop: Header=BB464_6 Depth=1
.LBB464_34:                             ;   in Loop: Header=BB464_6 Depth=1
	flat_store_b32 v[18:19], v16
	s_branch .LBB464_5
.LBB464_35:
	s_endpgm
	.section	.rodata,"a",@progbits
	.p2align	6, 0x0
	.amdhsa_kernel _ZL29rocblas_internal_gemmt_kernelIlLi16ELi32ELi8ELc84ELc67ELc76ELb0ELb0EffPKPKfPKPfEviT_T9_T10_S7_lS9_S7_lS8_T11_S7_li
		.amdhsa_group_segment_fixed_size 2048
		.amdhsa_private_segment_fixed_size 0
		.amdhsa_kernarg_size 108
		.amdhsa_user_sgpr_count 2
		.amdhsa_user_sgpr_dispatch_ptr 0
		.amdhsa_user_sgpr_queue_ptr 0
		.amdhsa_user_sgpr_kernarg_segment_ptr 1
		.amdhsa_user_sgpr_dispatch_id 0
		.amdhsa_user_sgpr_kernarg_preload_length 0
		.amdhsa_user_sgpr_kernarg_preload_offset 0
		.amdhsa_user_sgpr_private_segment_size 0
		.amdhsa_wavefront_size32 1
		.amdhsa_uses_dynamic_stack 0
		.amdhsa_enable_private_segment 0
		.amdhsa_system_sgpr_workgroup_id_x 1
		.amdhsa_system_sgpr_workgroup_id_y 1
		.amdhsa_system_sgpr_workgroup_id_z 1
		.amdhsa_system_sgpr_workgroup_info 0
		.amdhsa_system_vgpr_workitem_id 1
		.amdhsa_next_free_vgpr 56
		.amdhsa_next_free_sgpr 37
		.amdhsa_named_barrier_count 0
		.amdhsa_reserve_vcc 1
		.amdhsa_float_round_mode_32 0
		.amdhsa_float_round_mode_16_64 0
		.amdhsa_float_denorm_mode_32 3
		.amdhsa_float_denorm_mode_16_64 3
		.amdhsa_fp16_overflow 0
		.amdhsa_memory_ordered 1
		.amdhsa_forward_progress 1
		.amdhsa_inst_pref_size 13
		.amdhsa_round_robin_scheduling 0
		.amdhsa_exception_fp_ieee_invalid_op 0
		.amdhsa_exception_fp_denorm_src 0
		.amdhsa_exception_fp_ieee_div_zero 0
		.amdhsa_exception_fp_ieee_overflow 0
		.amdhsa_exception_fp_ieee_underflow 0
		.amdhsa_exception_fp_ieee_inexact 0
		.amdhsa_exception_int_div_zero 0
	.end_amdhsa_kernel
	.section	.text._ZL29rocblas_internal_gemmt_kernelIlLi16ELi32ELi8ELc84ELc67ELc76ELb0ELb0EffPKPKfPKPfEviT_T9_T10_S7_lS9_S7_lS8_T11_S7_li,"axG",@progbits,_ZL29rocblas_internal_gemmt_kernelIlLi16ELi32ELi8ELc84ELc67ELc76ELb0ELb0EffPKPKfPKPfEviT_T9_T10_S7_lS9_S7_lS8_T11_S7_li,comdat
.Lfunc_end464:
	.size	_ZL29rocblas_internal_gemmt_kernelIlLi16ELi32ELi8ELc84ELc67ELc76ELb0ELb0EffPKPKfPKPfEviT_T9_T10_S7_lS9_S7_lS8_T11_S7_li, .Lfunc_end464-_ZL29rocblas_internal_gemmt_kernelIlLi16ELi32ELi8ELc84ELc67ELc76ELb0ELb0EffPKPKfPKPfEviT_T9_T10_S7_lS9_S7_lS8_T11_S7_li
                                        ; -- End function
	.set _ZL29rocblas_internal_gemmt_kernelIlLi16ELi32ELi8ELc84ELc67ELc76ELb0ELb0EffPKPKfPKPfEviT_T9_T10_S7_lS9_S7_lS8_T11_S7_li.num_vgpr, 56
	.set _ZL29rocblas_internal_gemmt_kernelIlLi16ELi32ELi8ELc84ELc67ELc76ELb0ELb0EffPKPKfPKPfEviT_T9_T10_S7_lS9_S7_lS8_T11_S7_li.num_agpr, 0
	.set _ZL29rocblas_internal_gemmt_kernelIlLi16ELi32ELi8ELc84ELc67ELc76ELb0ELb0EffPKPKfPKPfEviT_T9_T10_S7_lS9_S7_lS8_T11_S7_li.numbered_sgpr, 37
	.set _ZL29rocblas_internal_gemmt_kernelIlLi16ELi32ELi8ELc84ELc67ELc76ELb0ELb0EffPKPKfPKPfEviT_T9_T10_S7_lS9_S7_lS8_T11_S7_li.num_named_barrier, 0
	.set _ZL29rocblas_internal_gemmt_kernelIlLi16ELi32ELi8ELc84ELc67ELc76ELb0ELb0EffPKPKfPKPfEviT_T9_T10_S7_lS9_S7_lS8_T11_S7_li.private_seg_size, 0
	.set _ZL29rocblas_internal_gemmt_kernelIlLi16ELi32ELi8ELc84ELc67ELc76ELb0ELb0EffPKPKfPKPfEviT_T9_T10_S7_lS9_S7_lS8_T11_S7_li.uses_vcc, 1
	.set _ZL29rocblas_internal_gemmt_kernelIlLi16ELi32ELi8ELc84ELc67ELc76ELb0ELb0EffPKPKfPKPfEviT_T9_T10_S7_lS9_S7_lS8_T11_S7_li.uses_flat_scratch, 0
	.set _ZL29rocblas_internal_gemmt_kernelIlLi16ELi32ELi8ELc84ELc67ELc76ELb0ELb0EffPKPKfPKPfEviT_T9_T10_S7_lS9_S7_lS8_T11_S7_li.has_dyn_sized_stack, 0
	.set _ZL29rocblas_internal_gemmt_kernelIlLi16ELi32ELi8ELc84ELc67ELc76ELb0ELb0EffPKPKfPKPfEviT_T9_T10_S7_lS9_S7_lS8_T11_S7_li.has_recursion, 0
	.set _ZL29rocblas_internal_gemmt_kernelIlLi16ELi32ELi8ELc84ELc67ELc76ELb0ELb0EffPKPKfPKPfEviT_T9_T10_S7_lS9_S7_lS8_T11_S7_li.has_indirect_call, 0
	.section	.AMDGPU.csdata,"",@progbits
; Kernel info:
; codeLenInByte = 1664
; TotalNumSgprs: 39
; NumVgprs: 56
; ScratchSize: 0
; MemoryBound: 0
; FloatMode: 240
; IeeeMode: 1
; LDSByteSize: 2048 bytes/workgroup (compile time only)
; SGPRBlocks: 0
; VGPRBlocks: 3
; NumSGPRsForWavesPerEU: 39
; NumVGPRsForWavesPerEU: 56
; NamedBarCnt: 0
; Occupancy: 16
; WaveLimiterHint : 1
; COMPUTE_PGM_RSRC2:SCRATCH_EN: 0
; COMPUTE_PGM_RSRC2:USER_SGPR: 2
; COMPUTE_PGM_RSRC2:TRAP_HANDLER: 0
; COMPUTE_PGM_RSRC2:TGID_X_EN: 1
; COMPUTE_PGM_RSRC2:TGID_Y_EN: 1
; COMPUTE_PGM_RSRC2:TGID_Z_EN: 1
; COMPUTE_PGM_RSRC2:TIDIG_COMP_CNT: 1
	.section	.text._ZL29rocblas_internal_gemmt_kernelIlLi16ELi32ELi8ELc67ELc78ELc76ELb0ELb0EffPKPKfPKPfEviT_T9_T10_S7_lS9_S7_lS8_T11_S7_li,"axG",@progbits,_ZL29rocblas_internal_gemmt_kernelIlLi16ELi32ELi8ELc67ELc78ELc76ELb0ELb0EffPKPKfPKPfEviT_T9_T10_S7_lS9_S7_lS8_T11_S7_li,comdat
	.globl	_ZL29rocblas_internal_gemmt_kernelIlLi16ELi32ELi8ELc67ELc78ELc76ELb0ELb0EffPKPKfPKPfEviT_T9_T10_S7_lS9_S7_lS8_T11_S7_li ; -- Begin function _ZL29rocblas_internal_gemmt_kernelIlLi16ELi32ELi8ELc67ELc78ELc76ELb0ELb0EffPKPKfPKPfEviT_T9_T10_S7_lS9_S7_lS8_T11_S7_li
	.p2align	8
	.type	_ZL29rocblas_internal_gemmt_kernelIlLi16ELi32ELi8ELc67ELc78ELc76ELb0ELb0EffPKPKfPKPfEviT_T9_T10_S7_lS9_S7_lS8_T11_S7_li,@function
_ZL29rocblas_internal_gemmt_kernelIlLi16ELi32ELi8ELc67ELc78ELc76ELb0ELb0EffPKPKfPKPfEviT_T9_T10_S7_lS9_S7_lS8_T11_S7_li: ; @_ZL29rocblas_internal_gemmt_kernelIlLi16ELi32ELi8ELc67ELc78ELc76ELb0ELb0EffPKPKfPKPfEviT_T9_T10_S7_lS9_S7_lS8_T11_S7_li
; %bb.0:
	s_clause 0x1
	s_load_b32 s23, s[0:1], 0x48
	s_load_b96 s[20:22], s[0:1], 0x8
	s_wait_kmcnt 0x0
	s_cmp_neq_f32 s23, 1.0
	s_cselect_b32 s2, -1, 0
	s_delay_alu instid0(SALU_CYCLE_1)
	s_and_b32 vcc_lo, exec_lo, s2
	s_cbranch_vccnz .LBB465_2
; %bb.1:
	s_cmp_lg_u64 s[20:21], 0
	s_cselect_b32 s2, -1, 0
	s_cmp_neq_f32 s22, 0
	s_cselect_b32 s3, -1, 0
	s_delay_alu instid0(SALU_CYCLE_1)
	s_and_b32 s2, s2, s3
.LBB465_2:
	s_delay_alu instid0(SALU_CYCLE_1)
	s_and_not1_b32 vcc_lo, exec_lo, s2
	s_cbranch_vccnz .LBB465_35
; %bb.3:
	s_load_b32 s26, s[0:1], 0x68
	s_bfe_u32 s2, ttmp6, 0x40014
	s_lshr_b32 s3, ttmp7, 16
	s_add_co_i32 s2, s2, 1
	s_bfe_u32 s5, ttmp6, 0x40008
	s_mul_i32 s4, s3, s2
	s_getreg_b32 s2, hwreg(HW_REG_IB_STS2, 6, 4)
	s_add_co_i32 s5, s5, s4
	s_cmp_eq_u32 s2, 0
	s_mov_b32 s25, 0
	s_cselect_b32 s24, s3, s5
	s_wait_kmcnt 0x0
	s_cmp_ge_u32 s24, s26
	s_cbranch_scc1 .LBB465_35
; %bb.4:
	s_bfe_u32 s3, ttmp6, 0x4000c
	s_bfe_u32 s29, ttmp6, 0x40010
	s_add_co_i32 s3, s3, 1
	s_and_b32 s30, ttmp7, 0xffff
	s_add_co_i32 s29, s29, 1
	v_and_b32_e32 v20, 0x3ff, v0
	v_bfe_u32 v21, v0, 10, 10
	s_and_b32 s28, ttmp6, 15
	s_mul_i32 s3, ttmp9, s3
	s_mul_i32 s29, s30, s29
	s_bfe_u32 s31, ttmp6, 0x40004
	s_add_co_i32 s28, s28, s3
	s_add_co_i32 s31, s31, s29
	s_cmp_eq_u32 s2, 0
	v_lshl_add_u32 v1, v21, 4, v20
	s_clause 0x2
	s_load_b256 s[8:15], s[0:1], 0x18
	s_load_b128 s[4:7], s[0:1], 0x38
	s_load_b128 s[16:19], s[0:1], 0x50
	s_cselect_b32 s3, s30, s31
	s_cselect_b32 s2, ttmp9, s28
	s_lshl_b32 s3, s3, 5
	v_dual_lshrrev_b32 v2, 5, v1 :: v_dual_bitop2_b32 v0, 7, v0 bitop3:0x40
	v_dual_lshrrev_b32 v3, 3, v1 :: v_dual_bitop2_b32 v1, 31, v1 bitop3:0x40
	v_add_nc_u32_e32 v16, s3, v21
	s_lshl_b32 s2, s2, 5
	s_clause 0x1
	s_load_b32 s27, s[0:1], 0x0
	s_load_b64 s[34:35], s[0:1], 0x60
	v_dual_add_nc_u32 v14, s3, v3 :: v_dual_bitop2_b32 v12, s2, v1 bitop3:0x54
	v_dual_add_nc_u32 v18, 16, v16 :: v_dual_ashrrev_i32 v17, 31, v16
	s_delay_alu instid0(VALU_DEP_2) | instskip(NEXT) | instid1(VALU_DEP_2)
	v_dual_lshlrev_b32 v1, 2, v1 :: v_dual_ashrrev_i32 v15, 31, v14
	v_dual_ashrrev_i32 v13, 31, v12 :: v_dual_ashrrev_i32 v19, 31, v18
	s_wait_kmcnt 0x0
	s_delay_alu instid0(VALU_DEP_3)
	v_mul_u64_e32 v[8:9], s[18:19], v[16:17]
	s_cmp_neq_f32 s22, 0
	v_mul_u64_e32 v[6:7], s[4:5], v[14:15]
	v_mul_u64_e32 v[4:5], s[10:11], v[12:13]
	v_lshlrev_b32_e32 v13, 2, v0
	v_mul_u64_e32 v[10:11], s[18:19], v[18:19]
	v_lshlrev_b32_e32 v28, 2, v20
	s_cselect_b32 s30, -1, 0
	s_cmp_neq_f32 s23, 0
	v_lshl_or_b32 v3, v3, 5, v13
	v_cmp_gt_i32_e64 s0, s27, v12
	v_add_nc_u32_e32 v12, s2, v20
	v_cmp_gt_i32_e64 s1, s27, v14
	v_cmp_gt_i64_e64 s10, s[20:21], 0
	s_cselect_b32 s18, -1, 0
	v_lshl_or_b32 v1, v2, 7, v1
	v_dual_add_nc_u32 v14, 16, v12 :: v_dual_ashrrev_i32 v13, 31, v12
	v_cmp_le_i32_e32 vcc_lo, v16, v12
	v_cmp_gt_i32_e64 s2, s27, v12
	v_add_nc_u32_e32 v3, 0x400, v3
	s_delay_alu instid0(VALU_DEP_4)
	v_cmp_le_i32_e64 s3, v16, v14
	v_cmp_gt_i32_e64 s4, s27, v14
	v_cmp_le_i32_e64 s5, v18, v14
	s_and_b32 s19, vcc_lo, s2
	v_cmp_le_i32_e32 vcc_lo, v18, v12
	v_lshl_add_u32 v29, v21, 5, 0x400
	v_dual_ashrrev_i32 v15, 31, v14 :: v_dual_mov_b32 v17, 0
	s_and_b32 s27, s3, s4
	s_and_b32 s28, vcc_lo, s2
	s_and_b32 s29, s5, s4
	s_and_b32 s30, s30, s10
	s_lshl_b64 s[2:3], s[6:7], 2
	s_lshl_b64 s[4:5], s[12:13], 2
	;; [unrolled: 1-line block ×3, first 2 shown]
	s_branch .LBB465_6
.LBB465_5:                              ;   in Loop: Header=BB465_6 Depth=1
	s_wait_xcnt 0x0
	s_or_b32 exec_lo, exec_lo, s10
	s_add_co_i32 s24, s24, 0x10000
	s_delay_alu instid0(SALU_CYCLE_1)
	s_cmp_lt_u32 s24, s26
	s_cbranch_scc0 .LBB465_35
.LBB465_6:                              ; =>This Loop Header: Depth=1
                                        ;     Child Loop BB465_9 Depth 2
	v_dual_mov_b32 v16, s24 :: v_dual_mov_b32 v23, v17
	v_dual_mov_b32 v22, v17 :: v_dual_mov_b32 v19, v17
	v_mov_b32_e32 v18, v17
	global_load_b64 v[20:21], v16, s[16:17] scale_offset
	s_and_not1_b32 vcc_lo, exec_lo, s30
	s_cbranch_vccnz .LBB465_15
; %bb.7:                                ;   in Loop: Header=BB465_6 Depth=1
	s_lshl_b64 s[10:11], s[24:25], 3
	v_mov_b32_e32 v18, 0
	s_add_nc_u64 s[12:13], s[8:9], s[10:11]
	s_add_nc_u64 s[10:11], s[14:15], s[10:11]
	s_clause 0x1
	global_load_b64 v[22:23], v17, s[12:13]
	global_load_b64 v[24:25], v17, s[10:11]
	s_wait_xcnt 0x0
	s_mov_b64 s[10:11], 0
	v_mov_b32_e32 v19, v18
	s_wait_loadcnt 0x1
	v_add_nc_u64_e32 v[26:27], s[4:5], v[22:23]
	s_wait_loadcnt 0x0
	v_add_nc_u64_e32 v[30:31], s[2:3], v[24:25]
	v_dual_mov_b32 v22, v18 :: v_dual_mov_b32 v23, v18
	s_delay_alu instid0(VALU_DEP_3) | instskip(NEXT) | instid1(VALU_DEP_3)
	v_lshl_add_u64 v[24:25], v[4:5], 2, v[26:27]
	v_lshl_add_u64 v[26:27], v[6:7], 2, v[30:31]
	s_branch .LBB465_9
.LBB465_8:                              ;   in Loop: Header=BB465_9 Depth=2
	s_wait_xcnt 0x0
	s_or_b32 exec_lo, exec_lo, s12
	s_wait_loadcnt_dscnt 0x0
	ds_store_b32 v3, v31
	s_wait_dscnt 0x0
	s_barrier_signal -1
	s_barrier_wait -1
	ds_load_b128 v[30:33], v29
	ds_load_2addr_b32 v[46:47], v28 offset1:16
	ds_load_b128 v[34:37], v29 offset:512
	ds_load_2addr_b32 v[48:49], v28 offset0:32 offset1:48
	ds_load_2addr_b32 v[50:51], v28 offset0:64 offset1:80
	;; [unrolled: 1-line block ×3, first 2 shown]
	ds_load_b128 v[38:41], v29 offset:16
	ds_load_2addr_b32 v[54:55], v28 offset0:128 offset1:144
	ds_load_b128 v[42:45], v29 offset:528
	s_add_nc_u64 s[10:11], s[10:11], 8
	s_delay_alu instid0(SALU_CYCLE_1)
	v_cmp_gt_i64_e64 s12, s[20:21], s[10:11]
	s_and_b32 vcc_lo, exec_lo, s12
	s_wait_dscnt 0x8
	v_mov_b32_e32 v16, v33
	s_wait_dscnt 0x7
	v_pk_fma_f32 v[22:23], v[46:47], v[30:31], v[22:23] op_sel_hi:[1,0,1]
	s_wait_dscnt 0x6
	v_pk_fma_f32 v[18:19], v[46:47], v[34:35], v[18:19] op_sel_hi:[1,0,1]
	ds_load_2addr_b32 v[46:47], v28 offset0:160 offset1:176
	s_wait_dscnt 0x6
	v_pk_fma_f32 v[22:23], v[48:49], v[30:31], v[22:23] op_sel:[0,1,0]
	v_pk_fma_f32 v[18:19], v[48:49], v[34:35], v[18:19] op_sel:[0,1,0]
	ds_load_2addr_b32 v[30:31], v28 offset0:192 offset1:208
	v_mov_b32_e32 v34, v37
	s_wait_dscnt 0x6
	v_pk_fma_f32 v[22:23], v[50:51], v[32:33], v[22:23] op_sel_hi:[1,0,1]
	v_pk_fma_f32 v[18:19], v[50:51], v[36:37], v[18:19] op_sel_hi:[1,0,1]
	ds_load_2addr_b32 v[32:33], v28 offset0:224 offset1:240
	s_wait_dscnt 0x0
	s_barrier_signal -1
	v_pk_fma_f32 v[22:23], v[52:53], v[16:17], v[22:23] op_sel_hi:[1,0,1]
	v_pk_fma_f32 v[18:19], v[52:53], v[34:35], v[18:19] op_sel_hi:[1,0,1]
	v_dual_mov_b32 v16, v41 :: v_dual_mov_b32 v34, v45
	s_barrier_wait -1
	s_delay_alu instid0(VALU_DEP_3) | instskip(NEXT) | instid1(VALU_DEP_3)
	v_pk_fma_f32 v[22:23], v[54:55], v[38:39], v[22:23] op_sel_hi:[1,0,1]
	v_pk_fma_f32 v[18:19], v[54:55], v[42:43], v[18:19] op_sel_hi:[1,0,1]
	s_delay_alu instid0(VALU_DEP_2) | instskip(NEXT) | instid1(VALU_DEP_2)
	v_pk_fma_f32 v[22:23], v[46:47], v[38:39], v[22:23] op_sel:[0,1,0]
	v_pk_fma_f32 v[18:19], v[46:47], v[42:43], v[18:19] op_sel:[0,1,0]
	s_delay_alu instid0(VALU_DEP_2) | instskip(NEXT) | instid1(VALU_DEP_2)
	v_pk_fma_f32 v[22:23], v[30:31], v[40:41], v[22:23] op_sel_hi:[1,0,1]
	v_pk_fma_f32 v[18:19], v[30:31], v[44:45], v[18:19] op_sel_hi:[1,0,1]
	s_delay_alu instid0(VALU_DEP_2) | instskip(NEXT) | instid1(VALU_DEP_2)
	v_pk_fma_f32 v[22:23], v[32:33], v[16:17], v[22:23] op_sel_hi:[1,0,1]
	v_pk_fma_f32 v[18:19], v[32:33], v[34:35], v[18:19] op_sel_hi:[1,0,1]
	s_cbranch_vccz .LBB465_15
.LBB465_9:                              ;   Parent Loop BB465_6 Depth=1
                                        ; =>  This Inner Loop Header: Depth=2
	v_mov_b32_e32 v30, 0
	s_and_saveexec_b32 s12, s0
	s_cbranch_execz .LBB465_13
; %bb.10:                               ;   in Loop: Header=BB465_9 Depth=2
	v_dual_add_nc_u32 v16, s10, v2 :: v_dual_mov_b32 v30, 0
	s_mov_b32 s13, exec_lo
	s_delay_alu instid0(VALU_DEP_1)
	v_cmpx_gt_u64_e64 s[20:21], v[16:17]
	s_cbranch_execz .LBB465_12
; %bb.11:                               ;   in Loop: Header=BB465_9 Depth=2
	v_lshl_add_u64 v[30:31], v[16:17], 2, v[24:25]
	flat_load_b32 v30, v[30:31]
.LBB465_12:                             ;   in Loop: Header=BB465_9 Depth=2
	s_wait_xcnt 0x0
	s_or_b32 exec_lo, exec_lo, s13
.LBB465_13:                             ;   in Loop: Header=BB465_9 Depth=2
	s_delay_alu instid0(SALU_CYCLE_1)
	s_or_b32 exec_lo, exec_lo, s12
	v_dual_mov_b32 v31, 0 :: v_dual_add_nc_u32 v16, s10, v0
	s_wait_loadcnt_dscnt 0x0
	ds_store_b32 v1, v30
	v_cmp_gt_u64_e32 vcc_lo, s[20:21], v[16:17]
	s_and_b32 s13, vcc_lo, s1
	s_delay_alu instid0(SALU_CYCLE_1)
	s_and_saveexec_b32 s12, s13
	s_cbranch_execz .LBB465_8
; %bb.14:                               ;   in Loop: Header=BB465_9 Depth=2
	v_lshl_add_u64 v[30:31], v[16:17], 2, v[26:27]
	flat_load_b32 v31, v[30:31]
	s_branch .LBB465_8
.LBB465_15:                             ;   in Loop: Header=BB465_6 Depth=1
	s_wait_loadcnt 0x0
	v_add_nc_u64_e32 v[20:21], s[6:7], v[20:21]
	s_delay_alu instid0(VALU_DEP_1)
	v_lshl_add_u64 v[24:25], v[8:9], 2, v[20:21]
	s_wait_xcnt 0x0
	s_and_saveexec_b32 s10, s19
	s_cbranch_execz .LBB465_19
; %bb.16:                               ;   in Loop: Header=BB465_6 Depth=1
	v_mul_f32_e32 v16, s22, v22
	v_lshl_add_u64 v[26:27], v[12:13], 2, v[24:25]
	s_and_b32 vcc_lo, exec_lo, s18
	s_cbranch_vccz .LBB465_30
; %bb.17:                               ;   in Loop: Header=BB465_6 Depth=1
	flat_load_b32 v22, v[26:27]
	s_wait_loadcnt_dscnt 0x0
	v_fma_f32 v22, s23, v22, v16
	flat_store_b32 v[26:27], v22
	s_cbranch_execnz .LBB465_19
.LBB465_18:                             ;   in Loop: Header=BB465_6 Depth=1
	flat_store_b32 v[26:27], v16
.LBB465_19:                             ;   in Loop: Header=BB465_6 Depth=1
	s_wait_xcnt 0x0
	s_or_b32 exec_lo, exec_lo, s10
	s_and_saveexec_b32 s10, s27
	s_cbranch_execz .LBB465_23
; %bb.20:                               ;   in Loop: Header=BB465_6 Depth=1
	v_mul_f32_e32 v16, s22, v23
	v_lshl_add_u64 v[22:23], v[14:15], 2, v[24:25]
	s_and_not1_b32 vcc_lo, exec_lo, s18
	s_cbranch_vccnz .LBB465_31
; %bb.21:                               ;   in Loop: Header=BB465_6 Depth=1
	flat_load_b32 v24, v[22:23]
	s_wait_loadcnt_dscnt 0x0
	v_fma_f32 v24, s23, v24, v16
	flat_store_b32 v[22:23], v24
	s_cbranch_execnz .LBB465_23
.LBB465_22:                             ;   in Loop: Header=BB465_6 Depth=1
	flat_store_b32 v[22:23], v16
.LBB465_23:                             ;   in Loop: Header=BB465_6 Depth=1
	s_wait_xcnt 0x0
	s_or_b32 exec_lo, exec_lo, s10
	v_lshl_add_u64 v[20:21], v[10:11], 2, v[20:21]
	s_and_saveexec_b32 s10, s28
	s_cbranch_execz .LBB465_27
; %bb.24:                               ;   in Loop: Header=BB465_6 Depth=1
	v_mul_f32_e32 v16, s22, v18
	s_delay_alu instid0(VALU_DEP_2)
	v_lshl_add_u64 v[22:23], v[12:13], 2, v[20:21]
	s_and_not1_b32 vcc_lo, exec_lo, s18
	s_cbranch_vccnz .LBB465_32
; %bb.25:                               ;   in Loop: Header=BB465_6 Depth=1
	flat_load_b32 v18, v[22:23]
	s_wait_loadcnt_dscnt 0x0
	v_fma_f32 v18, s23, v18, v16
	flat_store_b32 v[22:23], v18
	s_cbranch_execnz .LBB465_27
.LBB465_26:                             ;   in Loop: Header=BB465_6 Depth=1
	flat_store_b32 v[22:23], v16
.LBB465_27:                             ;   in Loop: Header=BB465_6 Depth=1
	s_wait_xcnt 0x0
	s_or_b32 exec_lo, exec_lo, s10
	s_and_saveexec_b32 s10, s29
	s_cbranch_execz .LBB465_5
; %bb.28:                               ;   in Loop: Header=BB465_6 Depth=1
	v_mul_f32_e32 v16, s22, v19
	v_lshl_add_u64 v[18:19], v[14:15], 2, v[20:21]
	s_and_not1_b32 vcc_lo, exec_lo, s18
	s_cbranch_vccnz .LBB465_33
; %bb.29:                               ;   in Loop: Header=BB465_6 Depth=1
	flat_load_b32 v20, v[18:19]
	s_wait_loadcnt_dscnt 0x0
	v_fma_f32 v20, s23, v20, v16
	flat_store_b32 v[18:19], v20
	s_cbranch_execnz .LBB465_5
	s_branch .LBB465_34
.LBB465_30:                             ;   in Loop: Header=BB465_6 Depth=1
	s_branch .LBB465_18
.LBB465_31:                             ;   in Loop: Header=BB465_6 Depth=1
	s_branch .LBB465_22
.LBB465_32:                             ;   in Loop: Header=BB465_6 Depth=1
	s_branch .LBB465_26
.LBB465_33:                             ;   in Loop: Header=BB465_6 Depth=1
.LBB465_34:                             ;   in Loop: Header=BB465_6 Depth=1
	flat_store_b32 v[18:19], v16
	s_branch .LBB465_5
.LBB465_35:
	s_endpgm
	.section	.rodata,"a",@progbits
	.p2align	6, 0x0
	.amdhsa_kernel _ZL29rocblas_internal_gemmt_kernelIlLi16ELi32ELi8ELc67ELc78ELc76ELb0ELb0EffPKPKfPKPfEviT_T9_T10_S7_lS9_S7_lS8_T11_S7_li
		.amdhsa_group_segment_fixed_size 2048
		.amdhsa_private_segment_fixed_size 0
		.amdhsa_kernarg_size 108
		.amdhsa_user_sgpr_count 2
		.amdhsa_user_sgpr_dispatch_ptr 0
		.amdhsa_user_sgpr_queue_ptr 0
		.amdhsa_user_sgpr_kernarg_segment_ptr 1
		.amdhsa_user_sgpr_dispatch_id 0
		.amdhsa_user_sgpr_kernarg_preload_length 0
		.amdhsa_user_sgpr_kernarg_preload_offset 0
		.amdhsa_user_sgpr_private_segment_size 0
		.amdhsa_wavefront_size32 1
		.amdhsa_uses_dynamic_stack 0
		.amdhsa_enable_private_segment 0
		.amdhsa_system_sgpr_workgroup_id_x 1
		.amdhsa_system_sgpr_workgroup_id_y 1
		.amdhsa_system_sgpr_workgroup_id_z 1
		.amdhsa_system_sgpr_workgroup_info 0
		.amdhsa_system_vgpr_workitem_id 1
		.amdhsa_next_free_vgpr 56
		.amdhsa_next_free_sgpr 36
		.amdhsa_named_barrier_count 0
		.amdhsa_reserve_vcc 1
		.amdhsa_float_round_mode_32 0
		.amdhsa_float_round_mode_16_64 0
		.amdhsa_float_denorm_mode_32 3
		.amdhsa_float_denorm_mode_16_64 3
		.amdhsa_fp16_overflow 0
		.amdhsa_memory_ordered 1
		.amdhsa_forward_progress 1
		.amdhsa_inst_pref_size 13
		.amdhsa_round_robin_scheduling 0
		.amdhsa_exception_fp_ieee_invalid_op 0
		.amdhsa_exception_fp_denorm_src 0
		.amdhsa_exception_fp_ieee_div_zero 0
		.amdhsa_exception_fp_ieee_overflow 0
		.amdhsa_exception_fp_ieee_underflow 0
		.amdhsa_exception_fp_ieee_inexact 0
		.amdhsa_exception_int_div_zero 0
	.end_amdhsa_kernel
	.section	.text._ZL29rocblas_internal_gemmt_kernelIlLi16ELi32ELi8ELc67ELc78ELc76ELb0ELb0EffPKPKfPKPfEviT_T9_T10_S7_lS9_S7_lS8_T11_S7_li,"axG",@progbits,_ZL29rocblas_internal_gemmt_kernelIlLi16ELi32ELi8ELc67ELc78ELc76ELb0ELb0EffPKPKfPKPfEviT_T9_T10_S7_lS9_S7_lS8_T11_S7_li,comdat
.Lfunc_end465:
	.size	_ZL29rocblas_internal_gemmt_kernelIlLi16ELi32ELi8ELc67ELc78ELc76ELb0ELb0EffPKPKfPKPfEviT_T9_T10_S7_lS9_S7_lS8_T11_S7_li, .Lfunc_end465-_ZL29rocblas_internal_gemmt_kernelIlLi16ELi32ELi8ELc67ELc78ELc76ELb0ELb0EffPKPKfPKPfEviT_T9_T10_S7_lS9_S7_lS8_T11_S7_li
                                        ; -- End function
	.set _ZL29rocblas_internal_gemmt_kernelIlLi16ELi32ELi8ELc67ELc78ELc76ELb0ELb0EffPKPKfPKPfEviT_T9_T10_S7_lS9_S7_lS8_T11_S7_li.num_vgpr, 56
	.set _ZL29rocblas_internal_gemmt_kernelIlLi16ELi32ELi8ELc67ELc78ELc76ELb0ELb0EffPKPKfPKPfEviT_T9_T10_S7_lS9_S7_lS8_T11_S7_li.num_agpr, 0
	.set _ZL29rocblas_internal_gemmt_kernelIlLi16ELi32ELi8ELc67ELc78ELc76ELb0ELb0EffPKPKfPKPfEviT_T9_T10_S7_lS9_S7_lS8_T11_S7_li.numbered_sgpr, 36
	.set _ZL29rocblas_internal_gemmt_kernelIlLi16ELi32ELi8ELc67ELc78ELc76ELb0ELb0EffPKPKfPKPfEviT_T9_T10_S7_lS9_S7_lS8_T11_S7_li.num_named_barrier, 0
	.set _ZL29rocblas_internal_gemmt_kernelIlLi16ELi32ELi8ELc67ELc78ELc76ELb0ELb0EffPKPKfPKPfEviT_T9_T10_S7_lS9_S7_lS8_T11_S7_li.private_seg_size, 0
	.set _ZL29rocblas_internal_gemmt_kernelIlLi16ELi32ELi8ELc67ELc78ELc76ELb0ELb0EffPKPKfPKPfEviT_T9_T10_S7_lS9_S7_lS8_T11_S7_li.uses_vcc, 1
	.set _ZL29rocblas_internal_gemmt_kernelIlLi16ELi32ELi8ELc67ELc78ELc76ELb0ELb0EffPKPKfPKPfEviT_T9_T10_S7_lS9_S7_lS8_T11_S7_li.uses_flat_scratch, 0
	.set _ZL29rocblas_internal_gemmt_kernelIlLi16ELi32ELi8ELc67ELc78ELc76ELb0ELb0EffPKPKfPKPfEviT_T9_T10_S7_lS9_S7_lS8_T11_S7_li.has_dyn_sized_stack, 0
	.set _ZL29rocblas_internal_gemmt_kernelIlLi16ELi32ELi8ELc67ELc78ELc76ELb0ELb0EffPKPKfPKPfEviT_T9_T10_S7_lS9_S7_lS8_T11_S7_li.has_recursion, 0
	.set _ZL29rocblas_internal_gemmt_kernelIlLi16ELi32ELi8ELc67ELc78ELc76ELb0ELb0EffPKPKfPKPfEviT_T9_T10_S7_lS9_S7_lS8_T11_S7_li.has_indirect_call, 0
	.section	.AMDGPU.csdata,"",@progbits
; Kernel info:
; codeLenInByte = 1664
; TotalNumSgprs: 38
; NumVgprs: 56
; ScratchSize: 0
; MemoryBound: 0
; FloatMode: 240
; IeeeMode: 1
; LDSByteSize: 2048 bytes/workgroup (compile time only)
; SGPRBlocks: 0
; VGPRBlocks: 3
; NumSGPRsForWavesPerEU: 38
; NumVGPRsForWavesPerEU: 56
; NamedBarCnt: 0
; Occupancy: 16
; WaveLimiterHint : 1
; COMPUTE_PGM_RSRC2:SCRATCH_EN: 0
; COMPUTE_PGM_RSRC2:USER_SGPR: 2
; COMPUTE_PGM_RSRC2:TRAP_HANDLER: 0
; COMPUTE_PGM_RSRC2:TGID_X_EN: 1
; COMPUTE_PGM_RSRC2:TGID_Y_EN: 1
; COMPUTE_PGM_RSRC2:TGID_Z_EN: 1
; COMPUTE_PGM_RSRC2:TIDIG_COMP_CNT: 1
	.section	.text._ZL29rocblas_internal_gemmt_kernelIlLi16ELi32ELi8ELc67ELc84ELc76ELb0ELb0EffPKPKfPKPfEviT_T9_T10_S7_lS9_S7_lS8_T11_S7_li,"axG",@progbits,_ZL29rocblas_internal_gemmt_kernelIlLi16ELi32ELi8ELc67ELc84ELc76ELb0ELb0EffPKPKfPKPfEviT_T9_T10_S7_lS9_S7_lS8_T11_S7_li,comdat
	.globl	_ZL29rocblas_internal_gemmt_kernelIlLi16ELi32ELi8ELc67ELc84ELc76ELb0ELb0EffPKPKfPKPfEviT_T9_T10_S7_lS9_S7_lS8_T11_S7_li ; -- Begin function _ZL29rocblas_internal_gemmt_kernelIlLi16ELi32ELi8ELc67ELc84ELc76ELb0ELb0EffPKPKfPKPfEviT_T9_T10_S7_lS9_S7_lS8_T11_S7_li
	.p2align	8
	.type	_ZL29rocblas_internal_gemmt_kernelIlLi16ELi32ELi8ELc67ELc84ELc76ELb0ELb0EffPKPKfPKPfEviT_T9_T10_S7_lS9_S7_lS8_T11_S7_li,@function
_ZL29rocblas_internal_gemmt_kernelIlLi16ELi32ELi8ELc67ELc84ELc76ELb0ELb0EffPKPKfPKPfEviT_T9_T10_S7_lS9_S7_lS8_T11_S7_li: ; @_ZL29rocblas_internal_gemmt_kernelIlLi16ELi32ELi8ELc67ELc84ELc76ELb0ELb0EffPKPKfPKPfEviT_T9_T10_S7_lS9_S7_lS8_T11_S7_li
; %bb.0:
	s_clause 0x1
	s_load_b32 s27, s[0:1], 0x48
	s_load_b96 s[24:26], s[0:1], 0x8
	s_wait_kmcnt 0x0
	s_cmp_neq_f32 s27, 1.0
	s_cselect_b32 s2, -1, 0
	s_delay_alu instid0(SALU_CYCLE_1)
	s_and_b32 vcc_lo, exec_lo, s2
	s_cbranch_vccnz .LBB466_2
; %bb.1:
	s_cmp_lg_u64 s[24:25], 0
	s_cselect_b32 s2, -1, 0
	s_cmp_neq_f32 s26, 0
	s_cselect_b32 s3, -1, 0
	s_delay_alu instid0(SALU_CYCLE_1)
	s_and_b32 s2, s2, s3
.LBB466_2:
	s_delay_alu instid0(SALU_CYCLE_1)
	s_and_not1_b32 vcc_lo, exec_lo, s2
	s_cbranch_vccnz .LBB466_35
; %bb.3:
	s_load_b32 s30, s[0:1], 0x68
	s_bfe_u32 s2, ttmp6, 0x40014
	s_lshr_b32 s3, ttmp7, 16
	s_add_co_i32 s2, s2, 1
	s_bfe_u32 s5, ttmp6, 0x40008
	s_mul_i32 s4, s3, s2
	s_getreg_b32 s2, hwreg(HW_REG_IB_STS2, 6, 4)
	s_add_co_i32 s5, s5, s4
	s_cmp_eq_u32 s2, 0
	s_mov_b32 s7, 0
	s_cselect_b32 s6, s3, s5
	s_wait_kmcnt 0x0
	s_cmp_ge_u32 s6, s30
	s_cbranch_scc1 .LBB466_35
; %bb.4:
	s_clause 0x4
	s_load_b32 s4, s[0:1], 0x0
	s_load_b256 s[8:15], s[0:1], 0x18
	s_load_b64 s[28:29], s[0:1], 0x60
	s_load_b128 s[16:19], s[0:1], 0x38
	s_load_b128 s[20:23], s[0:1], 0x50
	s_wait_xcnt 0x0
	s_bfe_u32 s0, ttmp6, 0x4000c
	s_bfe_u32 s3, ttmp6, 0x40010
	s_add_co_i32 s0, s0, 1
	s_and_b32 s5, ttmp7, 0xffff
	s_add_co_i32 s3, s3, 1
	v_and_b32_e32 v14, 0x3ff, v0
	v_bfe_u32 v15, v0, 10, 10
	s_and_b32 s1, ttmp6, 15
	s_mul_i32 s0, ttmp9, s0
	s_mul_i32 s3, s5, s3
	s_bfe_u32 s31, ttmp6, 0x40004
	s_add_co_i32 s1, s1, s0
	s_add_co_i32 s31, s31, s3
	s_cmp_eq_u32 s2, 0
	v_lshl_add_u32 v1, v15, 4, v14
	s_cselect_b32 s0, s5, s31
	s_cselect_b32 s1, ttmp9, s1
	s_lshl_b32 s0, s0, 5
	s_delay_alu instid0(VALU_DEP_1) | instskip(SKIP_3) | instid1(VALU_DEP_3)
	v_dual_lshrrev_b32 v2, 5, v1 :: v_dual_bitop2_b32 v0, 7, v0 bitop3:0x40
	v_dual_lshrrev_b32 v1, 3, v1 :: v_dual_bitop2_b32 v3, 31, v1 bitop3:0x40
	v_add_nc_u32_e32 v16, s0, v15
	s_lshl_b32 s2, s1, 5
	v_lshlrev_b32_e32 v5, 2, v0
	s_cmp_neq_f32 s26, 0
	v_dual_add_nc_u32 v4, s0, v1 :: v_dual_bitop2_b32 v12, s2, v3 bitop3:0x54
	v_dual_add_nc_u32 v18, 16, v16 :: v_dual_ashrrev_i32 v17, 31, v16
	v_dual_lshlrev_b32 v3, 2, v3 :: v_dual_lshlrev_b32 v28, 2, v14
	s_delay_alu instid0(VALU_DEP_2) | instskip(SKIP_1) | instid1(VALU_DEP_3)
	v_dual_ashrrev_i32 v13, 31, v12 :: v_dual_ashrrev_i32 v19, 31, v18
	s_wait_kmcnt 0x0
	v_mul_u64_e32 v[8:9], s[22:23], v[16:17]
	v_cmp_gt_i32_e64 s0, s4, v12
	s_cselect_b32 s35, -1, 0
	v_mul_u64_e32 v[6:7], s[10:11], v[12:13]
	v_mul_u64_e32 v[10:11], s[22:23], v[18:19]
	v_add_nc_u32_e32 v12, s2, v14
	v_lshl_or_b32 v5, v1, 5, v5
	v_lshl_or_b32 v1, v2, 7, v3
	s_cmp_neq_f32 s27, 0
	v_cmp_gt_i64_e64 s36, s[24:25], 0
	v_dual_add_nc_u32 v14, 16, v12 :: v_dual_ashrrev_i32 v13, 31, v12
	v_add_nc_u32_e32 v3, 0x400, v5
	v_ashrrev_i32_e32 v5, 31, v4
	v_cmp_le_i32_e32 vcc_lo, v16, v12
	v_cmp_gt_i32_e64 s2, s4, v12
	v_cmp_gt_i32_e64 s1, s4, v4
	s_cselect_b32 s22, -1, 0
	v_cmp_le_i32_e64 s3, v16, v14
	v_cmp_gt_i32_e64 s4, s4, v14
	s_and_b32 s23, vcc_lo, s2
	v_cmp_le_i32_e32 vcc_lo, v18, v12
	v_cmp_le_i32_e64 s5, v18, v14
	v_lshl_add_u32 v29, v15, 5, 0x400
	v_dual_ashrrev_i32 v15, 31, v14 :: v_dual_mov_b32 v17, 0
	s_and_b32 s31, s3, s4
	s_and_b32 s33, vcc_lo, s2
	s_and_b32 s34, s5, s4
	s_and_b32 s35, s35, s36
	s_lshl_b64 s[2:3], s[18:19], 2
	s_lshl_b64 s[4:5], s[12:13], 2
	;; [unrolled: 1-line block ×3, first 2 shown]
	s_branch .LBB466_6
.LBB466_5:                              ;   in Loop: Header=BB466_6 Depth=1
	s_wait_xcnt 0x0
	s_or_b32 exec_lo, exec_lo, s12
	s_add_co_i32 s6, s6, 0x10000
	s_delay_alu instid0(SALU_CYCLE_1)
	s_cmp_lt_u32 s6, s30
	s_cbranch_scc0 .LBB466_35
.LBB466_6:                              ; =>This Loop Header: Depth=1
                                        ;     Child Loop BB466_9 Depth 2
	v_dual_mov_b32 v16, s6 :: v_dual_mov_b32 v23, v17
	v_dual_mov_b32 v22, v17 :: v_dual_mov_b32 v19, v17
	v_mov_b32_e32 v18, v17
	global_load_b64 v[20:21], v16, s[20:21] scale_offset
	s_and_not1_b32 vcc_lo, exec_lo, s35
	s_cbranch_vccnz .LBB466_15
; %bb.7:                                ;   in Loop: Header=BB466_6 Depth=1
	s_lshl_b64 s[12:13], s[6:7], 3
	v_mov_b32_e32 v18, 0
	s_add_nc_u64 s[18:19], s[8:9], s[12:13]
	s_add_nc_u64 s[12:13], s[14:15], s[12:13]
	s_clause 0x1
	global_load_b64 v[22:23], v17, s[18:19]
	global_load_b64 v[24:25], v17, s[12:13]
	s_wait_xcnt 0x0
	s_mov_b64 s[12:13], 0
	v_mov_b32_e32 v19, v18
	s_wait_loadcnt 0x1
	v_add_nc_u64_e32 v[26:27], s[4:5], v[22:23]
	s_wait_loadcnt 0x0
	v_add_nc_u64_e32 v[30:31], s[2:3], v[24:25]
	v_dual_mov_b32 v22, v18 :: v_dual_mov_b32 v23, v18
	s_delay_alu instid0(VALU_DEP_3) | instskip(NEXT) | instid1(VALU_DEP_3)
	v_lshl_add_u64 v[24:25], v[6:7], 2, v[26:27]
	v_lshl_add_u64 v[26:27], v[4:5], 2, v[30:31]
	s_branch .LBB466_9
.LBB466_8:                              ;   in Loop: Header=BB466_9 Depth=2
	s_wait_xcnt 0x0
	s_or_b32 exec_lo, exec_lo, s18
	s_wait_loadcnt_dscnt 0x0
	ds_store_b32 v3, v31
	s_wait_dscnt 0x0
	s_barrier_signal -1
	s_barrier_wait -1
	ds_load_b128 v[30:33], v29
	ds_load_2addr_b32 v[46:47], v28 offset1:16
	ds_load_b128 v[34:37], v29 offset:512
	ds_load_2addr_b32 v[48:49], v28 offset0:32 offset1:48
	ds_load_2addr_b32 v[50:51], v28 offset0:64 offset1:80
	;; [unrolled: 1-line block ×3, first 2 shown]
	ds_load_b128 v[38:41], v29 offset:16
	ds_load_2addr_b32 v[54:55], v28 offset0:128 offset1:144
	ds_load_b128 v[42:45], v29 offset:528
	s_add_nc_u64 s[12:13], s[12:13], 8
	s_delay_alu instid0(SALU_CYCLE_1)
	v_cmp_gt_i64_e64 s18, s[24:25], s[12:13]
	s_and_b32 vcc_lo, exec_lo, s18
	s_wait_dscnt 0x8
	v_mov_b32_e32 v16, v33
	s_wait_dscnt 0x7
	v_pk_fma_f32 v[22:23], v[46:47], v[30:31], v[22:23] op_sel_hi:[1,0,1]
	s_wait_dscnt 0x6
	v_pk_fma_f32 v[18:19], v[46:47], v[34:35], v[18:19] op_sel_hi:[1,0,1]
	ds_load_2addr_b32 v[46:47], v28 offset0:160 offset1:176
	s_wait_dscnt 0x6
	v_pk_fma_f32 v[22:23], v[48:49], v[30:31], v[22:23] op_sel:[0,1,0]
	v_pk_fma_f32 v[18:19], v[48:49], v[34:35], v[18:19] op_sel:[0,1,0]
	ds_load_2addr_b32 v[30:31], v28 offset0:192 offset1:208
	v_mov_b32_e32 v34, v37
	s_wait_dscnt 0x6
	v_pk_fma_f32 v[22:23], v[50:51], v[32:33], v[22:23] op_sel_hi:[1,0,1]
	v_pk_fma_f32 v[18:19], v[50:51], v[36:37], v[18:19] op_sel_hi:[1,0,1]
	ds_load_2addr_b32 v[32:33], v28 offset0:224 offset1:240
	s_wait_dscnt 0x0
	s_barrier_signal -1
	v_pk_fma_f32 v[22:23], v[52:53], v[16:17], v[22:23] op_sel_hi:[1,0,1]
	v_pk_fma_f32 v[18:19], v[52:53], v[34:35], v[18:19] op_sel_hi:[1,0,1]
	v_dual_mov_b32 v16, v41 :: v_dual_mov_b32 v34, v45
	s_barrier_wait -1
	s_delay_alu instid0(VALU_DEP_3) | instskip(NEXT) | instid1(VALU_DEP_3)
	v_pk_fma_f32 v[22:23], v[54:55], v[38:39], v[22:23] op_sel_hi:[1,0,1]
	v_pk_fma_f32 v[18:19], v[54:55], v[42:43], v[18:19] op_sel_hi:[1,0,1]
	s_delay_alu instid0(VALU_DEP_2) | instskip(NEXT) | instid1(VALU_DEP_2)
	v_pk_fma_f32 v[22:23], v[46:47], v[38:39], v[22:23] op_sel:[0,1,0]
	v_pk_fma_f32 v[18:19], v[46:47], v[42:43], v[18:19] op_sel:[0,1,0]
	s_delay_alu instid0(VALU_DEP_2) | instskip(NEXT) | instid1(VALU_DEP_2)
	v_pk_fma_f32 v[22:23], v[30:31], v[40:41], v[22:23] op_sel_hi:[1,0,1]
	v_pk_fma_f32 v[18:19], v[30:31], v[44:45], v[18:19] op_sel_hi:[1,0,1]
	s_delay_alu instid0(VALU_DEP_2) | instskip(NEXT) | instid1(VALU_DEP_2)
	v_pk_fma_f32 v[22:23], v[32:33], v[16:17], v[22:23] op_sel_hi:[1,0,1]
	v_pk_fma_f32 v[18:19], v[32:33], v[34:35], v[18:19] op_sel_hi:[1,0,1]
	s_cbranch_vccz .LBB466_15
.LBB466_9:                              ;   Parent Loop BB466_6 Depth=1
                                        ; =>  This Inner Loop Header: Depth=2
	v_mov_b32_e32 v30, 0
	s_and_saveexec_b32 s18, s0
	s_cbranch_execz .LBB466_13
; %bb.10:                               ;   in Loop: Header=BB466_9 Depth=2
	v_dual_add_nc_u32 v16, s12, v2 :: v_dual_mov_b32 v30, 0
	s_mov_b32 s19, exec_lo
	s_delay_alu instid0(VALU_DEP_1)
	v_cmpx_gt_u64_e64 s[24:25], v[16:17]
	s_cbranch_execz .LBB466_12
; %bb.11:                               ;   in Loop: Header=BB466_9 Depth=2
	v_lshl_add_u64 v[30:31], v[16:17], 2, v[24:25]
	flat_load_b32 v30, v[30:31]
.LBB466_12:                             ;   in Loop: Header=BB466_9 Depth=2
	s_wait_xcnt 0x0
	s_or_b32 exec_lo, exec_lo, s19
.LBB466_13:                             ;   in Loop: Header=BB466_9 Depth=2
	s_delay_alu instid0(SALU_CYCLE_1)
	s_or_b32 exec_lo, exec_lo, s18
	v_dual_mov_b32 v31, 0 :: v_dual_add_nc_u32 v16, s12, v0
	s_wait_loadcnt_dscnt 0x0
	ds_store_b32 v1, v30
	v_cmp_gt_u64_e32 vcc_lo, s[24:25], v[16:17]
	s_and_b32 s19, vcc_lo, s1
	s_delay_alu instid0(SALU_CYCLE_1)
	s_and_saveexec_b32 s18, s19
	s_cbranch_execz .LBB466_8
; %bb.14:                               ;   in Loop: Header=BB466_9 Depth=2
	v_mul_u64_e32 v[30:31], s[16:17], v[16:17]
	s_delay_alu instid0(VALU_DEP_1)
	v_lshl_add_u64 v[30:31], v[30:31], 2, v[26:27]
	flat_load_b32 v31, v[30:31]
	s_branch .LBB466_8
.LBB466_15:                             ;   in Loop: Header=BB466_6 Depth=1
	s_wait_loadcnt 0x0
	v_add_nc_u64_e32 v[20:21], s[10:11], v[20:21]
	s_delay_alu instid0(VALU_DEP_1)
	v_lshl_add_u64 v[24:25], v[8:9], 2, v[20:21]
	s_wait_xcnt 0x0
	s_and_saveexec_b32 s12, s23
	s_cbranch_execz .LBB466_19
; %bb.16:                               ;   in Loop: Header=BB466_6 Depth=1
	v_mul_f32_e32 v16, s26, v22
	v_lshl_add_u64 v[26:27], v[12:13], 2, v[24:25]
	s_and_b32 vcc_lo, exec_lo, s22
	s_cbranch_vccz .LBB466_30
; %bb.17:                               ;   in Loop: Header=BB466_6 Depth=1
	flat_load_b32 v22, v[26:27]
	s_wait_loadcnt_dscnt 0x0
	v_fma_f32 v22, s27, v22, v16
	flat_store_b32 v[26:27], v22
	s_cbranch_execnz .LBB466_19
.LBB466_18:                             ;   in Loop: Header=BB466_6 Depth=1
	flat_store_b32 v[26:27], v16
.LBB466_19:                             ;   in Loop: Header=BB466_6 Depth=1
	s_wait_xcnt 0x0
	s_or_b32 exec_lo, exec_lo, s12
	s_and_saveexec_b32 s12, s31
	s_cbranch_execz .LBB466_23
; %bb.20:                               ;   in Loop: Header=BB466_6 Depth=1
	v_mul_f32_e32 v16, s26, v23
	v_lshl_add_u64 v[22:23], v[14:15], 2, v[24:25]
	s_and_not1_b32 vcc_lo, exec_lo, s22
	s_cbranch_vccnz .LBB466_31
; %bb.21:                               ;   in Loop: Header=BB466_6 Depth=1
	flat_load_b32 v24, v[22:23]
	s_wait_loadcnt_dscnt 0x0
	v_fma_f32 v24, s27, v24, v16
	flat_store_b32 v[22:23], v24
	s_cbranch_execnz .LBB466_23
.LBB466_22:                             ;   in Loop: Header=BB466_6 Depth=1
	flat_store_b32 v[22:23], v16
.LBB466_23:                             ;   in Loop: Header=BB466_6 Depth=1
	s_wait_xcnt 0x0
	s_or_b32 exec_lo, exec_lo, s12
	v_lshl_add_u64 v[20:21], v[10:11], 2, v[20:21]
	s_and_saveexec_b32 s12, s33
	s_cbranch_execz .LBB466_27
; %bb.24:                               ;   in Loop: Header=BB466_6 Depth=1
	v_mul_f32_e32 v16, s26, v18
	s_delay_alu instid0(VALU_DEP_2)
	v_lshl_add_u64 v[22:23], v[12:13], 2, v[20:21]
	s_and_not1_b32 vcc_lo, exec_lo, s22
	s_cbranch_vccnz .LBB466_32
; %bb.25:                               ;   in Loop: Header=BB466_6 Depth=1
	flat_load_b32 v18, v[22:23]
	s_wait_loadcnt_dscnt 0x0
	v_fma_f32 v18, s27, v18, v16
	flat_store_b32 v[22:23], v18
	s_cbranch_execnz .LBB466_27
.LBB466_26:                             ;   in Loop: Header=BB466_6 Depth=1
	flat_store_b32 v[22:23], v16
.LBB466_27:                             ;   in Loop: Header=BB466_6 Depth=1
	s_wait_xcnt 0x0
	s_or_b32 exec_lo, exec_lo, s12
	s_and_saveexec_b32 s12, s34
	s_cbranch_execz .LBB466_5
; %bb.28:                               ;   in Loop: Header=BB466_6 Depth=1
	v_mul_f32_e32 v16, s26, v19
	v_lshl_add_u64 v[18:19], v[14:15], 2, v[20:21]
	s_and_not1_b32 vcc_lo, exec_lo, s22
	s_cbranch_vccnz .LBB466_33
; %bb.29:                               ;   in Loop: Header=BB466_6 Depth=1
	flat_load_b32 v20, v[18:19]
	s_wait_loadcnt_dscnt 0x0
	v_fma_f32 v20, s27, v20, v16
	flat_store_b32 v[18:19], v20
	s_cbranch_execnz .LBB466_5
	s_branch .LBB466_34
.LBB466_30:                             ;   in Loop: Header=BB466_6 Depth=1
	s_branch .LBB466_18
.LBB466_31:                             ;   in Loop: Header=BB466_6 Depth=1
	s_branch .LBB466_22
.LBB466_32:                             ;   in Loop: Header=BB466_6 Depth=1
	s_branch .LBB466_26
.LBB466_33:                             ;   in Loop: Header=BB466_6 Depth=1
.LBB466_34:                             ;   in Loop: Header=BB466_6 Depth=1
	flat_store_b32 v[18:19], v16
	s_branch .LBB466_5
.LBB466_35:
	s_endpgm
	.section	.rodata,"a",@progbits
	.p2align	6, 0x0
	.amdhsa_kernel _ZL29rocblas_internal_gemmt_kernelIlLi16ELi32ELi8ELc67ELc84ELc76ELb0ELb0EffPKPKfPKPfEviT_T9_T10_S7_lS9_S7_lS8_T11_S7_li
		.amdhsa_group_segment_fixed_size 2048
		.amdhsa_private_segment_fixed_size 0
		.amdhsa_kernarg_size 108
		.amdhsa_user_sgpr_count 2
		.amdhsa_user_sgpr_dispatch_ptr 0
		.amdhsa_user_sgpr_queue_ptr 0
		.amdhsa_user_sgpr_kernarg_segment_ptr 1
		.amdhsa_user_sgpr_dispatch_id 0
		.amdhsa_user_sgpr_kernarg_preload_length 0
		.amdhsa_user_sgpr_kernarg_preload_offset 0
		.amdhsa_user_sgpr_private_segment_size 0
		.amdhsa_wavefront_size32 1
		.amdhsa_uses_dynamic_stack 0
		.amdhsa_enable_private_segment 0
		.amdhsa_system_sgpr_workgroup_id_x 1
		.amdhsa_system_sgpr_workgroup_id_y 1
		.amdhsa_system_sgpr_workgroup_id_z 1
		.amdhsa_system_sgpr_workgroup_info 0
		.amdhsa_system_vgpr_workitem_id 1
		.amdhsa_next_free_vgpr 56
		.amdhsa_next_free_sgpr 37
		.amdhsa_named_barrier_count 0
		.amdhsa_reserve_vcc 1
		.amdhsa_float_round_mode_32 0
		.amdhsa_float_round_mode_16_64 0
		.amdhsa_float_denorm_mode_32 3
		.amdhsa_float_denorm_mode_16_64 3
		.amdhsa_fp16_overflow 0
		.amdhsa_memory_ordered 1
		.amdhsa_forward_progress 1
		.amdhsa_inst_pref_size 13
		.amdhsa_round_robin_scheduling 0
		.amdhsa_exception_fp_ieee_invalid_op 0
		.amdhsa_exception_fp_denorm_src 0
		.amdhsa_exception_fp_ieee_div_zero 0
		.amdhsa_exception_fp_ieee_overflow 0
		.amdhsa_exception_fp_ieee_underflow 0
		.amdhsa_exception_fp_ieee_inexact 0
		.amdhsa_exception_int_div_zero 0
	.end_amdhsa_kernel
	.section	.text._ZL29rocblas_internal_gemmt_kernelIlLi16ELi32ELi8ELc67ELc84ELc76ELb0ELb0EffPKPKfPKPfEviT_T9_T10_S7_lS9_S7_lS8_T11_S7_li,"axG",@progbits,_ZL29rocblas_internal_gemmt_kernelIlLi16ELi32ELi8ELc67ELc84ELc76ELb0ELb0EffPKPKfPKPfEviT_T9_T10_S7_lS9_S7_lS8_T11_S7_li,comdat
.Lfunc_end466:
	.size	_ZL29rocblas_internal_gemmt_kernelIlLi16ELi32ELi8ELc67ELc84ELc76ELb0ELb0EffPKPKfPKPfEviT_T9_T10_S7_lS9_S7_lS8_T11_S7_li, .Lfunc_end466-_ZL29rocblas_internal_gemmt_kernelIlLi16ELi32ELi8ELc67ELc84ELc76ELb0ELb0EffPKPKfPKPfEviT_T9_T10_S7_lS9_S7_lS8_T11_S7_li
                                        ; -- End function
	.set _ZL29rocblas_internal_gemmt_kernelIlLi16ELi32ELi8ELc67ELc84ELc76ELb0ELb0EffPKPKfPKPfEviT_T9_T10_S7_lS9_S7_lS8_T11_S7_li.num_vgpr, 56
	.set _ZL29rocblas_internal_gemmt_kernelIlLi16ELi32ELi8ELc67ELc84ELc76ELb0ELb0EffPKPKfPKPfEviT_T9_T10_S7_lS9_S7_lS8_T11_S7_li.num_agpr, 0
	.set _ZL29rocblas_internal_gemmt_kernelIlLi16ELi32ELi8ELc67ELc84ELc76ELb0ELb0EffPKPKfPKPfEviT_T9_T10_S7_lS9_S7_lS8_T11_S7_li.numbered_sgpr, 37
	.set _ZL29rocblas_internal_gemmt_kernelIlLi16ELi32ELi8ELc67ELc84ELc76ELb0ELb0EffPKPKfPKPfEviT_T9_T10_S7_lS9_S7_lS8_T11_S7_li.num_named_barrier, 0
	.set _ZL29rocblas_internal_gemmt_kernelIlLi16ELi32ELi8ELc67ELc84ELc76ELb0ELb0EffPKPKfPKPfEviT_T9_T10_S7_lS9_S7_lS8_T11_S7_li.private_seg_size, 0
	.set _ZL29rocblas_internal_gemmt_kernelIlLi16ELi32ELi8ELc67ELc84ELc76ELb0ELb0EffPKPKfPKPfEviT_T9_T10_S7_lS9_S7_lS8_T11_S7_li.uses_vcc, 1
	.set _ZL29rocblas_internal_gemmt_kernelIlLi16ELi32ELi8ELc67ELc84ELc76ELb0ELb0EffPKPKfPKPfEviT_T9_T10_S7_lS9_S7_lS8_T11_S7_li.uses_flat_scratch, 0
	.set _ZL29rocblas_internal_gemmt_kernelIlLi16ELi32ELi8ELc67ELc84ELc76ELb0ELb0EffPKPKfPKPfEviT_T9_T10_S7_lS9_S7_lS8_T11_S7_li.has_dyn_sized_stack, 0
	.set _ZL29rocblas_internal_gemmt_kernelIlLi16ELi32ELi8ELc67ELc84ELc76ELb0ELb0EffPKPKfPKPfEviT_T9_T10_S7_lS9_S7_lS8_T11_S7_li.has_recursion, 0
	.set _ZL29rocblas_internal_gemmt_kernelIlLi16ELi32ELi8ELc67ELc84ELc76ELb0ELb0EffPKPKfPKPfEviT_T9_T10_S7_lS9_S7_lS8_T11_S7_li.has_indirect_call, 0
	.section	.AMDGPU.csdata,"",@progbits
; Kernel info:
; codeLenInByte = 1664
; TotalNumSgprs: 39
; NumVgprs: 56
; ScratchSize: 0
; MemoryBound: 0
; FloatMode: 240
; IeeeMode: 1
; LDSByteSize: 2048 bytes/workgroup (compile time only)
; SGPRBlocks: 0
; VGPRBlocks: 3
; NumSGPRsForWavesPerEU: 39
; NumVGPRsForWavesPerEU: 56
; NamedBarCnt: 0
; Occupancy: 16
; WaveLimiterHint : 1
; COMPUTE_PGM_RSRC2:SCRATCH_EN: 0
; COMPUTE_PGM_RSRC2:USER_SGPR: 2
; COMPUTE_PGM_RSRC2:TRAP_HANDLER: 0
; COMPUTE_PGM_RSRC2:TGID_X_EN: 1
; COMPUTE_PGM_RSRC2:TGID_Y_EN: 1
; COMPUTE_PGM_RSRC2:TGID_Z_EN: 1
; COMPUTE_PGM_RSRC2:TIDIG_COMP_CNT: 1
	.section	.text._ZL29rocblas_internal_gemmt_kernelIlLi16ELi32ELi8ELc67ELc67ELc76ELb0ELb0EffPKPKfPKPfEviT_T9_T10_S7_lS9_S7_lS8_T11_S7_li,"axG",@progbits,_ZL29rocblas_internal_gemmt_kernelIlLi16ELi32ELi8ELc67ELc67ELc76ELb0ELb0EffPKPKfPKPfEviT_T9_T10_S7_lS9_S7_lS8_T11_S7_li,comdat
	.globl	_ZL29rocblas_internal_gemmt_kernelIlLi16ELi32ELi8ELc67ELc67ELc76ELb0ELb0EffPKPKfPKPfEviT_T9_T10_S7_lS9_S7_lS8_T11_S7_li ; -- Begin function _ZL29rocblas_internal_gemmt_kernelIlLi16ELi32ELi8ELc67ELc67ELc76ELb0ELb0EffPKPKfPKPfEviT_T9_T10_S7_lS9_S7_lS8_T11_S7_li
	.p2align	8
	.type	_ZL29rocblas_internal_gemmt_kernelIlLi16ELi32ELi8ELc67ELc67ELc76ELb0ELb0EffPKPKfPKPfEviT_T9_T10_S7_lS9_S7_lS8_T11_S7_li,@function
_ZL29rocblas_internal_gemmt_kernelIlLi16ELi32ELi8ELc67ELc67ELc76ELb0ELb0EffPKPKfPKPfEviT_T9_T10_S7_lS9_S7_lS8_T11_S7_li: ; @_ZL29rocblas_internal_gemmt_kernelIlLi16ELi32ELi8ELc67ELc67ELc76ELb0ELb0EffPKPKfPKPfEviT_T9_T10_S7_lS9_S7_lS8_T11_S7_li
; %bb.0:
	s_clause 0x1
	s_load_b32 s27, s[0:1], 0x48
	s_load_b96 s[24:26], s[0:1], 0x8
	s_wait_kmcnt 0x0
	s_cmp_neq_f32 s27, 1.0
	s_cselect_b32 s2, -1, 0
	s_delay_alu instid0(SALU_CYCLE_1)
	s_and_b32 vcc_lo, exec_lo, s2
	s_cbranch_vccnz .LBB467_2
; %bb.1:
	s_cmp_lg_u64 s[24:25], 0
	s_cselect_b32 s2, -1, 0
	s_cmp_neq_f32 s26, 0
	s_cselect_b32 s3, -1, 0
	s_delay_alu instid0(SALU_CYCLE_1)
	s_and_b32 s2, s2, s3
.LBB467_2:
	s_delay_alu instid0(SALU_CYCLE_1)
	s_and_not1_b32 vcc_lo, exec_lo, s2
	s_cbranch_vccnz .LBB467_35
; %bb.3:
	s_load_b32 s30, s[0:1], 0x68
	s_bfe_u32 s2, ttmp6, 0x40014
	s_lshr_b32 s3, ttmp7, 16
	s_add_co_i32 s2, s2, 1
	s_bfe_u32 s5, ttmp6, 0x40008
	s_mul_i32 s4, s3, s2
	s_getreg_b32 s2, hwreg(HW_REG_IB_STS2, 6, 4)
	s_add_co_i32 s5, s5, s4
	s_cmp_eq_u32 s2, 0
	s_mov_b32 s7, 0
	s_cselect_b32 s6, s3, s5
	s_wait_kmcnt 0x0
	s_cmp_ge_u32 s6, s30
	s_cbranch_scc1 .LBB467_35
; %bb.4:
	s_clause 0x4
	s_load_b32 s4, s[0:1], 0x0
	s_load_b256 s[8:15], s[0:1], 0x18
	s_load_b64 s[28:29], s[0:1], 0x60
	s_load_b128 s[16:19], s[0:1], 0x38
	s_load_b128 s[20:23], s[0:1], 0x50
	s_wait_xcnt 0x0
	s_bfe_u32 s0, ttmp6, 0x4000c
	s_bfe_u32 s3, ttmp6, 0x40010
	s_add_co_i32 s0, s0, 1
	s_and_b32 s5, ttmp7, 0xffff
	s_add_co_i32 s3, s3, 1
	v_and_b32_e32 v14, 0x3ff, v0
	v_bfe_u32 v15, v0, 10, 10
	s_and_b32 s1, ttmp6, 15
	s_mul_i32 s0, ttmp9, s0
	s_mul_i32 s3, s5, s3
	s_bfe_u32 s31, ttmp6, 0x40004
	s_add_co_i32 s1, s1, s0
	s_add_co_i32 s31, s31, s3
	s_cmp_eq_u32 s2, 0
	v_lshl_add_u32 v1, v15, 4, v14
	s_cselect_b32 s0, s5, s31
	s_cselect_b32 s1, ttmp9, s1
	s_lshl_b32 s0, s0, 5
	s_delay_alu instid0(VALU_DEP_1) | instskip(SKIP_3) | instid1(VALU_DEP_3)
	v_dual_lshrrev_b32 v2, 5, v1 :: v_dual_bitop2_b32 v0, 7, v0 bitop3:0x40
	v_dual_lshrrev_b32 v1, 3, v1 :: v_dual_bitop2_b32 v3, 31, v1 bitop3:0x40
	v_add_nc_u32_e32 v16, s0, v15
	s_lshl_b32 s2, s1, 5
	v_lshlrev_b32_e32 v5, 2, v0
	s_cmp_neq_f32 s26, 0
	v_dual_add_nc_u32 v4, s0, v1 :: v_dual_bitop2_b32 v12, s2, v3 bitop3:0x54
	v_dual_add_nc_u32 v18, 16, v16 :: v_dual_ashrrev_i32 v17, 31, v16
	v_dual_lshlrev_b32 v3, 2, v3 :: v_dual_lshlrev_b32 v28, 2, v14
	s_delay_alu instid0(VALU_DEP_2) | instskip(SKIP_1) | instid1(VALU_DEP_3)
	v_dual_ashrrev_i32 v13, 31, v12 :: v_dual_ashrrev_i32 v19, 31, v18
	s_wait_kmcnt 0x0
	v_mul_u64_e32 v[8:9], s[22:23], v[16:17]
	v_cmp_gt_i32_e64 s0, s4, v12
	s_cselect_b32 s35, -1, 0
	v_mul_u64_e32 v[6:7], s[10:11], v[12:13]
	v_mul_u64_e32 v[10:11], s[22:23], v[18:19]
	v_add_nc_u32_e32 v12, s2, v14
	v_lshl_or_b32 v5, v1, 5, v5
	v_lshl_or_b32 v1, v2, 7, v3
	s_cmp_neq_f32 s27, 0
	v_cmp_gt_i64_e64 s36, s[24:25], 0
	v_dual_add_nc_u32 v14, 16, v12 :: v_dual_ashrrev_i32 v13, 31, v12
	v_add_nc_u32_e32 v3, 0x400, v5
	v_ashrrev_i32_e32 v5, 31, v4
	v_cmp_le_i32_e32 vcc_lo, v16, v12
	v_cmp_gt_i32_e64 s2, s4, v12
	v_cmp_gt_i32_e64 s1, s4, v4
	s_cselect_b32 s22, -1, 0
	v_cmp_le_i32_e64 s3, v16, v14
	v_cmp_gt_i32_e64 s4, s4, v14
	s_and_b32 s23, vcc_lo, s2
	v_cmp_le_i32_e32 vcc_lo, v18, v12
	v_cmp_le_i32_e64 s5, v18, v14
	v_lshl_add_u32 v29, v15, 5, 0x400
	v_dual_ashrrev_i32 v15, 31, v14 :: v_dual_mov_b32 v17, 0
	s_and_b32 s31, s3, s4
	s_and_b32 s33, vcc_lo, s2
	s_and_b32 s34, s5, s4
	s_and_b32 s35, s35, s36
	s_lshl_b64 s[2:3], s[18:19], 2
	s_lshl_b64 s[4:5], s[12:13], 2
	;; [unrolled: 1-line block ×3, first 2 shown]
	s_branch .LBB467_6
.LBB467_5:                              ;   in Loop: Header=BB467_6 Depth=1
	s_wait_xcnt 0x0
	s_or_b32 exec_lo, exec_lo, s12
	s_add_co_i32 s6, s6, 0x10000
	s_delay_alu instid0(SALU_CYCLE_1)
	s_cmp_lt_u32 s6, s30
	s_cbranch_scc0 .LBB467_35
.LBB467_6:                              ; =>This Loop Header: Depth=1
                                        ;     Child Loop BB467_9 Depth 2
	v_dual_mov_b32 v16, s6 :: v_dual_mov_b32 v23, v17
	v_dual_mov_b32 v22, v17 :: v_dual_mov_b32 v19, v17
	v_mov_b32_e32 v18, v17
	global_load_b64 v[20:21], v16, s[20:21] scale_offset
	s_and_not1_b32 vcc_lo, exec_lo, s35
	s_cbranch_vccnz .LBB467_15
; %bb.7:                                ;   in Loop: Header=BB467_6 Depth=1
	s_lshl_b64 s[12:13], s[6:7], 3
	v_mov_b32_e32 v18, 0
	s_add_nc_u64 s[18:19], s[8:9], s[12:13]
	s_add_nc_u64 s[12:13], s[14:15], s[12:13]
	s_clause 0x1
	global_load_b64 v[22:23], v17, s[18:19]
	global_load_b64 v[24:25], v17, s[12:13]
	s_wait_xcnt 0x0
	s_mov_b64 s[12:13], 0
	v_mov_b32_e32 v19, v18
	s_wait_loadcnt 0x1
	v_add_nc_u64_e32 v[26:27], s[4:5], v[22:23]
	s_wait_loadcnt 0x0
	v_add_nc_u64_e32 v[30:31], s[2:3], v[24:25]
	v_dual_mov_b32 v22, v18 :: v_dual_mov_b32 v23, v18
	s_delay_alu instid0(VALU_DEP_3) | instskip(NEXT) | instid1(VALU_DEP_3)
	v_lshl_add_u64 v[24:25], v[6:7], 2, v[26:27]
	v_lshl_add_u64 v[26:27], v[4:5], 2, v[30:31]
	s_branch .LBB467_9
.LBB467_8:                              ;   in Loop: Header=BB467_9 Depth=2
	s_wait_xcnt 0x0
	s_or_b32 exec_lo, exec_lo, s18
	s_wait_loadcnt_dscnt 0x0
	ds_store_b32 v3, v31
	s_wait_dscnt 0x0
	s_barrier_signal -1
	s_barrier_wait -1
	ds_load_b128 v[30:33], v29
	ds_load_2addr_b32 v[46:47], v28 offset1:16
	ds_load_b128 v[34:37], v29 offset:512
	ds_load_2addr_b32 v[48:49], v28 offset0:32 offset1:48
	ds_load_2addr_b32 v[50:51], v28 offset0:64 offset1:80
	;; [unrolled: 1-line block ×3, first 2 shown]
	ds_load_b128 v[38:41], v29 offset:16
	ds_load_2addr_b32 v[54:55], v28 offset0:128 offset1:144
	ds_load_b128 v[42:45], v29 offset:528
	s_add_nc_u64 s[12:13], s[12:13], 8
	s_delay_alu instid0(SALU_CYCLE_1)
	v_cmp_gt_i64_e64 s18, s[24:25], s[12:13]
	s_and_b32 vcc_lo, exec_lo, s18
	s_wait_dscnt 0x8
	v_mov_b32_e32 v16, v33
	s_wait_dscnt 0x7
	v_pk_fma_f32 v[22:23], v[46:47], v[30:31], v[22:23] op_sel_hi:[1,0,1]
	s_wait_dscnt 0x6
	v_pk_fma_f32 v[18:19], v[46:47], v[34:35], v[18:19] op_sel_hi:[1,0,1]
	ds_load_2addr_b32 v[46:47], v28 offset0:160 offset1:176
	s_wait_dscnt 0x6
	v_pk_fma_f32 v[22:23], v[48:49], v[30:31], v[22:23] op_sel:[0,1,0]
	v_pk_fma_f32 v[18:19], v[48:49], v[34:35], v[18:19] op_sel:[0,1,0]
	ds_load_2addr_b32 v[30:31], v28 offset0:192 offset1:208
	v_mov_b32_e32 v34, v37
	s_wait_dscnt 0x6
	v_pk_fma_f32 v[22:23], v[50:51], v[32:33], v[22:23] op_sel_hi:[1,0,1]
	v_pk_fma_f32 v[18:19], v[50:51], v[36:37], v[18:19] op_sel_hi:[1,0,1]
	ds_load_2addr_b32 v[32:33], v28 offset0:224 offset1:240
	s_wait_dscnt 0x0
	s_barrier_signal -1
	v_pk_fma_f32 v[22:23], v[52:53], v[16:17], v[22:23] op_sel_hi:[1,0,1]
	v_pk_fma_f32 v[18:19], v[52:53], v[34:35], v[18:19] op_sel_hi:[1,0,1]
	v_dual_mov_b32 v16, v41 :: v_dual_mov_b32 v34, v45
	s_barrier_wait -1
	s_delay_alu instid0(VALU_DEP_3) | instskip(NEXT) | instid1(VALU_DEP_3)
	v_pk_fma_f32 v[22:23], v[54:55], v[38:39], v[22:23] op_sel_hi:[1,0,1]
	v_pk_fma_f32 v[18:19], v[54:55], v[42:43], v[18:19] op_sel_hi:[1,0,1]
	s_delay_alu instid0(VALU_DEP_2) | instskip(NEXT) | instid1(VALU_DEP_2)
	v_pk_fma_f32 v[22:23], v[46:47], v[38:39], v[22:23] op_sel:[0,1,0]
	v_pk_fma_f32 v[18:19], v[46:47], v[42:43], v[18:19] op_sel:[0,1,0]
	s_delay_alu instid0(VALU_DEP_2) | instskip(NEXT) | instid1(VALU_DEP_2)
	v_pk_fma_f32 v[22:23], v[30:31], v[40:41], v[22:23] op_sel_hi:[1,0,1]
	v_pk_fma_f32 v[18:19], v[30:31], v[44:45], v[18:19] op_sel_hi:[1,0,1]
	s_delay_alu instid0(VALU_DEP_2) | instskip(NEXT) | instid1(VALU_DEP_2)
	v_pk_fma_f32 v[22:23], v[32:33], v[16:17], v[22:23] op_sel_hi:[1,0,1]
	v_pk_fma_f32 v[18:19], v[32:33], v[34:35], v[18:19] op_sel_hi:[1,0,1]
	s_cbranch_vccz .LBB467_15
.LBB467_9:                              ;   Parent Loop BB467_6 Depth=1
                                        ; =>  This Inner Loop Header: Depth=2
	v_mov_b32_e32 v30, 0
	s_and_saveexec_b32 s18, s0
	s_cbranch_execz .LBB467_13
; %bb.10:                               ;   in Loop: Header=BB467_9 Depth=2
	v_dual_add_nc_u32 v16, s12, v2 :: v_dual_mov_b32 v30, 0
	s_mov_b32 s19, exec_lo
	s_delay_alu instid0(VALU_DEP_1)
	v_cmpx_gt_u64_e64 s[24:25], v[16:17]
	s_cbranch_execz .LBB467_12
; %bb.11:                               ;   in Loop: Header=BB467_9 Depth=2
	v_lshl_add_u64 v[30:31], v[16:17], 2, v[24:25]
	flat_load_b32 v30, v[30:31]
.LBB467_12:                             ;   in Loop: Header=BB467_9 Depth=2
	s_wait_xcnt 0x0
	s_or_b32 exec_lo, exec_lo, s19
.LBB467_13:                             ;   in Loop: Header=BB467_9 Depth=2
	s_delay_alu instid0(SALU_CYCLE_1)
	s_or_b32 exec_lo, exec_lo, s18
	v_dual_mov_b32 v31, 0 :: v_dual_add_nc_u32 v16, s12, v0
	s_wait_loadcnt_dscnt 0x0
	ds_store_b32 v1, v30
	v_cmp_gt_u64_e32 vcc_lo, s[24:25], v[16:17]
	s_and_b32 s19, vcc_lo, s1
	s_delay_alu instid0(SALU_CYCLE_1)
	s_and_saveexec_b32 s18, s19
	s_cbranch_execz .LBB467_8
; %bb.14:                               ;   in Loop: Header=BB467_9 Depth=2
	v_mul_u64_e32 v[30:31], s[16:17], v[16:17]
	s_delay_alu instid0(VALU_DEP_1)
	v_lshl_add_u64 v[30:31], v[30:31], 2, v[26:27]
	flat_load_b32 v31, v[30:31]
	s_branch .LBB467_8
.LBB467_15:                             ;   in Loop: Header=BB467_6 Depth=1
	s_wait_loadcnt 0x0
	v_add_nc_u64_e32 v[20:21], s[10:11], v[20:21]
	s_delay_alu instid0(VALU_DEP_1)
	v_lshl_add_u64 v[24:25], v[8:9], 2, v[20:21]
	s_wait_xcnt 0x0
	s_and_saveexec_b32 s12, s23
	s_cbranch_execz .LBB467_19
; %bb.16:                               ;   in Loop: Header=BB467_6 Depth=1
	v_mul_f32_e32 v16, s26, v22
	v_lshl_add_u64 v[26:27], v[12:13], 2, v[24:25]
	s_and_b32 vcc_lo, exec_lo, s22
	s_cbranch_vccz .LBB467_30
; %bb.17:                               ;   in Loop: Header=BB467_6 Depth=1
	flat_load_b32 v22, v[26:27]
	s_wait_loadcnt_dscnt 0x0
	v_fma_f32 v22, s27, v22, v16
	flat_store_b32 v[26:27], v22
	s_cbranch_execnz .LBB467_19
.LBB467_18:                             ;   in Loop: Header=BB467_6 Depth=1
	flat_store_b32 v[26:27], v16
.LBB467_19:                             ;   in Loop: Header=BB467_6 Depth=1
	s_wait_xcnt 0x0
	s_or_b32 exec_lo, exec_lo, s12
	s_and_saveexec_b32 s12, s31
	s_cbranch_execz .LBB467_23
; %bb.20:                               ;   in Loop: Header=BB467_6 Depth=1
	v_mul_f32_e32 v16, s26, v23
	v_lshl_add_u64 v[22:23], v[14:15], 2, v[24:25]
	s_and_not1_b32 vcc_lo, exec_lo, s22
	s_cbranch_vccnz .LBB467_31
; %bb.21:                               ;   in Loop: Header=BB467_6 Depth=1
	flat_load_b32 v24, v[22:23]
	s_wait_loadcnt_dscnt 0x0
	v_fma_f32 v24, s27, v24, v16
	flat_store_b32 v[22:23], v24
	s_cbranch_execnz .LBB467_23
.LBB467_22:                             ;   in Loop: Header=BB467_6 Depth=1
	flat_store_b32 v[22:23], v16
.LBB467_23:                             ;   in Loop: Header=BB467_6 Depth=1
	s_wait_xcnt 0x0
	s_or_b32 exec_lo, exec_lo, s12
	v_lshl_add_u64 v[20:21], v[10:11], 2, v[20:21]
	s_and_saveexec_b32 s12, s33
	s_cbranch_execz .LBB467_27
; %bb.24:                               ;   in Loop: Header=BB467_6 Depth=1
	v_mul_f32_e32 v16, s26, v18
	s_delay_alu instid0(VALU_DEP_2)
	v_lshl_add_u64 v[22:23], v[12:13], 2, v[20:21]
	s_and_not1_b32 vcc_lo, exec_lo, s22
	s_cbranch_vccnz .LBB467_32
; %bb.25:                               ;   in Loop: Header=BB467_6 Depth=1
	flat_load_b32 v18, v[22:23]
	s_wait_loadcnt_dscnt 0x0
	v_fma_f32 v18, s27, v18, v16
	flat_store_b32 v[22:23], v18
	s_cbranch_execnz .LBB467_27
.LBB467_26:                             ;   in Loop: Header=BB467_6 Depth=1
	flat_store_b32 v[22:23], v16
.LBB467_27:                             ;   in Loop: Header=BB467_6 Depth=1
	s_wait_xcnt 0x0
	s_or_b32 exec_lo, exec_lo, s12
	s_and_saveexec_b32 s12, s34
	s_cbranch_execz .LBB467_5
; %bb.28:                               ;   in Loop: Header=BB467_6 Depth=1
	v_mul_f32_e32 v16, s26, v19
	v_lshl_add_u64 v[18:19], v[14:15], 2, v[20:21]
	s_and_not1_b32 vcc_lo, exec_lo, s22
	s_cbranch_vccnz .LBB467_33
; %bb.29:                               ;   in Loop: Header=BB467_6 Depth=1
	flat_load_b32 v20, v[18:19]
	s_wait_loadcnt_dscnt 0x0
	v_fma_f32 v20, s27, v20, v16
	flat_store_b32 v[18:19], v20
	s_cbranch_execnz .LBB467_5
	s_branch .LBB467_34
.LBB467_30:                             ;   in Loop: Header=BB467_6 Depth=1
	s_branch .LBB467_18
.LBB467_31:                             ;   in Loop: Header=BB467_6 Depth=1
	s_branch .LBB467_22
.LBB467_32:                             ;   in Loop: Header=BB467_6 Depth=1
	s_branch .LBB467_26
.LBB467_33:                             ;   in Loop: Header=BB467_6 Depth=1
.LBB467_34:                             ;   in Loop: Header=BB467_6 Depth=1
	flat_store_b32 v[18:19], v16
	s_branch .LBB467_5
.LBB467_35:
	s_endpgm
	.section	.rodata,"a",@progbits
	.p2align	6, 0x0
	.amdhsa_kernel _ZL29rocblas_internal_gemmt_kernelIlLi16ELi32ELi8ELc67ELc67ELc76ELb0ELb0EffPKPKfPKPfEviT_T9_T10_S7_lS9_S7_lS8_T11_S7_li
		.amdhsa_group_segment_fixed_size 2048
		.amdhsa_private_segment_fixed_size 0
		.amdhsa_kernarg_size 108
		.amdhsa_user_sgpr_count 2
		.amdhsa_user_sgpr_dispatch_ptr 0
		.amdhsa_user_sgpr_queue_ptr 0
		.amdhsa_user_sgpr_kernarg_segment_ptr 1
		.amdhsa_user_sgpr_dispatch_id 0
		.amdhsa_user_sgpr_kernarg_preload_length 0
		.amdhsa_user_sgpr_kernarg_preload_offset 0
		.amdhsa_user_sgpr_private_segment_size 0
		.amdhsa_wavefront_size32 1
		.amdhsa_uses_dynamic_stack 0
		.amdhsa_enable_private_segment 0
		.amdhsa_system_sgpr_workgroup_id_x 1
		.amdhsa_system_sgpr_workgroup_id_y 1
		.amdhsa_system_sgpr_workgroup_id_z 1
		.amdhsa_system_sgpr_workgroup_info 0
		.amdhsa_system_vgpr_workitem_id 1
		.amdhsa_next_free_vgpr 56
		.amdhsa_next_free_sgpr 37
		.amdhsa_named_barrier_count 0
		.amdhsa_reserve_vcc 1
		.amdhsa_float_round_mode_32 0
		.amdhsa_float_round_mode_16_64 0
		.amdhsa_float_denorm_mode_32 3
		.amdhsa_float_denorm_mode_16_64 3
		.amdhsa_fp16_overflow 0
		.amdhsa_memory_ordered 1
		.amdhsa_forward_progress 1
		.amdhsa_inst_pref_size 13
		.amdhsa_round_robin_scheduling 0
		.amdhsa_exception_fp_ieee_invalid_op 0
		.amdhsa_exception_fp_denorm_src 0
		.amdhsa_exception_fp_ieee_div_zero 0
		.amdhsa_exception_fp_ieee_overflow 0
		.amdhsa_exception_fp_ieee_underflow 0
		.amdhsa_exception_fp_ieee_inexact 0
		.amdhsa_exception_int_div_zero 0
	.end_amdhsa_kernel
	.section	.text._ZL29rocblas_internal_gemmt_kernelIlLi16ELi32ELi8ELc67ELc67ELc76ELb0ELb0EffPKPKfPKPfEviT_T9_T10_S7_lS9_S7_lS8_T11_S7_li,"axG",@progbits,_ZL29rocblas_internal_gemmt_kernelIlLi16ELi32ELi8ELc67ELc67ELc76ELb0ELb0EffPKPKfPKPfEviT_T9_T10_S7_lS9_S7_lS8_T11_S7_li,comdat
.Lfunc_end467:
	.size	_ZL29rocblas_internal_gemmt_kernelIlLi16ELi32ELi8ELc67ELc67ELc76ELb0ELb0EffPKPKfPKPfEviT_T9_T10_S7_lS9_S7_lS8_T11_S7_li, .Lfunc_end467-_ZL29rocblas_internal_gemmt_kernelIlLi16ELi32ELi8ELc67ELc67ELc76ELb0ELb0EffPKPKfPKPfEviT_T9_T10_S7_lS9_S7_lS8_T11_S7_li
                                        ; -- End function
	.set _ZL29rocblas_internal_gemmt_kernelIlLi16ELi32ELi8ELc67ELc67ELc76ELb0ELb0EffPKPKfPKPfEviT_T9_T10_S7_lS9_S7_lS8_T11_S7_li.num_vgpr, 56
	.set _ZL29rocblas_internal_gemmt_kernelIlLi16ELi32ELi8ELc67ELc67ELc76ELb0ELb0EffPKPKfPKPfEviT_T9_T10_S7_lS9_S7_lS8_T11_S7_li.num_agpr, 0
	.set _ZL29rocblas_internal_gemmt_kernelIlLi16ELi32ELi8ELc67ELc67ELc76ELb0ELb0EffPKPKfPKPfEviT_T9_T10_S7_lS9_S7_lS8_T11_S7_li.numbered_sgpr, 37
	.set _ZL29rocblas_internal_gemmt_kernelIlLi16ELi32ELi8ELc67ELc67ELc76ELb0ELb0EffPKPKfPKPfEviT_T9_T10_S7_lS9_S7_lS8_T11_S7_li.num_named_barrier, 0
	.set _ZL29rocblas_internal_gemmt_kernelIlLi16ELi32ELi8ELc67ELc67ELc76ELb0ELb0EffPKPKfPKPfEviT_T9_T10_S7_lS9_S7_lS8_T11_S7_li.private_seg_size, 0
	.set _ZL29rocblas_internal_gemmt_kernelIlLi16ELi32ELi8ELc67ELc67ELc76ELb0ELb0EffPKPKfPKPfEviT_T9_T10_S7_lS9_S7_lS8_T11_S7_li.uses_vcc, 1
	.set _ZL29rocblas_internal_gemmt_kernelIlLi16ELi32ELi8ELc67ELc67ELc76ELb0ELb0EffPKPKfPKPfEviT_T9_T10_S7_lS9_S7_lS8_T11_S7_li.uses_flat_scratch, 0
	.set _ZL29rocblas_internal_gemmt_kernelIlLi16ELi32ELi8ELc67ELc67ELc76ELb0ELb0EffPKPKfPKPfEviT_T9_T10_S7_lS9_S7_lS8_T11_S7_li.has_dyn_sized_stack, 0
	.set _ZL29rocblas_internal_gemmt_kernelIlLi16ELi32ELi8ELc67ELc67ELc76ELb0ELb0EffPKPKfPKPfEviT_T9_T10_S7_lS9_S7_lS8_T11_S7_li.has_recursion, 0
	.set _ZL29rocblas_internal_gemmt_kernelIlLi16ELi32ELi8ELc67ELc67ELc76ELb0ELb0EffPKPKfPKPfEviT_T9_T10_S7_lS9_S7_lS8_T11_S7_li.has_indirect_call, 0
	.section	.AMDGPU.csdata,"",@progbits
; Kernel info:
; codeLenInByte = 1664
; TotalNumSgprs: 39
; NumVgprs: 56
; ScratchSize: 0
; MemoryBound: 0
; FloatMode: 240
; IeeeMode: 1
; LDSByteSize: 2048 bytes/workgroup (compile time only)
; SGPRBlocks: 0
; VGPRBlocks: 3
; NumSGPRsForWavesPerEU: 39
; NumVGPRsForWavesPerEU: 56
; NamedBarCnt: 0
; Occupancy: 16
; WaveLimiterHint : 1
; COMPUTE_PGM_RSRC2:SCRATCH_EN: 0
; COMPUTE_PGM_RSRC2:USER_SGPR: 2
; COMPUTE_PGM_RSRC2:TRAP_HANDLER: 0
; COMPUTE_PGM_RSRC2:TGID_X_EN: 1
; COMPUTE_PGM_RSRC2:TGID_Y_EN: 1
; COMPUTE_PGM_RSRC2:TGID_Z_EN: 1
; COMPUTE_PGM_RSRC2:TIDIG_COMP_CNT: 1
	.section	.text._ZL29rocblas_internal_gemmt_kernelIlLi16ELi32ELi8ELc78ELc78ELc85ELb0ELb0EdPKdPKS1_PKPdEviT_T9_T10_S7_lS9_S7_lS8_T11_S7_li,"axG",@progbits,_ZL29rocblas_internal_gemmt_kernelIlLi16ELi32ELi8ELc78ELc78ELc85ELb0ELb0EdPKdPKS1_PKPdEviT_T9_T10_S7_lS9_S7_lS8_T11_S7_li,comdat
	.globl	_ZL29rocblas_internal_gemmt_kernelIlLi16ELi32ELi8ELc78ELc78ELc85ELb0ELb0EdPKdPKS1_PKPdEviT_T9_T10_S7_lS9_S7_lS8_T11_S7_li ; -- Begin function _ZL29rocblas_internal_gemmt_kernelIlLi16ELi32ELi8ELc78ELc78ELc85ELb0ELb0EdPKdPKS1_PKPdEviT_T9_T10_S7_lS9_S7_lS8_T11_S7_li
	.p2align	8
	.type	_ZL29rocblas_internal_gemmt_kernelIlLi16ELi32ELi8ELc78ELc78ELc85ELb0ELb0EdPKdPKS1_PKPdEviT_T9_T10_S7_lS9_S7_lS8_T11_S7_li,@function
_ZL29rocblas_internal_gemmt_kernelIlLi16ELi32ELi8ELc78ELc78ELc85ELb0ELb0EdPKdPKS1_PKPdEviT_T9_T10_S7_lS9_S7_lS8_T11_S7_li: ; @_ZL29rocblas_internal_gemmt_kernelIlLi16ELi32ELi8ELc78ELc78ELc85ELb0ELb0EdPKdPKS1_PKPdEviT_T9_T10_S7_lS9_S7_lS8_T11_S7_li
; %bb.0:
	s_load_b256 s[24:31], s[0:1], 0x48
	s_wait_kmcnt 0x0
	s_load_b64 s[6:7], s[24:25], 0x0
	s_load_b512 s[8:23], s[0:1], 0x8
	s_wait_kmcnt 0x0
	v_cmp_neq_f64_e64 s2, s[6:7], 1.0
	s_load_b64 s[10:11], s[10:11], 0x0
	s_and_b32 vcc_lo, exec_lo, s2
	s_cbranch_vccnz .LBB468_2
; %bb.1:
	s_wait_kmcnt 0x0
	v_cmp_neq_f64_e64 s2, s[10:11], 0
	s_cmp_lg_u64 s[8:9], 0
	s_cselect_b32 s3, -1, 0
	s_delay_alu instid0(SALU_CYCLE_1)
	s_and_b32 s2, s3, s2
.LBB468_2:
	s_delay_alu instid0(SALU_CYCLE_1)
	s_and_not1_b32 vcc_lo, exec_lo, s2
	s_cbranch_vccnz .LBB468_35
; %bb.3:
	s_load_b32 s33, s[0:1], 0x68
	s_bfe_u32 s2, ttmp6, 0x40014
	s_lshr_b32 s3, ttmp7, 16
	s_add_co_i32 s2, s2, 1
	s_bfe_u32 s5, ttmp6, 0x40008
	s_mul_i32 s4, s3, s2
	s_getreg_b32 s2, hwreg(HW_REG_IB_STS2, 6, 4)
	s_add_co_i32 s5, s5, s4
	s_cmp_eq_u32 s2, 0
	s_mov_b32 s25, 0
	s_cselect_b32 s24, s3, s5
	s_wait_kmcnt 0x0
	s_cmp_ge_u32 s24, s33
	s_cbranch_scc1 .LBB468_35
; %bb.4:
	s_load_b32 s3, s[0:1], 0x0
	s_wait_xcnt 0x0
	s_bfe_u32 s1, ttmp6, 0x4000c
	s_bfe_u32 s4, ttmp6, 0x40010
	s_add_co_i32 s1, s1, 1
	s_and_b32 s5, ttmp7, 0xffff
	s_add_co_i32 s4, s4, 1
	v_and_b32_e32 v13, 0x3ff, v0
	v_bfe_u32 v20, v0, 10, 10
	s_and_b32 s0, ttmp6, 15
	s_mul_i32 s1, ttmp9, s1
	s_mul_i32 s4, s5, s4
	s_bfe_u32 s34, ttmp6, 0x40004
	s_add_co_i32 s0, s0, s1
	s_add_co_i32 s34, s34, s4
	s_cmp_eq_u32 s2, 0
	v_lshl_add_u32 v1, v20, 4, v13
	s_cselect_b32 s1, s5, s34
	s_cselect_b32 s0, ttmp9, s0
	s_lshl_b32 s1, s1, 5
	s_delay_alu instid0(VALU_DEP_1) | instskip(SKIP_3) | instid1(VALU_DEP_4)
	v_dual_lshrrev_b32 v3, 3, v1 :: v_dual_bitop2_b32 v0, 7, v0 bitop3:0x40
	v_dual_lshrrev_b32 v2, 5, v1 :: v_dual_add_nc_u32 v16, s1, v20
	v_and_b32_e32 v1, 31, v1
	v_cmp_neq_f64_e64 s37, s[10:11], 0
	v_add_nc_u32_e32 v14, s1, v3
	s_lshl_b32 s1, s0, 5
	s_delay_alu instid0(SALU_CYCLE_1) | instskip(NEXT) | instid1(VALU_DEP_2)
	v_dual_add_nc_u32 v18, 16, v16 :: v_dual_bitop2_b32 v4, s1, v1 bitop3:0x54
	v_dual_ashrrev_i32 v17, 31, v16 :: v_dual_ashrrev_i32 v15, 31, v14
	s_delay_alu instid0(VALU_DEP_2) | instskip(SKIP_1) | instid1(VALU_DEP_3)
	v_dual_lshlrev_b32 v1, 3, v1 :: v_dual_ashrrev_i32 v19, 31, v18
	v_cmp_neq_f64_e64 s34, s[6:7], 0
	v_mul_u64_e32 v[8:9], s[28:29], v[16:17]
	s_delay_alu instid0(VALU_DEP_4)
	v_mul_u64_e32 v[6:7], s[20:21], v[14:15]
	v_dual_lshlrev_b32 v15, 3, v0 :: v_dual_add_nc_u32 v12, s1, v13
	v_mul_u64_e32 v[10:11], s[28:29], v[18:19]
	s_wait_kmcnt 0x0
	v_cmp_gt_i32_e64 s1, s3, v14
	v_cmp_gt_i32_e32 vcc_lo, s3, v16
	v_lshl_or_b32 v3, v3, 6, v15
	v_cmp_le_i32_e64 s2, v12, v16
	v_add_nc_u32_e32 v14, 16, v12
	v_cmp_gt_i64_e64 s20, s[8:9], 0
	v_cmp_gt_i32_e64 s0, s3, v4
	v_dual_ashrrev_i32 v5, 31, v4 :: v_dual_lshlrev_b32 v36, 3, v13
	s_and_b32 s28, vcc_lo, s2
	v_cmp_gt_i32_e64 s3, s3, v18
	v_cmp_le_i32_e64 s4, v12, v18
	v_ashrrev_i32_e32 v13, 31, v12
	v_cmp_le_i32_e64 s2, v14, v16
	v_cmp_le_i32_e64 s5, v14, v18
	v_lshl_or_b32 v1, v2, 8, v1
	v_add_nc_u32_e32 v3, 0x800, v3
	v_lshl_add_u32 v37, v20, 6, 0x800
	v_dual_ashrrev_i32 v15, 31, v14 :: v_dual_mov_b32 v17, 0
	s_and_b32 s29, vcc_lo, s2
	s_and_b32 s35, s3, s4
	s_and_b32 s36, s3, s5
	;; [unrolled: 1-line block ×3, first 2 shown]
	s_lshl_b64 s[2:3], s[22:23], 3
	s_lshl_b64 s[4:5], s[16:17], 3
	;; [unrolled: 1-line block ×3, first 2 shown]
	s_branch .LBB468_6
.LBB468_5:                              ;   in Loop: Header=BB468_6 Depth=1
	s_wait_xcnt 0x0
	s_or_b32 exec_lo, exec_lo, s20
	s_add_co_i32 s24, s24, 0x10000
	s_delay_alu instid0(SALU_CYCLE_1)
	s_cmp_lt_u32 s24, s33
	s_cbranch_scc0 .LBB468_35
.LBB468_6:                              ; =>This Loop Header: Depth=1
                                        ;     Child Loop BB468_9 Depth 2
	v_mov_b32_e32 v16, s24
	v_mov_b64_e32 v[26:27], 0
	v_mov_b64_e32 v[22:23], 0
	v_mov_b64_e32 v[20:21], 0
	v_mov_b64_e32 v[18:19], 0
	global_load_b64 v[24:25], v16, s[26:27] scale_offset
	s_and_not1_b32 vcc_lo, exec_lo, s37
	s_cbranch_vccnz .LBB468_15
; %bb.7:                                ;   in Loop: Header=BB468_6 Depth=1
	s_lshl_b64 s[20:21], s[24:25], 3
	v_mov_b64_e32 v[22:23], 0
	s_add_nc_u64 s[22:23], s[12:13], s[20:21]
	s_add_nc_u64 s[20:21], s[18:19], s[20:21]
	s_clause 0x1
	global_load_b64 v[18:19], v17, s[22:23]
	global_load_b64 v[20:21], v17, s[20:21]
	v_mov_b64_e32 v[26:27], 0
	s_wait_xcnt 0x0
	s_mov_b64 s[20:21], 0
	s_wait_loadcnt 0x1
	v_add_nc_u64_e32 v[28:29], s[4:5], v[18:19]
	s_wait_loadcnt 0x0
	v_add_nc_u64_e32 v[30:31], s[2:3], v[20:21]
	v_mov_b64_e32 v[18:19], 0
	v_mov_b64_e32 v[20:21], 0
	s_delay_alu instid0(VALU_DEP_4) | instskip(NEXT) | instid1(VALU_DEP_4)
	v_lshl_add_u64 v[28:29], v[4:5], 3, v[28:29]
	v_lshl_add_u64 v[30:31], v[6:7], 3, v[30:31]
	s_branch .LBB468_9
.LBB468_8:                              ;   in Loop: Header=BB468_9 Depth=2
	s_wait_xcnt 0x0
	s_or_b32 exec_lo, exec_lo, s22
	s_wait_loadcnt_dscnt 0x0
	ds_store_b64 v3, v[34:35]
	s_wait_dscnt 0x0
	s_barrier_signal -1
	s_barrier_wait -1
	ds_load_b128 v[32:35], v37
	ds_load_2addr_b64 v[38:41], v36 offset1:16
	ds_load_b128 v[42:45], v37 offset:1024
	ds_load_b128 v[46:49], v37 offset:16
	;; [unrolled: 1-line block ×3, first 2 shown]
	s_add_nc_u64 s[20:21], s[20:21], 8
	s_delay_alu instid0(SALU_CYCLE_1)
	v_cmp_gt_i64_e64 s22, s[8:9], s[20:21]
	s_and_b32 vcc_lo, exec_lo, s22
	s_wait_dscnt 0x3
	v_fmac_f64_e32 v[26:27], v[38:39], v[32:33]
	v_fmac_f64_e32 v[22:23], v[40:41], v[32:33]
	s_wait_dscnt 0x2
	v_fmac_f64_e32 v[20:21], v[38:39], v[42:43]
	v_fmac_f64_e32 v[18:19], v[40:41], v[42:43]
	ds_load_2addr_b64 v[38:41], v36 offset0:32 offset1:48
	s_wait_dscnt 0x0
	v_fmac_f64_e32 v[26:27], v[38:39], v[34:35]
	v_fmac_f64_e32 v[22:23], v[40:41], v[34:35]
	v_fmac_f64_e32 v[20:21], v[38:39], v[44:45]
	v_fmac_f64_e32 v[18:19], v[40:41], v[44:45]
	ds_load_2addr_b64 v[32:35], v36 offset0:64 offset1:80
	s_wait_dscnt 0x0
	v_fmac_f64_e32 v[26:27], v[32:33], v[46:47]
	v_fmac_f64_e32 v[22:23], v[34:35], v[46:47]
	;; [unrolled: 6-line block ×3, first 2 shown]
	v_fmac_f64_e32 v[20:21], v[32:33], v[52:53]
	v_fmac_f64_e32 v[18:19], v[34:35], v[52:53]
	ds_load_b128 v[32:35], v37 offset:32
	ds_load_2addr_b64 v[38:41], v36 offset0:128 offset1:144
	ds_load_b128 v[42:45], v37 offset:1056
	ds_load_b128 v[46:49], v37 offset:48
	;; [unrolled: 1-line block ×3, first 2 shown]
	s_wait_dscnt 0x3
	v_fmac_f64_e32 v[26:27], v[38:39], v[32:33]
	v_fmac_f64_e32 v[22:23], v[40:41], v[32:33]
	s_wait_dscnt 0x2
	v_fmac_f64_e32 v[20:21], v[38:39], v[42:43]
	v_fmac_f64_e32 v[18:19], v[40:41], v[42:43]
	ds_load_2addr_b64 v[38:41], v36 offset0:160 offset1:176
	s_wait_dscnt 0x0
	v_fmac_f64_e32 v[26:27], v[38:39], v[34:35]
	v_fmac_f64_e32 v[22:23], v[40:41], v[34:35]
	;; [unrolled: 1-line block ×4, first 2 shown]
	ds_load_2addr_b64 v[32:35], v36 offset0:192 offset1:208
	s_wait_dscnt 0x0
	v_fmac_f64_e32 v[26:27], v[32:33], v[46:47]
	v_fmac_f64_e32 v[22:23], v[34:35], v[46:47]
	;; [unrolled: 1-line block ×4, first 2 shown]
	ds_load_2addr_b64 v[32:35], v36 offset0:224 offset1:240
	s_wait_dscnt 0x0
	s_barrier_signal -1
	s_barrier_wait -1
	v_fmac_f64_e32 v[26:27], v[32:33], v[48:49]
	v_fmac_f64_e32 v[22:23], v[34:35], v[48:49]
	;; [unrolled: 1-line block ×4, first 2 shown]
	s_cbranch_vccz .LBB468_15
.LBB468_9:                              ;   Parent Loop BB468_6 Depth=1
                                        ; =>  This Inner Loop Header: Depth=2
	v_mov_b64_e32 v[32:33], 0
	s_and_saveexec_b32 s22, s0
	s_cbranch_execz .LBB468_13
; %bb.10:                               ;   in Loop: Header=BB468_9 Depth=2
	v_mov_b64_e32 v[32:33], 0
	v_add_nc_u32_e32 v16, s20, v2
	s_mov_b32 s23, exec_lo
	s_delay_alu instid0(VALU_DEP_1)
	v_cmpx_gt_u64_e64 s[8:9], v[16:17]
	s_cbranch_execz .LBB468_12
; %bb.11:                               ;   in Loop: Header=BB468_9 Depth=2
	v_mul_u64_e32 v[32:33], s[14:15], v[16:17]
	s_delay_alu instid0(VALU_DEP_1)
	v_lshl_add_u64 v[32:33], v[32:33], 3, v[28:29]
	flat_load_b64 v[32:33], v[32:33]
.LBB468_12:                             ;   in Loop: Header=BB468_9 Depth=2
	s_wait_xcnt 0x0
	s_or_b32 exec_lo, exec_lo, s23
.LBB468_13:                             ;   in Loop: Header=BB468_9 Depth=2
	s_delay_alu instid0(SALU_CYCLE_1)
	s_or_b32 exec_lo, exec_lo, s22
	v_add_nc_u32_e32 v16, s20, v0
	v_mov_b64_e32 v[34:35], 0
	s_wait_loadcnt_dscnt 0x0
	ds_store_b64 v1, v[32:33]
	v_cmp_gt_u64_e32 vcc_lo, s[8:9], v[16:17]
	s_and_b32 s23, vcc_lo, s1
	s_delay_alu instid0(SALU_CYCLE_1)
	s_and_saveexec_b32 s22, s23
	s_cbranch_execz .LBB468_8
; %bb.14:                               ;   in Loop: Header=BB468_9 Depth=2
	v_lshl_add_u64 v[32:33], v[16:17], 3, v[30:31]
	flat_load_b64 v[34:35], v[32:33]
	s_branch .LBB468_8
.LBB468_15:                             ;   in Loop: Header=BB468_6 Depth=1
	s_wait_loadcnt 0x0
	v_add_nc_u64_e32 v[24:25], s[16:17], v[24:25]
	s_delay_alu instid0(VALU_DEP_1)
	v_lshl_add_u64 v[28:29], v[8:9], 3, v[24:25]
	s_wait_xcnt 0x0
	s_and_saveexec_b32 s20, s28
	s_cbranch_execz .LBB468_19
; %bb.16:                               ;   in Loop: Header=BB468_6 Depth=1
	v_mul_f64_e32 v[26:27], s[10:11], v[26:27]
	v_lshl_add_u64 v[30:31], v[12:13], 3, v[28:29]
	s_and_b32 vcc_lo, exec_lo, s34
	s_cbranch_vccz .LBB468_30
; %bb.17:                               ;   in Loop: Header=BB468_6 Depth=1
	flat_load_b64 v[32:33], v[30:31]
	s_wait_loadcnt_dscnt 0x0
	v_fma_f64 v[32:33], s[6:7], v[32:33], v[26:27]
	flat_store_b64 v[30:31], v[32:33]
	s_cbranch_execnz .LBB468_19
.LBB468_18:                             ;   in Loop: Header=BB468_6 Depth=1
	flat_store_b64 v[30:31], v[26:27]
.LBB468_19:                             ;   in Loop: Header=BB468_6 Depth=1
	s_wait_xcnt 0x0
	s_or_b32 exec_lo, exec_lo, s20
	s_and_saveexec_b32 s20, s29
	s_cbranch_execz .LBB468_23
; %bb.20:                               ;   in Loop: Header=BB468_6 Depth=1
	v_mul_f64_e32 v[22:23], s[10:11], v[22:23]
	v_lshl_add_u64 v[26:27], v[14:15], 3, v[28:29]
	s_and_not1_b32 vcc_lo, exec_lo, s34
	s_cbranch_vccnz .LBB468_31
; %bb.21:                               ;   in Loop: Header=BB468_6 Depth=1
	flat_load_b64 v[28:29], v[26:27]
	s_wait_loadcnt_dscnt 0x0
	v_fma_f64 v[28:29], s[6:7], v[28:29], v[22:23]
	flat_store_b64 v[26:27], v[28:29]
	s_cbranch_execnz .LBB468_23
.LBB468_22:                             ;   in Loop: Header=BB468_6 Depth=1
	flat_store_b64 v[26:27], v[22:23]
.LBB468_23:                             ;   in Loop: Header=BB468_6 Depth=1
	s_wait_xcnt 0x0
	s_or_b32 exec_lo, exec_lo, s20
	v_lshl_add_u64 v[22:23], v[10:11], 3, v[24:25]
	s_and_saveexec_b32 s20, s35
	s_cbranch_execz .LBB468_27
; %bb.24:                               ;   in Loop: Header=BB468_6 Depth=1
	v_mul_f64_e32 v[20:21], s[10:11], v[20:21]
	s_delay_alu instid0(VALU_DEP_2)
	v_lshl_add_u64 v[24:25], v[12:13], 3, v[22:23]
	s_and_not1_b32 vcc_lo, exec_lo, s34
	s_cbranch_vccnz .LBB468_32
; %bb.25:                               ;   in Loop: Header=BB468_6 Depth=1
	flat_load_b64 v[26:27], v[24:25]
	s_wait_loadcnt_dscnt 0x0
	v_fma_f64 v[26:27], s[6:7], v[26:27], v[20:21]
	flat_store_b64 v[24:25], v[26:27]
	s_cbranch_execnz .LBB468_27
.LBB468_26:                             ;   in Loop: Header=BB468_6 Depth=1
	flat_store_b64 v[24:25], v[20:21]
.LBB468_27:                             ;   in Loop: Header=BB468_6 Depth=1
	s_wait_xcnt 0x0
	s_or_b32 exec_lo, exec_lo, s20
	s_and_saveexec_b32 s20, s36
	s_cbranch_execz .LBB468_5
; %bb.28:                               ;   in Loop: Header=BB468_6 Depth=1
	s_delay_alu instid0(VALU_DEP_4)
	v_mul_f64_e32 v[18:19], s[10:11], v[18:19]
	v_lshl_add_u64 v[20:21], v[14:15], 3, v[22:23]
	s_and_not1_b32 vcc_lo, exec_lo, s34
	s_cbranch_vccnz .LBB468_33
; %bb.29:                               ;   in Loop: Header=BB468_6 Depth=1
	flat_load_b64 v[22:23], v[20:21]
	s_wait_loadcnt_dscnt 0x0
	v_fma_f64 v[22:23], s[6:7], v[22:23], v[18:19]
	flat_store_b64 v[20:21], v[22:23]
	s_cbranch_execnz .LBB468_5
	s_branch .LBB468_34
.LBB468_30:                             ;   in Loop: Header=BB468_6 Depth=1
	s_branch .LBB468_18
.LBB468_31:                             ;   in Loop: Header=BB468_6 Depth=1
	s_branch .LBB468_22
.LBB468_32:                             ;   in Loop: Header=BB468_6 Depth=1
	s_branch .LBB468_26
.LBB468_33:                             ;   in Loop: Header=BB468_6 Depth=1
.LBB468_34:                             ;   in Loop: Header=BB468_6 Depth=1
	flat_store_b64 v[20:21], v[18:19]
	s_branch .LBB468_5
.LBB468_35:
	s_endpgm
	.section	.rodata,"a",@progbits
	.p2align	6, 0x0
	.amdhsa_kernel _ZL29rocblas_internal_gemmt_kernelIlLi16ELi32ELi8ELc78ELc78ELc85ELb0ELb0EdPKdPKS1_PKPdEviT_T9_T10_S7_lS9_S7_lS8_T11_S7_li
		.amdhsa_group_segment_fixed_size 4096
		.amdhsa_private_segment_fixed_size 0
		.amdhsa_kernarg_size 108
		.amdhsa_user_sgpr_count 2
		.amdhsa_user_sgpr_dispatch_ptr 0
		.amdhsa_user_sgpr_queue_ptr 0
		.amdhsa_user_sgpr_kernarg_segment_ptr 1
		.amdhsa_user_sgpr_dispatch_id 0
		.amdhsa_user_sgpr_kernarg_preload_length 0
		.amdhsa_user_sgpr_kernarg_preload_offset 0
		.amdhsa_user_sgpr_private_segment_size 0
		.amdhsa_wavefront_size32 1
		.amdhsa_uses_dynamic_stack 0
		.amdhsa_enable_private_segment 0
		.amdhsa_system_sgpr_workgroup_id_x 1
		.amdhsa_system_sgpr_workgroup_id_y 1
		.amdhsa_system_sgpr_workgroup_id_z 1
		.amdhsa_system_sgpr_workgroup_info 0
		.amdhsa_system_vgpr_workitem_id 1
		.amdhsa_next_free_vgpr 54
		.amdhsa_next_free_sgpr 38
		.amdhsa_named_barrier_count 0
		.amdhsa_reserve_vcc 1
		.amdhsa_float_round_mode_32 0
		.amdhsa_float_round_mode_16_64 0
		.amdhsa_float_denorm_mode_32 3
		.amdhsa_float_denorm_mode_16_64 3
		.amdhsa_fp16_overflow 0
		.amdhsa_memory_ordered 1
		.amdhsa_forward_progress 1
		.amdhsa_inst_pref_size 14
		.amdhsa_round_robin_scheduling 0
		.amdhsa_exception_fp_ieee_invalid_op 0
		.amdhsa_exception_fp_denorm_src 0
		.amdhsa_exception_fp_ieee_div_zero 0
		.amdhsa_exception_fp_ieee_overflow 0
		.amdhsa_exception_fp_ieee_underflow 0
		.amdhsa_exception_fp_ieee_inexact 0
		.amdhsa_exception_int_div_zero 0
	.end_amdhsa_kernel
	.section	.text._ZL29rocblas_internal_gemmt_kernelIlLi16ELi32ELi8ELc78ELc78ELc85ELb0ELb0EdPKdPKS1_PKPdEviT_T9_T10_S7_lS9_S7_lS8_T11_S7_li,"axG",@progbits,_ZL29rocblas_internal_gemmt_kernelIlLi16ELi32ELi8ELc78ELc78ELc85ELb0ELb0EdPKdPKS1_PKPdEviT_T9_T10_S7_lS9_S7_lS8_T11_S7_li,comdat
.Lfunc_end468:
	.size	_ZL29rocblas_internal_gemmt_kernelIlLi16ELi32ELi8ELc78ELc78ELc85ELb0ELb0EdPKdPKS1_PKPdEviT_T9_T10_S7_lS9_S7_lS8_T11_S7_li, .Lfunc_end468-_ZL29rocblas_internal_gemmt_kernelIlLi16ELi32ELi8ELc78ELc78ELc85ELb0ELb0EdPKdPKS1_PKPdEviT_T9_T10_S7_lS9_S7_lS8_T11_S7_li
                                        ; -- End function
	.set _ZL29rocblas_internal_gemmt_kernelIlLi16ELi32ELi8ELc78ELc78ELc85ELb0ELb0EdPKdPKS1_PKPdEviT_T9_T10_S7_lS9_S7_lS8_T11_S7_li.num_vgpr, 54
	.set _ZL29rocblas_internal_gemmt_kernelIlLi16ELi32ELi8ELc78ELc78ELc85ELb0ELb0EdPKdPKS1_PKPdEviT_T9_T10_S7_lS9_S7_lS8_T11_S7_li.num_agpr, 0
	.set _ZL29rocblas_internal_gemmt_kernelIlLi16ELi32ELi8ELc78ELc78ELc85ELb0ELb0EdPKdPKS1_PKPdEviT_T9_T10_S7_lS9_S7_lS8_T11_S7_li.numbered_sgpr, 38
	.set _ZL29rocblas_internal_gemmt_kernelIlLi16ELi32ELi8ELc78ELc78ELc85ELb0ELb0EdPKdPKS1_PKPdEviT_T9_T10_S7_lS9_S7_lS8_T11_S7_li.num_named_barrier, 0
	.set _ZL29rocblas_internal_gemmt_kernelIlLi16ELi32ELi8ELc78ELc78ELc85ELb0ELb0EdPKdPKS1_PKPdEviT_T9_T10_S7_lS9_S7_lS8_T11_S7_li.private_seg_size, 0
	.set _ZL29rocblas_internal_gemmt_kernelIlLi16ELi32ELi8ELc78ELc78ELc85ELb0ELb0EdPKdPKS1_PKPdEviT_T9_T10_S7_lS9_S7_lS8_T11_S7_li.uses_vcc, 1
	.set _ZL29rocblas_internal_gemmt_kernelIlLi16ELi32ELi8ELc78ELc78ELc85ELb0ELb0EdPKdPKS1_PKPdEviT_T9_T10_S7_lS9_S7_lS8_T11_S7_li.uses_flat_scratch, 0
	.set _ZL29rocblas_internal_gemmt_kernelIlLi16ELi32ELi8ELc78ELc78ELc85ELb0ELb0EdPKdPKS1_PKPdEviT_T9_T10_S7_lS9_S7_lS8_T11_S7_li.has_dyn_sized_stack, 0
	.set _ZL29rocblas_internal_gemmt_kernelIlLi16ELi32ELi8ELc78ELc78ELc85ELb0ELb0EdPKdPKS1_PKPdEviT_T9_T10_S7_lS9_S7_lS8_T11_S7_li.has_recursion, 0
	.set _ZL29rocblas_internal_gemmt_kernelIlLi16ELi32ELi8ELc78ELc78ELc85ELb0ELb0EdPKdPKS1_PKPdEviT_T9_T10_S7_lS9_S7_lS8_T11_S7_li.has_indirect_call, 0
	.section	.AMDGPU.csdata,"",@progbits
; Kernel info:
; codeLenInByte = 1668
; TotalNumSgprs: 40
; NumVgprs: 54
; ScratchSize: 0
; MemoryBound: 0
; FloatMode: 240
; IeeeMode: 1
; LDSByteSize: 4096 bytes/workgroup (compile time only)
; SGPRBlocks: 0
; VGPRBlocks: 3
; NumSGPRsForWavesPerEU: 40
; NumVGPRsForWavesPerEU: 54
; NamedBarCnt: 0
; Occupancy: 16
; WaveLimiterHint : 1
; COMPUTE_PGM_RSRC2:SCRATCH_EN: 0
; COMPUTE_PGM_RSRC2:USER_SGPR: 2
; COMPUTE_PGM_RSRC2:TRAP_HANDLER: 0
; COMPUTE_PGM_RSRC2:TGID_X_EN: 1
; COMPUTE_PGM_RSRC2:TGID_Y_EN: 1
; COMPUTE_PGM_RSRC2:TGID_Z_EN: 1
; COMPUTE_PGM_RSRC2:TIDIG_COMP_CNT: 1
	.section	.text._ZL29rocblas_internal_gemmt_kernelIlLi16ELi32ELi8ELc78ELc84ELc85ELb0ELb0EdPKdPKS1_PKPdEviT_T9_T10_S7_lS9_S7_lS8_T11_S7_li,"axG",@progbits,_ZL29rocblas_internal_gemmt_kernelIlLi16ELi32ELi8ELc78ELc84ELc85ELb0ELb0EdPKdPKS1_PKPdEviT_T9_T10_S7_lS9_S7_lS8_T11_S7_li,comdat
	.globl	_ZL29rocblas_internal_gemmt_kernelIlLi16ELi32ELi8ELc78ELc84ELc85ELb0ELb0EdPKdPKS1_PKPdEviT_T9_T10_S7_lS9_S7_lS8_T11_S7_li ; -- Begin function _ZL29rocblas_internal_gemmt_kernelIlLi16ELi32ELi8ELc78ELc84ELc85ELb0ELb0EdPKdPKS1_PKPdEviT_T9_T10_S7_lS9_S7_lS8_T11_S7_li
	.p2align	8
	.type	_ZL29rocblas_internal_gemmt_kernelIlLi16ELi32ELi8ELc78ELc84ELc85ELb0ELb0EdPKdPKS1_PKPdEviT_T9_T10_S7_lS9_S7_lS8_T11_S7_li,@function
_ZL29rocblas_internal_gemmt_kernelIlLi16ELi32ELi8ELc78ELc84ELc85ELb0ELb0EdPKdPKS1_PKPdEviT_T9_T10_S7_lS9_S7_lS8_T11_S7_li: ; @_ZL29rocblas_internal_gemmt_kernelIlLi16ELi32ELi8ELc78ELc84ELc85ELb0ELb0EdPKdPKS1_PKPdEviT_T9_T10_S7_lS9_S7_lS8_T11_S7_li
; %bb.0:
	s_load_b256 s[24:31], s[0:1], 0x48
	s_wait_kmcnt 0x0
	s_load_b64 s[6:7], s[24:25], 0x0
	s_load_b512 s[8:23], s[0:1], 0x8
	s_wait_kmcnt 0x0
	v_cmp_neq_f64_e64 s2, s[6:7], 1.0
	s_load_b64 s[10:11], s[10:11], 0x0
	s_and_b32 vcc_lo, exec_lo, s2
	s_cbranch_vccnz .LBB469_2
; %bb.1:
	s_wait_kmcnt 0x0
	v_cmp_neq_f64_e64 s2, s[10:11], 0
	s_cmp_lg_u64 s[8:9], 0
	s_cselect_b32 s3, -1, 0
	s_delay_alu instid0(SALU_CYCLE_1)
	s_and_b32 s2, s3, s2
.LBB469_2:
	s_delay_alu instid0(SALU_CYCLE_1)
	s_and_not1_b32 vcc_lo, exec_lo, s2
	s_cbranch_vccnz .LBB469_35
; %bb.3:
	s_load_b32 s33, s[0:1], 0x68
	s_bfe_u32 s2, ttmp6, 0x40014
	s_lshr_b32 s3, ttmp7, 16
	s_add_co_i32 s2, s2, 1
	s_bfe_u32 s5, ttmp6, 0x40008
	s_mul_i32 s4, s3, s2
	s_getreg_b32 s2, hwreg(HW_REG_IB_STS2, 6, 4)
	s_add_co_i32 s5, s5, s4
	s_cmp_eq_u32 s2, 0
	s_mov_b32 s25, 0
	s_cselect_b32 s24, s3, s5
	s_wait_kmcnt 0x0
	s_cmp_ge_u32 s24, s33
	s_cbranch_scc1 .LBB469_35
; %bb.4:
	s_bfe_u32 s3, ttmp6, 0x4000c
	s_bfe_u32 s5, ttmp6, 0x40010
	s_add_co_i32 s3, s3, 1
	s_and_b32 s34, ttmp7, 0xffff
	s_add_co_i32 s5, s5, 1
	v_and_b32_e32 v13, 0x3ff, v0
	v_bfe_u32 v15, v0, 10, 10
	s_and_b32 s4, ttmp6, 15
	s_mul_i32 s3, ttmp9, s3
	s_mul_i32 s5, s34, s5
	s_bfe_u32 s35, ttmp6, 0x40004
	s_add_co_i32 s4, s4, s3
	s_add_co_i32 s35, s35, s5
	s_cmp_eq_u32 s2, 0
	v_lshl_add_u32 v1, v15, 4, v13
	s_load_b32 s3, s[0:1], 0x0
	s_wait_xcnt 0x0
	s_cselect_b32 s0, s34, s35
	s_cselect_b32 s1, ttmp9, s4
	s_lshl_b32 s0, s0, 5
	s_delay_alu instid0(SALU_CYCLE_1) | instskip(SKIP_3) | instid1(VALU_DEP_2)
	v_dual_lshrrev_b32 v2, 5, v1 :: v_dual_add_nc_u32 v16, s0, v15
	v_dual_lshrrev_b32 v1, 3, v1 :: v_dual_bitop2_b32 v3, 31, v1 bitop3:0x40
	s_lshl_b32 s1, s1, 5
	v_cmp_neq_f64_e64 s37, s[10:11], 0
	v_dual_add_nc_u32 v18, 16, v16 :: v_dual_bitop2_b32 v4, s1, v3 bitop3:0x54
	v_ashrrev_i32_e32 v17, 31, v16
	v_cmp_neq_f64_e64 s34, s[6:7], 0
	v_dual_add_nc_u32 v6, s0, v1 :: v_dual_bitop2_b32 v0, 7, v0 bitop3:0x40
	s_delay_alu instid0(VALU_DEP_4) | instskip(NEXT) | instid1(VALU_DEP_4)
	v_ashrrev_i32_e32 v19, 31, v18
	v_mul_u64_e32 v[8:9], s[28:29], v[16:17]
	s_delay_alu instid0(VALU_DEP_3) | instskip(SKIP_1) | instid1(VALU_DEP_4)
	v_dual_lshlrev_b32 v3, 3, v3 :: v_dual_lshlrev_b32 v5, 3, v0
	v_add_nc_u32_e32 v12, s1, v13
	v_mul_u64_e32 v[10:11], s[28:29], v[18:19]
	s_wait_kmcnt 0x0
	v_cmp_gt_i32_e32 vcc_lo, s3, v16
	v_cmp_gt_i64_e64 s38, s[8:9], 0
	v_lshl_or_b32 v7, v1, 6, v5
	v_ashrrev_i32_e32 v5, 31, v4
	v_cmp_le_i32_e64 s2, v12, v16
	v_add_nc_u32_e32 v14, 16, v12
	v_cmp_gt_i32_e64 s0, s3, v4
	v_lshl_or_b32 v1, v2, 8, v3
	v_cmp_gt_i32_e64 s1, s3, v6
	v_add_nc_u32_e32 v3, 0x800, v7
	v_ashrrev_i32_e32 v7, 31, v6
	s_and_b32 s28, vcc_lo, s2
	v_cmp_le_i32_e64 s2, v14, v16
	v_cmp_gt_i32_e64 s3, s3, v18
	v_cmp_le_i32_e64 s4, v12, v18
	v_cmp_le_i32_e64 s5, v14, v18
	v_dual_lshlrev_b32 v36, 3, v13 :: v_dual_ashrrev_i32 v13, 31, v12
	v_lshl_add_u32 v37, v15, 6, 0x800
	v_dual_ashrrev_i32 v15, 31, v14 :: v_dual_mov_b32 v17, 0
	s_and_b32 s29, vcc_lo, s2
	s_and_b32 s35, s3, s4
	s_and_b32 s36, s3, s5
	;; [unrolled: 1-line block ×3, first 2 shown]
	s_lshl_b64 s[2:3], s[22:23], 3
	s_lshl_b64 s[4:5], s[16:17], 3
	;; [unrolled: 1-line block ×3, first 2 shown]
	s_branch .LBB469_6
.LBB469_5:                              ;   in Loop: Header=BB469_6 Depth=1
	s_wait_xcnt 0x0
	s_or_b32 exec_lo, exec_lo, s22
	s_add_co_i32 s24, s24, 0x10000
	s_delay_alu instid0(SALU_CYCLE_1)
	s_cmp_lt_u32 s24, s33
	s_cbranch_scc0 .LBB469_35
.LBB469_6:                              ; =>This Loop Header: Depth=1
                                        ;     Child Loop BB469_9 Depth 2
	v_mov_b32_e32 v16, s24
	v_mov_b64_e32 v[26:27], 0
	v_mov_b64_e32 v[22:23], 0
	;; [unrolled: 1-line block ×4, first 2 shown]
	global_load_b64 v[24:25], v16, s[26:27] scale_offset
	s_and_not1_b32 vcc_lo, exec_lo, s37
	s_cbranch_vccnz .LBB469_15
; %bb.7:                                ;   in Loop: Header=BB469_6 Depth=1
	s_lshl_b64 s[22:23], s[24:25], 3
	v_mov_b64_e32 v[22:23], 0
	s_add_nc_u64 s[30:31], s[12:13], s[22:23]
	s_add_nc_u64 s[22:23], s[18:19], s[22:23]
	s_clause 0x1
	global_load_b64 v[18:19], v17, s[30:31]
	global_load_b64 v[20:21], v17, s[22:23]
	v_mov_b64_e32 v[26:27], 0
	s_wait_xcnt 0x0
	s_mov_b64 s[22:23], 0
	s_wait_loadcnt 0x1
	v_add_nc_u64_e32 v[28:29], s[4:5], v[18:19]
	s_wait_loadcnt 0x0
	v_add_nc_u64_e32 v[30:31], s[2:3], v[20:21]
	v_mov_b64_e32 v[18:19], 0
	v_mov_b64_e32 v[20:21], 0
	s_delay_alu instid0(VALU_DEP_4) | instskip(NEXT) | instid1(VALU_DEP_4)
	v_lshl_add_u64 v[28:29], v[4:5], 3, v[28:29]
	v_lshl_add_u64 v[30:31], v[6:7], 3, v[30:31]
	s_branch .LBB469_9
.LBB469_8:                              ;   in Loop: Header=BB469_9 Depth=2
	s_wait_xcnt 0x0
	s_or_b32 exec_lo, exec_lo, s30
	s_wait_loadcnt_dscnt 0x0
	ds_store_b64 v3, v[34:35]
	s_wait_dscnt 0x0
	s_barrier_signal -1
	s_barrier_wait -1
	ds_load_b128 v[32:35], v37
	ds_load_2addr_b64 v[38:41], v36 offset1:16
	ds_load_b128 v[42:45], v37 offset:1024
	ds_load_b128 v[46:49], v37 offset:16
	ds_load_b128 v[50:53], v37 offset:1040
	s_add_nc_u64 s[22:23], s[22:23], 8
	s_delay_alu instid0(SALU_CYCLE_1)
	v_cmp_gt_i64_e64 s30, s[8:9], s[22:23]
	s_and_b32 vcc_lo, exec_lo, s30
	s_wait_dscnt 0x3
	v_fmac_f64_e32 v[26:27], v[38:39], v[32:33]
	v_fmac_f64_e32 v[22:23], v[40:41], v[32:33]
	s_wait_dscnt 0x2
	v_fmac_f64_e32 v[20:21], v[38:39], v[42:43]
	v_fmac_f64_e32 v[18:19], v[40:41], v[42:43]
	ds_load_2addr_b64 v[38:41], v36 offset0:32 offset1:48
	s_wait_dscnt 0x0
	v_fmac_f64_e32 v[26:27], v[38:39], v[34:35]
	v_fmac_f64_e32 v[22:23], v[40:41], v[34:35]
	v_fmac_f64_e32 v[20:21], v[38:39], v[44:45]
	v_fmac_f64_e32 v[18:19], v[40:41], v[44:45]
	ds_load_2addr_b64 v[32:35], v36 offset0:64 offset1:80
	s_wait_dscnt 0x0
	v_fmac_f64_e32 v[26:27], v[32:33], v[46:47]
	v_fmac_f64_e32 v[22:23], v[34:35], v[46:47]
	;; [unrolled: 6-line block ×3, first 2 shown]
	v_fmac_f64_e32 v[20:21], v[32:33], v[52:53]
	v_fmac_f64_e32 v[18:19], v[34:35], v[52:53]
	ds_load_b128 v[32:35], v37 offset:32
	ds_load_2addr_b64 v[38:41], v36 offset0:128 offset1:144
	ds_load_b128 v[42:45], v37 offset:1056
	ds_load_b128 v[46:49], v37 offset:48
	;; [unrolled: 1-line block ×3, first 2 shown]
	s_wait_dscnt 0x3
	v_fmac_f64_e32 v[26:27], v[38:39], v[32:33]
	v_fmac_f64_e32 v[22:23], v[40:41], v[32:33]
	s_wait_dscnt 0x2
	v_fmac_f64_e32 v[20:21], v[38:39], v[42:43]
	v_fmac_f64_e32 v[18:19], v[40:41], v[42:43]
	ds_load_2addr_b64 v[38:41], v36 offset0:160 offset1:176
	s_wait_dscnt 0x0
	v_fmac_f64_e32 v[26:27], v[38:39], v[34:35]
	v_fmac_f64_e32 v[22:23], v[40:41], v[34:35]
	;; [unrolled: 1-line block ×4, first 2 shown]
	ds_load_2addr_b64 v[32:35], v36 offset0:192 offset1:208
	s_wait_dscnt 0x0
	v_fmac_f64_e32 v[26:27], v[32:33], v[46:47]
	v_fmac_f64_e32 v[22:23], v[34:35], v[46:47]
	;; [unrolled: 1-line block ×4, first 2 shown]
	ds_load_2addr_b64 v[32:35], v36 offset0:224 offset1:240
	s_wait_dscnt 0x0
	s_barrier_signal -1
	s_barrier_wait -1
	v_fmac_f64_e32 v[26:27], v[32:33], v[48:49]
	v_fmac_f64_e32 v[22:23], v[34:35], v[48:49]
	;; [unrolled: 1-line block ×4, first 2 shown]
	s_cbranch_vccz .LBB469_15
.LBB469_9:                              ;   Parent Loop BB469_6 Depth=1
                                        ; =>  This Inner Loop Header: Depth=2
	v_mov_b64_e32 v[32:33], 0
	s_and_saveexec_b32 s30, s0
	s_cbranch_execz .LBB469_13
; %bb.10:                               ;   in Loop: Header=BB469_9 Depth=2
	v_mov_b64_e32 v[32:33], 0
	v_add_nc_u32_e32 v16, s22, v2
	s_mov_b32 s31, exec_lo
	s_delay_alu instid0(VALU_DEP_1)
	v_cmpx_gt_u64_e64 s[8:9], v[16:17]
	s_cbranch_execz .LBB469_12
; %bb.11:                               ;   in Loop: Header=BB469_9 Depth=2
	v_mul_u64_e32 v[32:33], s[14:15], v[16:17]
	s_delay_alu instid0(VALU_DEP_1)
	v_lshl_add_u64 v[32:33], v[32:33], 3, v[28:29]
	flat_load_b64 v[32:33], v[32:33]
.LBB469_12:                             ;   in Loop: Header=BB469_9 Depth=2
	s_wait_xcnt 0x0
	s_or_b32 exec_lo, exec_lo, s31
.LBB469_13:                             ;   in Loop: Header=BB469_9 Depth=2
	s_delay_alu instid0(SALU_CYCLE_1)
	s_or_b32 exec_lo, exec_lo, s30
	v_add_nc_u32_e32 v16, s22, v0
	v_mov_b64_e32 v[34:35], 0
	s_wait_loadcnt_dscnt 0x0
	ds_store_b64 v1, v[32:33]
	v_cmp_gt_u64_e32 vcc_lo, s[8:9], v[16:17]
	s_and_b32 s31, vcc_lo, s1
	s_delay_alu instid0(SALU_CYCLE_1)
	s_and_saveexec_b32 s30, s31
	s_cbranch_execz .LBB469_8
; %bb.14:                               ;   in Loop: Header=BB469_9 Depth=2
	v_mul_u64_e32 v[32:33], s[20:21], v[16:17]
	s_delay_alu instid0(VALU_DEP_1)
	v_lshl_add_u64 v[32:33], v[32:33], 3, v[30:31]
	flat_load_b64 v[34:35], v[32:33]
	s_branch .LBB469_8
.LBB469_15:                             ;   in Loop: Header=BB469_6 Depth=1
	s_wait_loadcnt 0x0
	v_add_nc_u64_e32 v[24:25], s[16:17], v[24:25]
	s_delay_alu instid0(VALU_DEP_1)
	v_lshl_add_u64 v[28:29], v[8:9], 3, v[24:25]
	s_wait_xcnt 0x0
	s_and_saveexec_b32 s22, s28
	s_cbranch_execz .LBB469_19
; %bb.16:                               ;   in Loop: Header=BB469_6 Depth=1
	v_mul_f64_e32 v[26:27], s[10:11], v[26:27]
	v_lshl_add_u64 v[30:31], v[12:13], 3, v[28:29]
	s_and_b32 vcc_lo, exec_lo, s34
	s_cbranch_vccz .LBB469_30
; %bb.17:                               ;   in Loop: Header=BB469_6 Depth=1
	flat_load_b64 v[32:33], v[30:31]
	s_wait_loadcnt_dscnt 0x0
	v_fma_f64 v[32:33], s[6:7], v[32:33], v[26:27]
	flat_store_b64 v[30:31], v[32:33]
	s_cbranch_execnz .LBB469_19
.LBB469_18:                             ;   in Loop: Header=BB469_6 Depth=1
	flat_store_b64 v[30:31], v[26:27]
.LBB469_19:                             ;   in Loop: Header=BB469_6 Depth=1
	s_wait_xcnt 0x0
	s_or_b32 exec_lo, exec_lo, s22
	s_and_saveexec_b32 s22, s29
	s_cbranch_execz .LBB469_23
; %bb.20:                               ;   in Loop: Header=BB469_6 Depth=1
	v_mul_f64_e32 v[22:23], s[10:11], v[22:23]
	v_lshl_add_u64 v[26:27], v[14:15], 3, v[28:29]
	s_and_not1_b32 vcc_lo, exec_lo, s34
	s_cbranch_vccnz .LBB469_31
; %bb.21:                               ;   in Loop: Header=BB469_6 Depth=1
	flat_load_b64 v[28:29], v[26:27]
	s_wait_loadcnt_dscnt 0x0
	v_fma_f64 v[28:29], s[6:7], v[28:29], v[22:23]
	flat_store_b64 v[26:27], v[28:29]
	s_cbranch_execnz .LBB469_23
.LBB469_22:                             ;   in Loop: Header=BB469_6 Depth=1
	flat_store_b64 v[26:27], v[22:23]
.LBB469_23:                             ;   in Loop: Header=BB469_6 Depth=1
	s_wait_xcnt 0x0
	s_or_b32 exec_lo, exec_lo, s22
	v_lshl_add_u64 v[22:23], v[10:11], 3, v[24:25]
	s_and_saveexec_b32 s22, s35
	s_cbranch_execz .LBB469_27
; %bb.24:                               ;   in Loop: Header=BB469_6 Depth=1
	v_mul_f64_e32 v[20:21], s[10:11], v[20:21]
	s_delay_alu instid0(VALU_DEP_2)
	v_lshl_add_u64 v[24:25], v[12:13], 3, v[22:23]
	s_and_not1_b32 vcc_lo, exec_lo, s34
	s_cbranch_vccnz .LBB469_32
; %bb.25:                               ;   in Loop: Header=BB469_6 Depth=1
	flat_load_b64 v[26:27], v[24:25]
	s_wait_loadcnt_dscnt 0x0
	v_fma_f64 v[26:27], s[6:7], v[26:27], v[20:21]
	flat_store_b64 v[24:25], v[26:27]
	s_cbranch_execnz .LBB469_27
.LBB469_26:                             ;   in Loop: Header=BB469_6 Depth=1
	flat_store_b64 v[24:25], v[20:21]
.LBB469_27:                             ;   in Loop: Header=BB469_6 Depth=1
	s_wait_xcnt 0x0
	s_or_b32 exec_lo, exec_lo, s22
	s_and_saveexec_b32 s22, s36
	s_cbranch_execz .LBB469_5
; %bb.28:                               ;   in Loop: Header=BB469_6 Depth=1
	s_delay_alu instid0(VALU_DEP_4)
	v_mul_f64_e32 v[18:19], s[10:11], v[18:19]
	v_lshl_add_u64 v[20:21], v[14:15], 3, v[22:23]
	s_and_not1_b32 vcc_lo, exec_lo, s34
	s_cbranch_vccnz .LBB469_33
; %bb.29:                               ;   in Loop: Header=BB469_6 Depth=1
	flat_load_b64 v[22:23], v[20:21]
	s_wait_loadcnt_dscnt 0x0
	v_fma_f64 v[22:23], s[6:7], v[22:23], v[18:19]
	flat_store_b64 v[20:21], v[22:23]
	s_cbranch_execnz .LBB469_5
	s_branch .LBB469_34
.LBB469_30:                             ;   in Loop: Header=BB469_6 Depth=1
	s_branch .LBB469_18
.LBB469_31:                             ;   in Loop: Header=BB469_6 Depth=1
	s_branch .LBB469_22
.LBB469_32:                             ;   in Loop: Header=BB469_6 Depth=1
	s_branch .LBB469_26
.LBB469_33:                             ;   in Loop: Header=BB469_6 Depth=1
.LBB469_34:                             ;   in Loop: Header=BB469_6 Depth=1
	flat_store_b64 v[20:21], v[18:19]
	s_branch .LBB469_5
.LBB469_35:
	s_endpgm
	.section	.rodata,"a",@progbits
	.p2align	6, 0x0
	.amdhsa_kernel _ZL29rocblas_internal_gemmt_kernelIlLi16ELi32ELi8ELc78ELc84ELc85ELb0ELb0EdPKdPKS1_PKPdEviT_T9_T10_S7_lS9_S7_lS8_T11_S7_li
		.amdhsa_group_segment_fixed_size 4096
		.amdhsa_private_segment_fixed_size 0
		.amdhsa_kernarg_size 108
		.amdhsa_user_sgpr_count 2
		.amdhsa_user_sgpr_dispatch_ptr 0
		.amdhsa_user_sgpr_queue_ptr 0
		.amdhsa_user_sgpr_kernarg_segment_ptr 1
		.amdhsa_user_sgpr_dispatch_id 0
		.amdhsa_user_sgpr_kernarg_preload_length 0
		.amdhsa_user_sgpr_kernarg_preload_offset 0
		.amdhsa_user_sgpr_private_segment_size 0
		.amdhsa_wavefront_size32 1
		.amdhsa_uses_dynamic_stack 0
		.amdhsa_enable_private_segment 0
		.amdhsa_system_sgpr_workgroup_id_x 1
		.amdhsa_system_sgpr_workgroup_id_y 1
		.amdhsa_system_sgpr_workgroup_id_z 1
		.amdhsa_system_sgpr_workgroup_info 0
		.amdhsa_system_vgpr_workitem_id 1
		.amdhsa_next_free_vgpr 54
		.amdhsa_next_free_sgpr 39
		.amdhsa_named_barrier_count 0
		.amdhsa_reserve_vcc 1
		.amdhsa_float_round_mode_32 0
		.amdhsa_float_round_mode_16_64 0
		.amdhsa_float_denorm_mode_32 3
		.amdhsa_float_denorm_mode_16_64 3
		.amdhsa_fp16_overflow 0
		.amdhsa_memory_ordered 1
		.amdhsa_forward_progress 1
		.amdhsa_inst_pref_size 13
		.amdhsa_round_robin_scheduling 0
		.amdhsa_exception_fp_ieee_invalid_op 0
		.amdhsa_exception_fp_denorm_src 0
		.amdhsa_exception_fp_ieee_div_zero 0
		.amdhsa_exception_fp_ieee_overflow 0
		.amdhsa_exception_fp_ieee_underflow 0
		.amdhsa_exception_fp_ieee_inexact 0
		.amdhsa_exception_int_div_zero 0
	.end_amdhsa_kernel
	.section	.text._ZL29rocblas_internal_gemmt_kernelIlLi16ELi32ELi8ELc78ELc84ELc85ELb0ELb0EdPKdPKS1_PKPdEviT_T9_T10_S7_lS9_S7_lS8_T11_S7_li,"axG",@progbits,_ZL29rocblas_internal_gemmt_kernelIlLi16ELi32ELi8ELc78ELc84ELc85ELb0ELb0EdPKdPKS1_PKPdEviT_T9_T10_S7_lS9_S7_lS8_T11_S7_li,comdat
.Lfunc_end469:
	.size	_ZL29rocblas_internal_gemmt_kernelIlLi16ELi32ELi8ELc78ELc84ELc85ELb0ELb0EdPKdPKS1_PKPdEviT_T9_T10_S7_lS9_S7_lS8_T11_S7_li, .Lfunc_end469-_ZL29rocblas_internal_gemmt_kernelIlLi16ELi32ELi8ELc78ELc84ELc85ELb0ELb0EdPKdPKS1_PKPdEviT_T9_T10_S7_lS9_S7_lS8_T11_S7_li
                                        ; -- End function
	.set _ZL29rocblas_internal_gemmt_kernelIlLi16ELi32ELi8ELc78ELc84ELc85ELb0ELb0EdPKdPKS1_PKPdEviT_T9_T10_S7_lS9_S7_lS8_T11_S7_li.num_vgpr, 54
	.set _ZL29rocblas_internal_gemmt_kernelIlLi16ELi32ELi8ELc78ELc84ELc85ELb0ELb0EdPKdPKS1_PKPdEviT_T9_T10_S7_lS9_S7_lS8_T11_S7_li.num_agpr, 0
	.set _ZL29rocblas_internal_gemmt_kernelIlLi16ELi32ELi8ELc78ELc84ELc85ELb0ELb0EdPKdPKS1_PKPdEviT_T9_T10_S7_lS9_S7_lS8_T11_S7_li.numbered_sgpr, 39
	.set _ZL29rocblas_internal_gemmt_kernelIlLi16ELi32ELi8ELc78ELc84ELc85ELb0ELb0EdPKdPKS1_PKPdEviT_T9_T10_S7_lS9_S7_lS8_T11_S7_li.num_named_barrier, 0
	.set _ZL29rocblas_internal_gemmt_kernelIlLi16ELi32ELi8ELc78ELc84ELc85ELb0ELb0EdPKdPKS1_PKPdEviT_T9_T10_S7_lS9_S7_lS8_T11_S7_li.private_seg_size, 0
	.set _ZL29rocblas_internal_gemmt_kernelIlLi16ELi32ELi8ELc78ELc84ELc85ELb0ELb0EdPKdPKS1_PKPdEviT_T9_T10_S7_lS9_S7_lS8_T11_S7_li.uses_vcc, 1
	.set _ZL29rocblas_internal_gemmt_kernelIlLi16ELi32ELi8ELc78ELc84ELc85ELb0ELb0EdPKdPKS1_PKPdEviT_T9_T10_S7_lS9_S7_lS8_T11_S7_li.uses_flat_scratch, 0
	.set _ZL29rocblas_internal_gemmt_kernelIlLi16ELi32ELi8ELc78ELc84ELc85ELb0ELb0EdPKdPKS1_PKPdEviT_T9_T10_S7_lS9_S7_lS8_T11_S7_li.has_dyn_sized_stack, 0
	.set _ZL29rocblas_internal_gemmt_kernelIlLi16ELi32ELi8ELc78ELc84ELc85ELb0ELb0EdPKdPKS1_PKPdEviT_T9_T10_S7_lS9_S7_lS8_T11_S7_li.has_recursion, 0
	.set _ZL29rocblas_internal_gemmt_kernelIlLi16ELi32ELi8ELc78ELc84ELc85ELb0ELb0EdPKdPKS1_PKPdEviT_T9_T10_S7_lS9_S7_lS8_T11_S7_li.has_indirect_call, 0
	.section	.AMDGPU.csdata,"",@progbits
; Kernel info:
; codeLenInByte = 1664
; TotalNumSgprs: 41
; NumVgprs: 54
; ScratchSize: 0
; MemoryBound: 0
; FloatMode: 240
; IeeeMode: 1
; LDSByteSize: 4096 bytes/workgroup (compile time only)
; SGPRBlocks: 0
; VGPRBlocks: 3
; NumSGPRsForWavesPerEU: 41
; NumVGPRsForWavesPerEU: 54
; NamedBarCnt: 0
; Occupancy: 16
; WaveLimiterHint : 1
; COMPUTE_PGM_RSRC2:SCRATCH_EN: 0
; COMPUTE_PGM_RSRC2:USER_SGPR: 2
; COMPUTE_PGM_RSRC2:TRAP_HANDLER: 0
; COMPUTE_PGM_RSRC2:TGID_X_EN: 1
; COMPUTE_PGM_RSRC2:TGID_Y_EN: 1
; COMPUTE_PGM_RSRC2:TGID_Z_EN: 1
; COMPUTE_PGM_RSRC2:TIDIG_COMP_CNT: 1
	.section	.text._ZL29rocblas_internal_gemmt_kernelIlLi16ELi32ELi8ELc78ELc67ELc85ELb0ELb0EdPKdPKS1_PKPdEviT_T9_T10_S7_lS9_S7_lS8_T11_S7_li,"axG",@progbits,_ZL29rocblas_internal_gemmt_kernelIlLi16ELi32ELi8ELc78ELc67ELc85ELb0ELb0EdPKdPKS1_PKPdEviT_T9_T10_S7_lS9_S7_lS8_T11_S7_li,comdat
	.globl	_ZL29rocblas_internal_gemmt_kernelIlLi16ELi32ELi8ELc78ELc67ELc85ELb0ELb0EdPKdPKS1_PKPdEviT_T9_T10_S7_lS9_S7_lS8_T11_S7_li ; -- Begin function _ZL29rocblas_internal_gemmt_kernelIlLi16ELi32ELi8ELc78ELc67ELc85ELb0ELb0EdPKdPKS1_PKPdEviT_T9_T10_S7_lS9_S7_lS8_T11_S7_li
	.p2align	8
	.type	_ZL29rocblas_internal_gemmt_kernelIlLi16ELi32ELi8ELc78ELc67ELc85ELb0ELb0EdPKdPKS1_PKPdEviT_T9_T10_S7_lS9_S7_lS8_T11_S7_li,@function
_ZL29rocblas_internal_gemmt_kernelIlLi16ELi32ELi8ELc78ELc67ELc85ELb0ELb0EdPKdPKS1_PKPdEviT_T9_T10_S7_lS9_S7_lS8_T11_S7_li: ; @_ZL29rocblas_internal_gemmt_kernelIlLi16ELi32ELi8ELc78ELc67ELc85ELb0ELb0EdPKdPKS1_PKPdEviT_T9_T10_S7_lS9_S7_lS8_T11_S7_li
; %bb.0:
	s_load_b256 s[24:31], s[0:1], 0x48
	s_wait_kmcnt 0x0
	s_load_b64 s[6:7], s[24:25], 0x0
	s_load_b512 s[8:23], s[0:1], 0x8
	s_wait_kmcnt 0x0
	v_cmp_neq_f64_e64 s2, s[6:7], 1.0
	s_load_b64 s[10:11], s[10:11], 0x0
	s_and_b32 vcc_lo, exec_lo, s2
	s_cbranch_vccnz .LBB470_2
; %bb.1:
	s_wait_kmcnt 0x0
	v_cmp_neq_f64_e64 s2, s[10:11], 0
	s_cmp_lg_u64 s[8:9], 0
	s_cselect_b32 s3, -1, 0
	s_delay_alu instid0(SALU_CYCLE_1)
	s_and_b32 s2, s3, s2
.LBB470_2:
	s_delay_alu instid0(SALU_CYCLE_1)
	s_and_not1_b32 vcc_lo, exec_lo, s2
	s_cbranch_vccnz .LBB470_35
; %bb.3:
	s_load_b32 s33, s[0:1], 0x68
	s_bfe_u32 s2, ttmp6, 0x40014
	s_lshr_b32 s3, ttmp7, 16
	s_add_co_i32 s2, s2, 1
	s_bfe_u32 s5, ttmp6, 0x40008
	s_mul_i32 s4, s3, s2
	s_getreg_b32 s2, hwreg(HW_REG_IB_STS2, 6, 4)
	s_add_co_i32 s5, s5, s4
	s_cmp_eq_u32 s2, 0
	s_mov_b32 s25, 0
	s_cselect_b32 s24, s3, s5
	s_wait_kmcnt 0x0
	s_cmp_ge_u32 s24, s33
	s_cbranch_scc1 .LBB470_35
; %bb.4:
	s_bfe_u32 s3, ttmp6, 0x4000c
	s_bfe_u32 s5, ttmp6, 0x40010
	s_add_co_i32 s3, s3, 1
	s_and_b32 s34, ttmp7, 0xffff
	s_add_co_i32 s5, s5, 1
	v_and_b32_e32 v13, 0x3ff, v0
	v_bfe_u32 v15, v0, 10, 10
	s_and_b32 s4, ttmp6, 15
	s_mul_i32 s3, ttmp9, s3
	s_mul_i32 s5, s34, s5
	s_bfe_u32 s35, ttmp6, 0x40004
	s_add_co_i32 s4, s4, s3
	s_add_co_i32 s35, s35, s5
	s_cmp_eq_u32 s2, 0
	v_lshl_add_u32 v1, v15, 4, v13
	s_load_b32 s3, s[0:1], 0x0
	s_wait_xcnt 0x0
	s_cselect_b32 s0, s34, s35
	s_cselect_b32 s1, ttmp9, s4
	s_lshl_b32 s0, s0, 5
	s_delay_alu instid0(SALU_CYCLE_1) | instskip(SKIP_3) | instid1(VALU_DEP_2)
	v_dual_lshrrev_b32 v2, 5, v1 :: v_dual_add_nc_u32 v16, s0, v15
	v_dual_lshrrev_b32 v1, 3, v1 :: v_dual_bitop2_b32 v3, 31, v1 bitop3:0x40
	s_lshl_b32 s1, s1, 5
	v_cmp_neq_f64_e64 s37, s[10:11], 0
	v_dual_add_nc_u32 v18, 16, v16 :: v_dual_bitop2_b32 v4, s1, v3 bitop3:0x54
	v_ashrrev_i32_e32 v17, 31, v16
	v_cmp_neq_f64_e64 s34, s[6:7], 0
	v_dual_add_nc_u32 v6, s0, v1 :: v_dual_bitop2_b32 v0, 7, v0 bitop3:0x40
	s_delay_alu instid0(VALU_DEP_4) | instskip(NEXT) | instid1(VALU_DEP_4)
	v_ashrrev_i32_e32 v19, 31, v18
	v_mul_u64_e32 v[8:9], s[28:29], v[16:17]
	s_delay_alu instid0(VALU_DEP_3) | instskip(SKIP_1) | instid1(VALU_DEP_4)
	v_dual_lshlrev_b32 v3, 3, v3 :: v_dual_lshlrev_b32 v5, 3, v0
	v_add_nc_u32_e32 v12, s1, v13
	v_mul_u64_e32 v[10:11], s[28:29], v[18:19]
	s_wait_kmcnt 0x0
	v_cmp_gt_i32_e32 vcc_lo, s3, v16
	v_cmp_gt_i64_e64 s38, s[8:9], 0
	v_lshl_or_b32 v7, v1, 6, v5
	v_ashrrev_i32_e32 v5, 31, v4
	v_cmp_le_i32_e64 s2, v12, v16
	v_add_nc_u32_e32 v14, 16, v12
	v_cmp_gt_i32_e64 s0, s3, v4
	v_lshl_or_b32 v1, v2, 8, v3
	v_cmp_gt_i32_e64 s1, s3, v6
	v_add_nc_u32_e32 v3, 0x800, v7
	v_ashrrev_i32_e32 v7, 31, v6
	s_and_b32 s28, vcc_lo, s2
	v_cmp_le_i32_e64 s2, v14, v16
	v_cmp_gt_i32_e64 s3, s3, v18
	v_cmp_le_i32_e64 s4, v12, v18
	v_cmp_le_i32_e64 s5, v14, v18
	v_dual_lshlrev_b32 v36, 3, v13 :: v_dual_ashrrev_i32 v13, 31, v12
	v_lshl_add_u32 v37, v15, 6, 0x800
	v_dual_ashrrev_i32 v15, 31, v14 :: v_dual_mov_b32 v17, 0
	s_and_b32 s29, vcc_lo, s2
	s_and_b32 s35, s3, s4
	s_and_b32 s36, s3, s5
	;; [unrolled: 1-line block ×3, first 2 shown]
	s_lshl_b64 s[2:3], s[22:23], 3
	s_lshl_b64 s[4:5], s[16:17], 3
	;; [unrolled: 1-line block ×3, first 2 shown]
	s_branch .LBB470_6
.LBB470_5:                              ;   in Loop: Header=BB470_6 Depth=1
	s_wait_xcnt 0x0
	s_or_b32 exec_lo, exec_lo, s22
	s_add_co_i32 s24, s24, 0x10000
	s_delay_alu instid0(SALU_CYCLE_1)
	s_cmp_lt_u32 s24, s33
	s_cbranch_scc0 .LBB470_35
.LBB470_6:                              ; =>This Loop Header: Depth=1
                                        ;     Child Loop BB470_9 Depth 2
	v_mov_b32_e32 v16, s24
	v_mov_b64_e32 v[26:27], 0
	v_mov_b64_e32 v[22:23], 0
	;; [unrolled: 1-line block ×4, first 2 shown]
	global_load_b64 v[24:25], v16, s[26:27] scale_offset
	s_and_not1_b32 vcc_lo, exec_lo, s37
	s_cbranch_vccnz .LBB470_15
; %bb.7:                                ;   in Loop: Header=BB470_6 Depth=1
	s_lshl_b64 s[22:23], s[24:25], 3
	v_mov_b64_e32 v[22:23], 0
	s_add_nc_u64 s[30:31], s[12:13], s[22:23]
	s_add_nc_u64 s[22:23], s[18:19], s[22:23]
	s_clause 0x1
	global_load_b64 v[18:19], v17, s[30:31]
	global_load_b64 v[20:21], v17, s[22:23]
	v_mov_b64_e32 v[26:27], 0
	s_wait_xcnt 0x0
	s_mov_b64 s[22:23], 0
	s_wait_loadcnt 0x1
	v_add_nc_u64_e32 v[28:29], s[4:5], v[18:19]
	s_wait_loadcnt 0x0
	v_add_nc_u64_e32 v[30:31], s[2:3], v[20:21]
	v_mov_b64_e32 v[18:19], 0
	v_mov_b64_e32 v[20:21], 0
	s_delay_alu instid0(VALU_DEP_4) | instskip(NEXT) | instid1(VALU_DEP_4)
	v_lshl_add_u64 v[28:29], v[4:5], 3, v[28:29]
	v_lshl_add_u64 v[30:31], v[6:7], 3, v[30:31]
	s_branch .LBB470_9
.LBB470_8:                              ;   in Loop: Header=BB470_9 Depth=2
	s_wait_xcnt 0x0
	s_or_b32 exec_lo, exec_lo, s30
	s_wait_loadcnt_dscnt 0x0
	ds_store_b64 v3, v[34:35]
	s_wait_dscnt 0x0
	s_barrier_signal -1
	s_barrier_wait -1
	ds_load_b128 v[32:35], v37
	ds_load_2addr_b64 v[38:41], v36 offset1:16
	ds_load_b128 v[42:45], v37 offset:1024
	ds_load_b128 v[46:49], v37 offset:16
	ds_load_b128 v[50:53], v37 offset:1040
	s_add_nc_u64 s[22:23], s[22:23], 8
	s_delay_alu instid0(SALU_CYCLE_1)
	v_cmp_gt_i64_e64 s30, s[8:9], s[22:23]
	s_and_b32 vcc_lo, exec_lo, s30
	s_wait_dscnt 0x3
	v_fmac_f64_e32 v[26:27], v[38:39], v[32:33]
	v_fmac_f64_e32 v[22:23], v[40:41], v[32:33]
	s_wait_dscnt 0x2
	v_fmac_f64_e32 v[20:21], v[38:39], v[42:43]
	v_fmac_f64_e32 v[18:19], v[40:41], v[42:43]
	ds_load_2addr_b64 v[38:41], v36 offset0:32 offset1:48
	s_wait_dscnt 0x0
	v_fmac_f64_e32 v[26:27], v[38:39], v[34:35]
	v_fmac_f64_e32 v[22:23], v[40:41], v[34:35]
	v_fmac_f64_e32 v[20:21], v[38:39], v[44:45]
	v_fmac_f64_e32 v[18:19], v[40:41], v[44:45]
	ds_load_2addr_b64 v[32:35], v36 offset0:64 offset1:80
	s_wait_dscnt 0x0
	v_fmac_f64_e32 v[26:27], v[32:33], v[46:47]
	v_fmac_f64_e32 v[22:23], v[34:35], v[46:47]
	;; [unrolled: 6-line block ×3, first 2 shown]
	v_fmac_f64_e32 v[20:21], v[32:33], v[52:53]
	v_fmac_f64_e32 v[18:19], v[34:35], v[52:53]
	ds_load_b128 v[32:35], v37 offset:32
	ds_load_2addr_b64 v[38:41], v36 offset0:128 offset1:144
	ds_load_b128 v[42:45], v37 offset:1056
	ds_load_b128 v[46:49], v37 offset:48
	;; [unrolled: 1-line block ×3, first 2 shown]
	s_wait_dscnt 0x3
	v_fmac_f64_e32 v[26:27], v[38:39], v[32:33]
	v_fmac_f64_e32 v[22:23], v[40:41], v[32:33]
	s_wait_dscnt 0x2
	v_fmac_f64_e32 v[20:21], v[38:39], v[42:43]
	v_fmac_f64_e32 v[18:19], v[40:41], v[42:43]
	ds_load_2addr_b64 v[38:41], v36 offset0:160 offset1:176
	s_wait_dscnt 0x0
	v_fmac_f64_e32 v[26:27], v[38:39], v[34:35]
	v_fmac_f64_e32 v[22:23], v[40:41], v[34:35]
	;; [unrolled: 1-line block ×4, first 2 shown]
	ds_load_2addr_b64 v[32:35], v36 offset0:192 offset1:208
	s_wait_dscnt 0x0
	v_fmac_f64_e32 v[26:27], v[32:33], v[46:47]
	v_fmac_f64_e32 v[22:23], v[34:35], v[46:47]
	;; [unrolled: 1-line block ×4, first 2 shown]
	ds_load_2addr_b64 v[32:35], v36 offset0:224 offset1:240
	s_wait_dscnt 0x0
	s_barrier_signal -1
	s_barrier_wait -1
	v_fmac_f64_e32 v[26:27], v[32:33], v[48:49]
	v_fmac_f64_e32 v[22:23], v[34:35], v[48:49]
	;; [unrolled: 1-line block ×4, first 2 shown]
	s_cbranch_vccz .LBB470_15
.LBB470_9:                              ;   Parent Loop BB470_6 Depth=1
                                        ; =>  This Inner Loop Header: Depth=2
	v_mov_b64_e32 v[32:33], 0
	s_and_saveexec_b32 s30, s0
	s_cbranch_execz .LBB470_13
; %bb.10:                               ;   in Loop: Header=BB470_9 Depth=2
	v_mov_b64_e32 v[32:33], 0
	v_add_nc_u32_e32 v16, s22, v2
	s_mov_b32 s31, exec_lo
	s_delay_alu instid0(VALU_DEP_1)
	v_cmpx_gt_u64_e64 s[8:9], v[16:17]
	s_cbranch_execz .LBB470_12
; %bb.11:                               ;   in Loop: Header=BB470_9 Depth=2
	v_mul_u64_e32 v[32:33], s[14:15], v[16:17]
	s_delay_alu instid0(VALU_DEP_1)
	v_lshl_add_u64 v[32:33], v[32:33], 3, v[28:29]
	flat_load_b64 v[32:33], v[32:33]
.LBB470_12:                             ;   in Loop: Header=BB470_9 Depth=2
	s_wait_xcnt 0x0
	s_or_b32 exec_lo, exec_lo, s31
.LBB470_13:                             ;   in Loop: Header=BB470_9 Depth=2
	s_delay_alu instid0(SALU_CYCLE_1)
	s_or_b32 exec_lo, exec_lo, s30
	v_add_nc_u32_e32 v16, s22, v0
	v_mov_b64_e32 v[34:35], 0
	s_wait_loadcnt_dscnt 0x0
	ds_store_b64 v1, v[32:33]
	v_cmp_gt_u64_e32 vcc_lo, s[8:9], v[16:17]
	s_and_b32 s31, vcc_lo, s1
	s_delay_alu instid0(SALU_CYCLE_1)
	s_and_saveexec_b32 s30, s31
	s_cbranch_execz .LBB470_8
; %bb.14:                               ;   in Loop: Header=BB470_9 Depth=2
	v_mul_u64_e32 v[32:33], s[20:21], v[16:17]
	s_delay_alu instid0(VALU_DEP_1)
	v_lshl_add_u64 v[32:33], v[32:33], 3, v[30:31]
	flat_load_b64 v[34:35], v[32:33]
	s_branch .LBB470_8
.LBB470_15:                             ;   in Loop: Header=BB470_6 Depth=1
	s_wait_loadcnt 0x0
	v_add_nc_u64_e32 v[24:25], s[16:17], v[24:25]
	s_delay_alu instid0(VALU_DEP_1)
	v_lshl_add_u64 v[28:29], v[8:9], 3, v[24:25]
	s_wait_xcnt 0x0
	s_and_saveexec_b32 s22, s28
	s_cbranch_execz .LBB470_19
; %bb.16:                               ;   in Loop: Header=BB470_6 Depth=1
	v_mul_f64_e32 v[26:27], s[10:11], v[26:27]
	v_lshl_add_u64 v[30:31], v[12:13], 3, v[28:29]
	s_and_b32 vcc_lo, exec_lo, s34
	s_cbranch_vccz .LBB470_30
; %bb.17:                               ;   in Loop: Header=BB470_6 Depth=1
	flat_load_b64 v[32:33], v[30:31]
	s_wait_loadcnt_dscnt 0x0
	v_fma_f64 v[32:33], s[6:7], v[32:33], v[26:27]
	flat_store_b64 v[30:31], v[32:33]
	s_cbranch_execnz .LBB470_19
.LBB470_18:                             ;   in Loop: Header=BB470_6 Depth=1
	flat_store_b64 v[30:31], v[26:27]
.LBB470_19:                             ;   in Loop: Header=BB470_6 Depth=1
	s_wait_xcnt 0x0
	s_or_b32 exec_lo, exec_lo, s22
	s_and_saveexec_b32 s22, s29
	s_cbranch_execz .LBB470_23
; %bb.20:                               ;   in Loop: Header=BB470_6 Depth=1
	v_mul_f64_e32 v[22:23], s[10:11], v[22:23]
	v_lshl_add_u64 v[26:27], v[14:15], 3, v[28:29]
	s_and_not1_b32 vcc_lo, exec_lo, s34
	s_cbranch_vccnz .LBB470_31
; %bb.21:                               ;   in Loop: Header=BB470_6 Depth=1
	flat_load_b64 v[28:29], v[26:27]
	s_wait_loadcnt_dscnt 0x0
	v_fma_f64 v[28:29], s[6:7], v[28:29], v[22:23]
	flat_store_b64 v[26:27], v[28:29]
	s_cbranch_execnz .LBB470_23
.LBB470_22:                             ;   in Loop: Header=BB470_6 Depth=1
	flat_store_b64 v[26:27], v[22:23]
.LBB470_23:                             ;   in Loop: Header=BB470_6 Depth=1
	s_wait_xcnt 0x0
	s_or_b32 exec_lo, exec_lo, s22
	v_lshl_add_u64 v[22:23], v[10:11], 3, v[24:25]
	s_and_saveexec_b32 s22, s35
	s_cbranch_execz .LBB470_27
; %bb.24:                               ;   in Loop: Header=BB470_6 Depth=1
	v_mul_f64_e32 v[20:21], s[10:11], v[20:21]
	s_delay_alu instid0(VALU_DEP_2)
	v_lshl_add_u64 v[24:25], v[12:13], 3, v[22:23]
	s_and_not1_b32 vcc_lo, exec_lo, s34
	s_cbranch_vccnz .LBB470_32
; %bb.25:                               ;   in Loop: Header=BB470_6 Depth=1
	flat_load_b64 v[26:27], v[24:25]
	s_wait_loadcnt_dscnt 0x0
	v_fma_f64 v[26:27], s[6:7], v[26:27], v[20:21]
	flat_store_b64 v[24:25], v[26:27]
	s_cbranch_execnz .LBB470_27
.LBB470_26:                             ;   in Loop: Header=BB470_6 Depth=1
	flat_store_b64 v[24:25], v[20:21]
.LBB470_27:                             ;   in Loop: Header=BB470_6 Depth=1
	s_wait_xcnt 0x0
	s_or_b32 exec_lo, exec_lo, s22
	s_and_saveexec_b32 s22, s36
	s_cbranch_execz .LBB470_5
; %bb.28:                               ;   in Loop: Header=BB470_6 Depth=1
	s_delay_alu instid0(VALU_DEP_4)
	v_mul_f64_e32 v[18:19], s[10:11], v[18:19]
	v_lshl_add_u64 v[20:21], v[14:15], 3, v[22:23]
	s_and_not1_b32 vcc_lo, exec_lo, s34
	s_cbranch_vccnz .LBB470_33
; %bb.29:                               ;   in Loop: Header=BB470_6 Depth=1
	flat_load_b64 v[22:23], v[20:21]
	s_wait_loadcnt_dscnt 0x0
	v_fma_f64 v[22:23], s[6:7], v[22:23], v[18:19]
	flat_store_b64 v[20:21], v[22:23]
	s_cbranch_execnz .LBB470_5
	s_branch .LBB470_34
.LBB470_30:                             ;   in Loop: Header=BB470_6 Depth=1
	s_branch .LBB470_18
.LBB470_31:                             ;   in Loop: Header=BB470_6 Depth=1
	s_branch .LBB470_22
.LBB470_32:                             ;   in Loop: Header=BB470_6 Depth=1
	s_branch .LBB470_26
.LBB470_33:                             ;   in Loop: Header=BB470_6 Depth=1
.LBB470_34:                             ;   in Loop: Header=BB470_6 Depth=1
	flat_store_b64 v[20:21], v[18:19]
	s_branch .LBB470_5
.LBB470_35:
	s_endpgm
	.section	.rodata,"a",@progbits
	.p2align	6, 0x0
	.amdhsa_kernel _ZL29rocblas_internal_gemmt_kernelIlLi16ELi32ELi8ELc78ELc67ELc85ELb0ELb0EdPKdPKS1_PKPdEviT_T9_T10_S7_lS9_S7_lS8_T11_S7_li
		.amdhsa_group_segment_fixed_size 4096
		.amdhsa_private_segment_fixed_size 0
		.amdhsa_kernarg_size 108
		.amdhsa_user_sgpr_count 2
		.amdhsa_user_sgpr_dispatch_ptr 0
		.amdhsa_user_sgpr_queue_ptr 0
		.amdhsa_user_sgpr_kernarg_segment_ptr 1
		.amdhsa_user_sgpr_dispatch_id 0
		.amdhsa_user_sgpr_kernarg_preload_length 0
		.amdhsa_user_sgpr_kernarg_preload_offset 0
		.amdhsa_user_sgpr_private_segment_size 0
		.amdhsa_wavefront_size32 1
		.amdhsa_uses_dynamic_stack 0
		.amdhsa_enable_private_segment 0
		.amdhsa_system_sgpr_workgroup_id_x 1
		.amdhsa_system_sgpr_workgroup_id_y 1
		.amdhsa_system_sgpr_workgroup_id_z 1
		.amdhsa_system_sgpr_workgroup_info 0
		.amdhsa_system_vgpr_workitem_id 1
		.amdhsa_next_free_vgpr 54
		.amdhsa_next_free_sgpr 39
		.amdhsa_named_barrier_count 0
		.amdhsa_reserve_vcc 1
		.amdhsa_float_round_mode_32 0
		.amdhsa_float_round_mode_16_64 0
		.amdhsa_float_denorm_mode_32 3
		.amdhsa_float_denorm_mode_16_64 3
		.amdhsa_fp16_overflow 0
		.amdhsa_memory_ordered 1
		.amdhsa_forward_progress 1
		.amdhsa_inst_pref_size 13
		.amdhsa_round_robin_scheduling 0
		.amdhsa_exception_fp_ieee_invalid_op 0
		.amdhsa_exception_fp_denorm_src 0
		.amdhsa_exception_fp_ieee_div_zero 0
		.amdhsa_exception_fp_ieee_overflow 0
		.amdhsa_exception_fp_ieee_underflow 0
		.amdhsa_exception_fp_ieee_inexact 0
		.amdhsa_exception_int_div_zero 0
	.end_amdhsa_kernel
	.section	.text._ZL29rocblas_internal_gemmt_kernelIlLi16ELi32ELi8ELc78ELc67ELc85ELb0ELb0EdPKdPKS1_PKPdEviT_T9_T10_S7_lS9_S7_lS8_T11_S7_li,"axG",@progbits,_ZL29rocblas_internal_gemmt_kernelIlLi16ELi32ELi8ELc78ELc67ELc85ELb0ELb0EdPKdPKS1_PKPdEviT_T9_T10_S7_lS9_S7_lS8_T11_S7_li,comdat
.Lfunc_end470:
	.size	_ZL29rocblas_internal_gemmt_kernelIlLi16ELi32ELi8ELc78ELc67ELc85ELb0ELb0EdPKdPKS1_PKPdEviT_T9_T10_S7_lS9_S7_lS8_T11_S7_li, .Lfunc_end470-_ZL29rocblas_internal_gemmt_kernelIlLi16ELi32ELi8ELc78ELc67ELc85ELb0ELb0EdPKdPKS1_PKPdEviT_T9_T10_S7_lS9_S7_lS8_T11_S7_li
                                        ; -- End function
	.set _ZL29rocblas_internal_gemmt_kernelIlLi16ELi32ELi8ELc78ELc67ELc85ELb0ELb0EdPKdPKS1_PKPdEviT_T9_T10_S7_lS9_S7_lS8_T11_S7_li.num_vgpr, 54
	.set _ZL29rocblas_internal_gemmt_kernelIlLi16ELi32ELi8ELc78ELc67ELc85ELb0ELb0EdPKdPKS1_PKPdEviT_T9_T10_S7_lS9_S7_lS8_T11_S7_li.num_agpr, 0
	.set _ZL29rocblas_internal_gemmt_kernelIlLi16ELi32ELi8ELc78ELc67ELc85ELb0ELb0EdPKdPKS1_PKPdEviT_T9_T10_S7_lS9_S7_lS8_T11_S7_li.numbered_sgpr, 39
	.set _ZL29rocblas_internal_gemmt_kernelIlLi16ELi32ELi8ELc78ELc67ELc85ELb0ELb0EdPKdPKS1_PKPdEviT_T9_T10_S7_lS9_S7_lS8_T11_S7_li.num_named_barrier, 0
	.set _ZL29rocblas_internal_gemmt_kernelIlLi16ELi32ELi8ELc78ELc67ELc85ELb0ELb0EdPKdPKS1_PKPdEviT_T9_T10_S7_lS9_S7_lS8_T11_S7_li.private_seg_size, 0
	.set _ZL29rocblas_internal_gemmt_kernelIlLi16ELi32ELi8ELc78ELc67ELc85ELb0ELb0EdPKdPKS1_PKPdEviT_T9_T10_S7_lS9_S7_lS8_T11_S7_li.uses_vcc, 1
	.set _ZL29rocblas_internal_gemmt_kernelIlLi16ELi32ELi8ELc78ELc67ELc85ELb0ELb0EdPKdPKS1_PKPdEviT_T9_T10_S7_lS9_S7_lS8_T11_S7_li.uses_flat_scratch, 0
	.set _ZL29rocblas_internal_gemmt_kernelIlLi16ELi32ELi8ELc78ELc67ELc85ELb0ELb0EdPKdPKS1_PKPdEviT_T9_T10_S7_lS9_S7_lS8_T11_S7_li.has_dyn_sized_stack, 0
	.set _ZL29rocblas_internal_gemmt_kernelIlLi16ELi32ELi8ELc78ELc67ELc85ELb0ELb0EdPKdPKS1_PKPdEviT_T9_T10_S7_lS9_S7_lS8_T11_S7_li.has_recursion, 0
	.set _ZL29rocblas_internal_gemmt_kernelIlLi16ELi32ELi8ELc78ELc67ELc85ELb0ELb0EdPKdPKS1_PKPdEviT_T9_T10_S7_lS9_S7_lS8_T11_S7_li.has_indirect_call, 0
	.section	.AMDGPU.csdata,"",@progbits
; Kernel info:
; codeLenInByte = 1664
; TotalNumSgprs: 41
; NumVgprs: 54
; ScratchSize: 0
; MemoryBound: 0
; FloatMode: 240
; IeeeMode: 1
; LDSByteSize: 4096 bytes/workgroup (compile time only)
; SGPRBlocks: 0
; VGPRBlocks: 3
; NumSGPRsForWavesPerEU: 41
; NumVGPRsForWavesPerEU: 54
; NamedBarCnt: 0
; Occupancy: 16
; WaveLimiterHint : 1
; COMPUTE_PGM_RSRC2:SCRATCH_EN: 0
; COMPUTE_PGM_RSRC2:USER_SGPR: 2
; COMPUTE_PGM_RSRC2:TRAP_HANDLER: 0
; COMPUTE_PGM_RSRC2:TGID_X_EN: 1
; COMPUTE_PGM_RSRC2:TGID_Y_EN: 1
; COMPUTE_PGM_RSRC2:TGID_Z_EN: 1
; COMPUTE_PGM_RSRC2:TIDIG_COMP_CNT: 1
	.section	.text._ZL29rocblas_internal_gemmt_kernelIlLi16ELi32ELi8ELc84ELc78ELc85ELb0ELb0EdPKdPKS1_PKPdEviT_T9_T10_S7_lS9_S7_lS8_T11_S7_li,"axG",@progbits,_ZL29rocblas_internal_gemmt_kernelIlLi16ELi32ELi8ELc84ELc78ELc85ELb0ELb0EdPKdPKS1_PKPdEviT_T9_T10_S7_lS9_S7_lS8_T11_S7_li,comdat
	.globl	_ZL29rocblas_internal_gemmt_kernelIlLi16ELi32ELi8ELc84ELc78ELc85ELb0ELb0EdPKdPKS1_PKPdEviT_T9_T10_S7_lS9_S7_lS8_T11_S7_li ; -- Begin function _ZL29rocblas_internal_gemmt_kernelIlLi16ELi32ELi8ELc84ELc78ELc85ELb0ELb0EdPKdPKS1_PKPdEviT_T9_T10_S7_lS9_S7_lS8_T11_S7_li
	.p2align	8
	.type	_ZL29rocblas_internal_gemmt_kernelIlLi16ELi32ELi8ELc84ELc78ELc85ELb0ELb0EdPKdPKS1_PKPdEviT_T9_T10_S7_lS9_S7_lS8_T11_S7_li,@function
_ZL29rocblas_internal_gemmt_kernelIlLi16ELi32ELi8ELc84ELc78ELc85ELb0ELb0EdPKdPKS1_PKPdEviT_T9_T10_S7_lS9_S7_lS8_T11_S7_li: ; @_ZL29rocblas_internal_gemmt_kernelIlLi16ELi32ELi8ELc84ELc78ELc85ELb0ELb0EdPKdPKS1_PKPdEviT_T9_T10_S7_lS9_S7_lS8_T11_S7_li
; %bb.0:
	s_load_b256 s[24:31], s[0:1], 0x48
	s_wait_kmcnt 0x0
	s_load_b64 s[6:7], s[24:25], 0x0
	s_load_b512 s[8:23], s[0:1], 0x8
	s_wait_kmcnt 0x0
	v_cmp_neq_f64_e64 s2, s[6:7], 1.0
	s_load_b64 s[10:11], s[10:11], 0x0
	s_and_b32 vcc_lo, exec_lo, s2
	s_cbranch_vccnz .LBB471_2
; %bb.1:
	s_wait_kmcnt 0x0
	v_cmp_neq_f64_e64 s2, s[10:11], 0
	s_cmp_lg_u64 s[8:9], 0
	s_cselect_b32 s3, -1, 0
	s_delay_alu instid0(SALU_CYCLE_1)
	s_and_b32 s2, s3, s2
.LBB471_2:
	s_delay_alu instid0(SALU_CYCLE_1)
	s_and_not1_b32 vcc_lo, exec_lo, s2
	s_cbranch_vccnz .LBB471_35
; %bb.3:
	s_load_b32 s33, s[0:1], 0x68
	s_bfe_u32 s2, ttmp6, 0x40014
	s_lshr_b32 s3, ttmp7, 16
	s_add_co_i32 s2, s2, 1
	s_bfe_u32 s5, ttmp6, 0x40008
	s_mul_i32 s4, s3, s2
	s_getreg_b32 s2, hwreg(HW_REG_IB_STS2, 6, 4)
	s_add_co_i32 s5, s5, s4
	s_cmp_eq_u32 s2, 0
	s_mov_b32 s25, 0
	s_cselect_b32 s24, s3, s5
	s_wait_kmcnt 0x0
	s_cmp_ge_u32 s24, s33
	s_cbranch_scc1 .LBB471_35
; %bb.4:
	s_load_b32 s3, s[0:1], 0x0
	s_wait_xcnt 0x0
	s_bfe_u32 s1, ttmp6, 0x4000c
	s_bfe_u32 s5, ttmp6, 0x40010
	s_and_b32 s4, ttmp7, 0xffff
	s_add_co_i32 s1, s1, 1
	s_add_co_i32 s5, s5, 1
	v_and_b32_e32 v20, 0x3ff, v0
	v_bfe_u32 v21, v0, 10, 10
	s_and_b32 s0, ttmp6, 15
	s_mul_i32 s1, ttmp9, s1
	s_mul_i32 s5, s4, s5
	s_bfe_u32 s34, ttmp6, 0x40004
	s_add_co_i32 s0, s0, s1
	s_add_co_i32 s34, s34, s5
	s_cmp_eq_u32 s2, 0
	v_lshl_add_u32 v1, v21, 4, v20
	s_cselect_b32 s1, s4, s34
	s_cselect_b32 s0, ttmp9, s0
	s_lshl_b32 s1, s1, 5
	s_lshl_b32 s2, s0, 5
	v_dual_lshrrev_b32 v3, 3, v1 :: v_dual_bitop2_b32 v22, 31, v1 bitop3:0x40
	v_add_nc_u32_e32 v16, s1, v21
	v_lshrrev_b32_e32 v2, 5, v1
	v_cmp_neq_f64_e64 s35, s[10:11], 0
	s_delay_alu instid0(VALU_DEP_4) | instskip(NEXT) | instid1(VALU_DEP_4)
	v_dual_add_nc_u32 v14, s1, v3 :: v_dual_bitop2_b32 v12, s2, v22 bitop3:0x54
	v_dual_add_nc_u32 v18, 16, v16 :: v_dual_ashrrev_i32 v17, 31, v16
	s_delay_alu instid0(VALU_DEP_2) | instskip(NEXT) | instid1(VALU_DEP_2)
	v_dual_ashrrev_i32 v15, 31, v14 :: v_dual_bitop2_b32 v0, 7, v0 bitop3:0x40
	v_dual_ashrrev_i32 v13, 31, v12 :: v_dual_ashrrev_i32 v19, 31, v18
	s_delay_alu instid0(VALU_DEP_3)
	v_mul_u64_e32 v[8:9], s[28:29], v[16:17]
	s_wait_kmcnt 0x0
	v_cmp_gt_i32_e64 s0, s3, v12
	v_mul_u64_e32 v[6:7], s[20:21], v[14:15]
	v_mul_u64_e32 v[4:5], s[14:15], v[12:13]
	v_cmp_neq_f64_e64 s20, s[6:7], 0
	v_mul_u64_e32 v[10:11], s[28:29], v[18:19]
	v_dual_add_nc_u32 v12, s2, v20 :: v_dual_lshlrev_b32 v36, 3, v20
	v_dual_lshlrev_b32 v1, 3, v22 :: v_dual_lshlrev_b32 v13, 3, v0
	v_cmp_gt_i32_e64 s1, s3, v14
	v_cmp_gt_i32_e32 vcc_lo, s3, v16
	s_delay_alu instid0(VALU_DEP_4)
	v_cmp_le_i32_e64 s2, v12, v16
	v_add_nc_u32_e32 v14, 16, v12
	v_lshl_or_b32 v3, v3, 6, v13
	v_cmp_gt_i64_e64 s14, s[8:9], 0
	v_cmp_gt_i32_e64 s3, s3, v18
	s_and_b32 s21, vcc_lo, s2
	v_cmp_le_i32_e64 s4, v12, v18
	v_ashrrev_i32_e32 v13, 31, v12
	v_cmp_le_i32_e64 s2, v14, v16
	v_cmp_le_i32_e64 s5, v14, v18
	v_lshl_or_b32 v1, v2, 8, v1
	v_add_nc_u32_e32 v3, 0x800, v3
	v_lshl_add_u32 v37, v21, 6, 0x800
	v_dual_ashrrev_i32 v15, 31, v14 :: v_dual_mov_b32 v17, 0
	s_and_b32 s28, vcc_lo, s2
	s_and_b32 s29, s3, s4
	s_and_b32 s34, s3, s5
	;; [unrolled: 1-line block ×3, first 2 shown]
	s_lshl_b64 s[2:3], s[22:23], 3
	s_lshl_b64 s[4:5], s[16:17], 3
	;; [unrolled: 1-line block ×3, first 2 shown]
	s_branch .LBB471_6
.LBB471_5:                              ;   in Loop: Header=BB471_6 Depth=1
	s_wait_xcnt 0x0
	s_or_b32 exec_lo, exec_lo, s16
	s_add_co_i32 s24, s24, 0x10000
	s_delay_alu instid0(SALU_CYCLE_1)
	s_cmp_lt_u32 s24, s33
	s_cbranch_scc0 .LBB471_35
.LBB471_6:                              ; =>This Loop Header: Depth=1
                                        ;     Child Loop BB471_9 Depth 2
	v_mov_b32_e32 v16, s24
	v_mov_b64_e32 v[26:27], 0
	v_mov_b64_e32 v[22:23], 0
	v_mov_b64_e32 v[20:21], 0
	v_mov_b64_e32 v[18:19], 0
	global_load_b64 v[24:25], v16, s[26:27] scale_offset
	s_and_not1_b32 vcc_lo, exec_lo, s35
	s_cbranch_vccnz .LBB471_15
; %bb.7:                                ;   in Loop: Header=BB471_6 Depth=1
	s_lshl_b64 s[16:17], s[24:25], 3
	v_mov_b64_e32 v[22:23], 0
	s_add_nc_u64 s[22:23], s[12:13], s[16:17]
	s_add_nc_u64 s[16:17], s[18:19], s[16:17]
	s_clause 0x1
	global_load_b64 v[18:19], v17, s[22:23]
	global_load_b64 v[20:21], v17, s[16:17]
	v_mov_b64_e32 v[26:27], 0
	s_wait_xcnt 0x0
	s_mov_b64 s[16:17], 0
	s_wait_loadcnt 0x1
	v_add_nc_u64_e32 v[28:29], s[4:5], v[18:19]
	s_wait_loadcnt 0x0
	v_add_nc_u64_e32 v[30:31], s[2:3], v[20:21]
	v_mov_b64_e32 v[18:19], 0
	v_mov_b64_e32 v[20:21], 0
	s_delay_alu instid0(VALU_DEP_4) | instskip(NEXT) | instid1(VALU_DEP_4)
	v_lshl_add_u64 v[28:29], v[4:5], 3, v[28:29]
	v_lshl_add_u64 v[30:31], v[6:7], 3, v[30:31]
	s_branch .LBB471_9
.LBB471_8:                              ;   in Loop: Header=BB471_9 Depth=2
	s_wait_xcnt 0x0
	s_or_b32 exec_lo, exec_lo, s22
	s_wait_loadcnt_dscnt 0x0
	ds_store_b64 v3, v[34:35]
	s_wait_dscnt 0x0
	s_barrier_signal -1
	s_barrier_wait -1
	ds_load_b128 v[32:35], v37
	ds_load_2addr_b64 v[38:41], v36 offset1:16
	ds_load_b128 v[42:45], v37 offset:1024
	ds_load_b128 v[46:49], v37 offset:16
	ds_load_b128 v[50:53], v37 offset:1040
	s_add_nc_u64 s[16:17], s[16:17], 8
	s_delay_alu instid0(SALU_CYCLE_1)
	v_cmp_gt_i64_e64 s22, s[8:9], s[16:17]
	s_and_b32 vcc_lo, exec_lo, s22
	s_wait_dscnt 0x3
	v_fmac_f64_e32 v[26:27], v[38:39], v[32:33]
	v_fmac_f64_e32 v[22:23], v[40:41], v[32:33]
	s_wait_dscnt 0x2
	v_fmac_f64_e32 v[20:21], v[38:39], v[42:43]
	v_fmac_f64_e32 v[18:19], v[40:41], v[42:43]
	ds_load_2addr_b64 v[38:41], v36 offset0:32 offset1:48
	s_wait_dscnt 0x0
	v_fmac_f64_e32 v[26:27], v[38:39], v[34:35]
	v_fmac_f64_e32 v[22:23], v[40:41], v[34:35]
	v_fmac_f64_e32 v[20:21], v[38:39], v[44:45]
	v_fmac_f64_e32 v[18:19], v[40:41], v[44:45]
	ds_load_2addr_b64 v[32:35], v36 offset0:64 offset1:80
	s_wait_dscnt 0x0
	v_fmac_f64_e32 v[26:27], v[32:33], v[46:47]
	v_fmac_f64_e32 v[22:23], v[34:35], v[46:47]
	;; [unrolled: 6-line block ×3, first 2 shown]
	v_fmac_f64_e32 v[20:21], v[32:33], v[52:53]
	v_fmac_f64_e32 v[18:19], v[34:35], v[52:53]
	ds_load_b128 v[32:35], v37 offset:32
	ds_load_2addr_b64 v[38:41], v36 offset0:128 offset1:144
	ds_load_b128 v[42:45], v37 offset:1056
	ds_load_b128 v[46:49], v37 offset:48
	;; [unrolled: 1-line block ×3, first 2 shown]
	s_wait_dscnt 0x3
	v_fmac_f64_e32 v[26:27], v[38:39], v[32:33]
	v_fmac_f64_e32 v[22:23], v[40:41], v[32:33]
	s_wait_dscnt 0x2
	v_fmac_f64_e32 v[20:21], v[38:39], v[42:43]
	v_fmac_f64_e32 v[18:19], v[40:41], v[42:43]
	ds_load_2addr_b64 v[38:41], v36 offset0:160 offset1:176
	s_wait_dscnt 0x0
	v_fmac_f64_e32 v[26:27], v[38:39], v[34:35]
	v_fmac_f64_e32 v[22:23], v[40:41], v[34:35]
	;; [unrolled: 1-line block ×4, first 2 shown]
	ds_load_2addr_b64 v[32:35], v36 offset0:192 offset1:208
	s_wait_dscnt 0x0
	v_fmac_f64_e32 v[26:27], v[32:33], v[46:47]
	v_fmac_f64_e32 v[22:23], v[34:35], v[46:47]
	;; [unrolled: 1-line block ×4, first 2 shown]
	ds_load_2addr_b64 v[32:35], v36 offset0:224 offset1:240
	s_wait_dscnt 0x0
	s_barrier_signal -1
	s_barrier_wait -1
	v_fmac_f64_e32 v[26:27], v[32:33], v[48:49]
	v_fmac_f64_e32 v[22:23], v[34:35], v[48:49]
	v_fmac_f64_e32 v[20:21], v[32:33], v[52:53]
	v_fmac_f64_e32 v[18:19], v[34:35], v[52:53]
	s_cbranch_vccz .LBB471_15
.LBB471_9:                              ;   Parent Loop BB471_6 Depth=1
                                        ; =>  This Inner Loop Header: Depth=2
	v_mov_b64_e32 v[32:33], 0
	s_and_saveexec_b32 s22, s0
	s_cbranch_execz .LBB471_13
; %bb.10:                               ;   in Loop: Header=BB471_9 Depth=2
	v_mov_b64_e32 v[32:33], 0
	v_add_nc_u32_e32 v16, s16, v2
	s_mov_b32 s23, exec_lo
	s_delay_alu instid0(VALU_DEP_1)
	v_cmpx_gt_u64_e64 s[8:9], v[16:17]
	s_cbranch_execz .LBB471_12
; %bb.11:                               ;   in Loop: Header=BB471_9 Depth=2
	v_lshl_add_u64 v[32:33], v[16:17], 3, v[28:29]
	flat_load_b64 v[32:33], v[32:33]
.LBB471_12:                             ;   in Loop: Header=BB471_9 Depth=2
	s_wait_xcnt 0x0
	s_or_b32 exec_lo, exec_lo, s23
.LBB471_13:                             ;   in Loop: Header=BB471_9 Depth=2
	s_delay_alu instid0(SALU_CYCLE_1)
	s_or_b32 exec_lo, exec_lo, s22
	v_add_nc_u32_e32 v16, s16, v0
	v_mov_b64_e32 v[34:35], 0
	s_wait_loadcnt_dscnt 0x0
	ds_store_b64 v1, v[32:33]
	v_cmp_gt_u64_e32 vcc_lo, s[8:9], v[16:17]
	s_and_b32 s23, vcc_lo, s1
	s_delay_alu instid0(SALU_CYCLE_1)
	s_and_saveexec_b32 s22, s23
	s_cbranch_execz .LBB471_8
; %bb.14:                               ;   in Loop: Header=BB471_9 Depth=2
	v_lshl_add_u64 v[32:33], v[16:17], 3, v[30:31]
	flat_load_b64 v[34:35], v[32:33]
	s_branch .LBB471_8
.LBB471_15:                             ;   in Loop: Header=BB471_6 Depth=1
	s_wait_loadcnt 0x0
	v_add_nc_u64_e32 v[24:25], s[14:15], v[24:25]
	s_delay_alu instid0(VALU_DEP_1)
	v_lshl_add_u64 v[28:29], v[8:9], 3, v[24:25]
	s_wait_xcnt 0x0
	s_and_saveexec_b32 s16, s21
	s_cbranch_execz .LBB471_19
; %bb.16:                               ;   in Loop: Header=BB471_6 Depth=1
	v_mul_f64_e32 v[26:27], s[10:11], v[26:27]
	v_lshl_add_u64 v[30:31], v[12:13], 3, v[28:29]
	s_and_b32 vcc_lo, exec_lo, s20
	s_cbranch_vccz .LBB471_30
; %bb.17:                               ;   in Loop: Header=BB471_6 Depth=1
	flat_load_b64 v[32:33], v[30:31]
	s_wait_loadcnt_dscnt 0x0
	v_fma_f64 v[32:33], s[6:7], v[32:33], v[26:27]
	flat_store_b64 v[30:31], v[32:33]
	s_cbranch_execnz .LBB471_19
.LBB471_18:                             ;   in Loop: Header=BB471_6 Depth=1
	flat_store_b64 v[30:31], v[26:27]
.LBB471_19:                             ;   in Loop: Header=BB471_6 Depth=1
	s_wait_xcnt 0x0
	s_or_b32 exec_lo, exec_lo, s16
	s_and_saveexec_b32 s16, s28
	s_cbranch_execz .LBB471_23
; %bb.20:                               ;   in Loop: Header=BB471_6 Depth=1
	v_mul_f64_e32 v[22:23], s[10:11], v[22:23]
	v_lshl_add_u64 v[26:27], v[14:15], 3, v[28:29]
	s_and_not1_b32 vcc_lo, exec_lo, s20
	s_cbranch_vccnz .LBB471_31
; %bb.21:                               ;   in Loop: Header=BB471_6 Depth=1
	flat_load_b64 v[28:29], v[26:27]
	s_wait_loadcnt_dscnt 0x0
	v_fma_f64 v[28:29], s[6:7], v[28:29], v[22:23]
	flat_store_b64 v[26:27], v[28:29]
	s_cbranch_execnz .LBB471_23
.LBB471_22:                             ;   in Loop: Header=BB471_6 Depth=1
	flat_store_b64 v[26:27], v[22:23]
.LBB471_23:                             ;   in Loop: Header=BB471_6 Depth=1
	s_wait_xcnt 0x0
	s_or_b32 exec_lo, exec_lo, s16
	v_lshl_add_u64 v[22:23], v[10:11], 3, v[24:25]
	s_and_saveexec_b32 s16, s29
	s_cbranch_execz .LBB471_27
; %bb.24:                               ;   in Loop: Header=BB471_6 Depth=1
	v_mul_f64_e32 v[20:21], s[10:11], v[20:21]
	s_delay_alu instid0(VALU_DEP_2)
	v_lshl_add_u64 v[24:25], v[12:13], 3, v[22:23]
	s_and_not1_b32 vcc_lo, exec_lo, s20
	s_cbranch_vccnz .LBB471_32
; %bb.25:                               ;   in Loop: Header=BB471_6 Depth=1
	flat_load_b64 v[26:27], v[24:25]
	s_wait_loadcnt_dscnt 0x0
	v_fma_f64 v[26:27], s[6:7], v[26:27], v[20:21]
	flat_store_b64 v[24:25], v[26:27]
	s_cbranch_execnz .LBB471_27
.LBB471_26:                             ;   in Loop: Header=BB471_6 Depth=1
	flat_store_b64 v[24:25], v[20:21]
.LBB471_27:                             ;   in Loop: Header=BB471_6 Depth=1
	s_wait_xcnt 0x0
	s_or_b32 exec_lo, exec_lo, s16
	s_and_saveexec_b32 s16, s34
	s_cbranch_execz .LBB471_5
; %bb.28:                               ;   in Loop: Header=BB471_6 Depth=1
	s_delay_alu instid0(VALU_DEP_4)
	v_mul_f64_e32 v[18:19], s[10:11], v[18:19]
	v_lshl_add_u64 v[20:21], v[14:15], 3, v[22:23]
	s_and_not1_b32 vcc_lo, exec_lo, s20
	s_cbranch_vccnz .LBB471_33
; %bb.29:                               ;   in Loop: Header=BB471_6 Depth=1
	flat_load_b64 v[22:23], v[20:21]
	s_wait_loadcnt_dscnt 0x0
	v_fma_f64 v[22:23], s[6:7], v[22:23], v[18:19]
	flat_store_b64 v[20:21], v[22:23]
	s_cbranch_execnz .LBB471_5
	s_branch .LBB471_34
.LBB471_30:                             ;   in Loop: Header=BB471_6 Depth=1
	s_branch .LBB471_18
.LBB471_31:                             ;   in Loop: Header=BB471_6 Depth=1
	s_branch .LBB471_22
.LBB471_32:                             ;   in Loop: Header=BB471_6 Depth=1
	s_branch .LBB471_26
.LBB471_33:                             ;   in Loop: Header=BB471_6 Depth=1
.LBB471_34:                             ;   in Loop: Header=BB471_6 Depth=1
	flat_store_b64 v[20:21], v[18:19]
	s_branch .LBB471_5
.LBB471_35:
	s_endpgm
	.section	.rodata,"a",@progbits
	.p2align	6, 0x0
	.amdhsa_kernel _ZL29rocblas_internal_gemmt_kernelIlLi16ELi32ELi8ELc84ELc78ELc85ELb0ELb0EdPKdPKS1_PKPdEviT_T9_T10_S7_lS9_S7_lS8_T11_S7_li
		.amdhsa_group_segment_fixed_size 4096
		.amdhsa_private_segment_fixed_size 0
		.amdhsa_kernarg_size 108
		.amdhsa_user_sgpr_count 2
		.amdhsa_user_sgpr_dispatch_ptr 0
		.amdhsa_user_sgpr_queue_ptr 0
		.amdhsa_user_sgpr_kernarg_segment_ptr 1
		.amdhsa_user_sgpr_dispatch_id 0
		.amdhsa_user_sgpr_kernarg_preload_length 0
		.amdhsa_user_sgpr_kernarg_preload_offset 0
		.amdhsa_user_sgpr_private_segment_size 0
		.amdhsa_wavefront_size32 1
		.amdhsa_uses_dynamic_stack 0
		.amdhsa_enable_private_segment 0
		.amdhsa_system_sgpr_workgroup_id_x 1
		.amdhsa_system_sgpr_workgroup_id_y 1
		.amdhsa_system_sgpr_workgroup_id_z 1
		.amdhsa_system_sgpr_workgroup_info 0
		.amdhsa_system_vgpr_workitem_id 1
		.amdhsa_next_free_vgpr 54
		.amdhsa_next_free_sgpr 36
		.amdhsa_named_barrier_count 0
		.amdhsa_reserve_vcc 1
		.amdhsa_float_round_mode_32 0
		.amdhsa_float_round_mode_16_64 0
		.amdhsa_float_denorm_mode_32 3
		.amdhsa_float_denorm_mode_16_64 3
		.amdhsa_fp16_overflow 0
		.amdhsa_memory_ordered 1
		.amdhsa_forward_progress 1
		.amdhsa_inst_pref_size 13
		.amdhsa_round_robin_scheduling 0
		.amdhsa_exception_fp_ieee_invalid_op 0
		.amdhsa_exception_fp_denorm_src 0
		.amdhsa_exception_fp_ieee_div_zero 0
		.amdhsa_exception_fp_ieee_overflow 0
		.amdhsa_exception_fp_ieee_underflow 0
		.amdhsa_exception_fp_ieee_inexact 0
		.amdhsa_exception_int_div_zero 0
	.end_amdhsa_kernel
	.section	.text._ZL29rocblas_internal_gemmt_kernelIlLi16ELi32ELi8ELc84ELc78ELc85ELb0ELb0EdPKdPKS1_PKPdEviT_T9_T10_S7_lS9_S7_lS8_T11_S7_li,"axG",@progbits,_ZL29rocblas_internal_gemmt_kernelIlLi16ELi32ELi8ELc84ELc78ELc85ELb0ELb0EdPKdPKS1_PKPdEviT_T9_T10_S7_lS9_S7_lS8_T11_S7_li,comdat
.Lfunc_end471:
	.size	_ZL29rocblas_internal_gemmt_kernelIlLi16ELi32ELi8ELc84ELc78ELc85ELb0ELb0EdPKdPKS1_PKPdEviT_T9_T10_S7_lS9_S7_lS8_T11_S7_li, .Lfunc_end471-_ZL29rocblas_internal_gemmt_kernelIlLi16ELi32ELi8ELc84ELc78ELc85ELb0ELb0EdPKdPKS1_PKPdEviT_T9_T10_S7_lS9_S7_lS8_T11_S7_li
                                        ; -- End function
	.set _ZL29rocblas_internal_gemmt_kernelIlLi16ELi32ELi8ELc84ELc78ELc85ELb0ELb0EdPKdPKS1_PKPdEviT_T9_T10_S7_lS9_S7_lS8_T11_S7_li.num_vgpr, 54
	.set _ZL29rocblas_internal_gemmt_kernelIlLi16ELi32ELi8ELc84ELc78ELc85ELb0ELb0EdPKdPKS1_PKPdEviT_T9_T10_S7_lS9_S7_lS8_T11_S7_li.num_agpr, 0
	.set _ZL29rocblas_internal_gemmt_kernelIlLi16ELi32ELi8ELc84ELc78ELc85ELb0ELb0EdPKdPKS1_PKPdEviT_T9_T10_S7_lS9_S7_lS8_T11_S7_li.numbered_sgpr, 36
	.set _ZL29rocblas_internal_gemmt_kernelIlLi16ELi32ELi8ELc84ELc78ELc85ELb0ELb0EdPKdPKS1_PKPdEviT_T9_T10_S7_lS9_S7_lS8_T11_S7_li.num_named_barrier, 0
	.set _ZL29rocblas_internal_gemmt_kernelIlLi16ELi32ELi8ELc84ELc78ELc85ELb0ELb0EdPKdPKS1_PKPdEviT_T9_T10_S7_lS9_S7_lS8_T11_S7_li.private_seg_size, 0
	.set _ZL29rocblas_internal_gemmt_kernelIlLi16ELi32ELi8ELc84ELc78ELc85ELb0ELb0EdPKdPKS1_PKPdEviT_T9_T10_S7_lS9_S7_lS8_T11_S7_li.uses_vcc, 1
	.set _ZL29rocblas_internal_gemmt_kernelIlLi16ELi32ELi8ELc84ELc78ELc85ELb0ELb0EdPKdPKS1_PKPdEviT_T9_T10_S7_lS9_S7_lS8_T11_S7_li.uses_flat_scratch, 0
	.set _ZL29rocblas_internal_gemmt_kernelIlLi16ELi32ELi8ELc84ELc78ELc85ELb0ELb0EdPKdPKS1_PKPdEviT_T9_T10_S7_lS9_S7_lS8_T11_S7_li.has_dyn_sized_stack, 0
	.set _ZL29rocblas_internal_gemmt_kernelIlLi16ELi32ELi8ELc84ELc78ELc85ELb0ELb0EdPKdPKS1_PKPdEviT_T9_T10_S7_lS9_S7_lS8_T11_S7_li.has_recursion, 0
	.set _ZL29rocblas_internal_gemmt_kernelIlLi16ELi32ELi8ELc84ELc78ELc85ELb0ELb0EdPKdPKS1_PKPdEviT_T9_T10_S7_lS9_S7_lS8_T11_S7_li.has_indirect_call, 0
	.section	.AMDGPU.csdata,"",@progbits
; Kernel info:
; codeLenInByte = 1664
; TotalNumSgprs: 38
; NumVgprs: 54
; ScratchSize: 0
; MemoryBound: 0
; FloatMode: 240
; IeeeMode: 1
; LDSByteSize: 4096 bytes/workgroup (compile time only)
; SGPRBlocks: 0
; VGPRBlocks: 3
; NumSGPRsForWavesPerEU: 38
; NumVGPRsForWavesPerEU: 54
; NamedBarCnt: 0
; Occupancy: 16
; WaveLimiterHint : 1
; COMPUTE_PGM_RSRC2:SCRATCH_EN: 0
; COMPUTE_PGM_RSRC2:USER_SGPR: 2
; COMPUTE_PGM_RSRC2:TRAP_HANDLER: 0
; COMPUTE_PGM_RSRC2:TGID_X_EN: 1
; COMPUTE_PGM_RSRC2:TGID_Y_EN: 1
; COMPUTE_PGM_RSRC2:TGID_Z_EN: 1
; COMPUTE_PGM_RSRC2:TIDIG_COMP_CNT: 1
	.section	.text._ZL29rocblas_internal_gemmt_kernelIlLi16ELi32ELi8ELc84ELc84ELc85ELb0ELb0EdPKdPKS1_PKPdEviT_T9_T10_S7_lS9_S7_lS8_T11_S7_li,"axG",@progbits,_ZL29rocblas_internal_gemmt_kernelIlLi16ELi32ELi8ELc84ELc84ELc85ELb0ELb0EdPKdPKS1_PKPdEviT_T9_T10_S7_lS9_S7_lS8_T11_S7_li,comdat
	.globl	_ZL29rocblas_internal_gemmt_kernelIlLi16ELi32ELi8ELc84ELc84ELc85ELb0ELb0EdPKdPKS1_PKPdEviT_T9_T10_S7_lS9_S7_lS8_T11_S7_li ; -- Begin function _ZL29rocblas_internal_gemmt_kernelIlLi16ELi32ELi8ELc84ELc84ELc85ELb0ELb0EdPKdPKS1_PKPdEviT_T9_T10_S7_lS9_S7_lS8_T11_S7_li
	.p2align	8
	.type	_ZL29rocblas_internal_gemmt_kernelIlLi16ELi32ELi8ELc84ELc84ELc85ELb0ELb0EdPKdPKS1_PKPdEviT_T9_T10_S7_lS9_S7_lS8_T11_S7_li,@function
_ZL29rocblas_internal_gemmt_kernelIlLi16ELi32ELi8ELc84ELc84ELc85ELb0ELb0EdPKdPKS1_PKPdEviT_T9_T10_S7_lS9_S7_lS8_T11_S7_li: ; @_ZL29rocblas_internal_gemmt_kernelIlLi16ELi32ELi8ELc84ELc84ELc85ELb0ELb0EdPKdPKS1_PKPdEviT_T9_T10_S7_lS9_S7_lS8_T11_S7_li
; %bb.0:
	s_load_b256 s[24:31], s[0:1], 0x48
	s_wait_kmcnt 0x0
	s_load_b64 s[6:7], s[24:25], 0x0
	s_load_b512 s[8:23], s[0:1], 0x8
	s_wait_kmcnt 0x0
	v_cmp_neq_f64_e64 s2, s[6:7], 1.0
	s_load_b64 s[10:11], s[10:11], 0x0
	s_and_b32 vcc_lo, exec_lo, s2
	s_cbranch_vccnz .LBB472_2
; %bb.1:
	s_wait_kmcnt 0x0
	v_cmp_neq_f64_e64 s2, s[10:11], 0
	s_cmp_lg_u64 s[8:9], 0
	s_cselect_b32 s3, -1, 0
	s_delay_alu instid0(SALU_CYCLE_1)
	s_and_b32 s2, s3, s2
.LBB472_2:
	s_delay_alu instid0(SALU_CYCLE_1)
	s_and_not1_b32 vcc_lo, exec_lo, s2
	s_cbranch_vccnz .LBB472_35
; %bb.3:
	s_load_b32 s33, s[0:1], 0x68
	s_bfe_u32 s2, ttmp6, 0x40014
	s_lshr_b32 s3, ttmp7, 16
	s_add_co_i32 s2, s2, 1
	s_bfe_u32 s5, ttmp6, 0x40008
	s_mul_i32 s4, s3, s2
	s_getreg_b32 s2, hwreg(HW_REG_IB_STS2, 6, 4)
	s_add_co_i32 s5, s5, s4
	s_cmp_eq_u32 s2, 0
	s_mov_b32 s25, 0
	s_cselect_b32 s24, s3, s5
	s_wait_kmcnt 0x0
	s_cmp_ge_u32 s24, s33
	s_cbranch_scc1 .LBB472_35
; %bb.4:
	s_load_b32 s3, s[0:1], 0x0
	s_wait_xcnt 0x0
	s_bfe_u32 s1, ttmp6, 0x4000c
	s_bfe_u32 s4, ttmp6, 0x40010
	s_add_co_i32 s1, s1, 1
	s_and_b32 s5, ttmp7, 0xffff
	s_add_co_i32 s4, s4, 1
	v_and_b32_e32 v15, 0x3ff, v0
	v_bfe_u32 v20, v0, 10, 10
	s_and_b32 s0, ttmp6, 15
	s_mul_i32 s1, ttmp9, s1
	s_mul_i32 s4, s5, s4
	s_bfe_u32 s34, ttmp6, 0x40004
	s_add_co_i32 s0, s0, s1
	s_add_co_i32 s34, s34, s4
	s_cmp_eq_u32 s2, 0
	v_lshl_add_u32 v1, v20, 4, v15
	s_cselect_b32 s1, s5, s34
	s_cselect_b32 s0, ttmp9, s0
	s_lshl_b32 s1, s1, 5
	s_lshl_b32 s2, s0, 5
	v_dual_add_nc_u32 v16, s1, v20 :: v_dual_bitop2_b32 v3, 31, v1 bitop3:0x40
	v_lshrrev_b32_e32 v5, 3, v1
	v_cmp_neq_f64_e64 s37, s[10:11], 0
	v_cmp_neq_f64_e64 s34, s[6:7], 0
	s_delay_alu instid0(VALU_DEP_4) | instskip(NEXT) | instid1(VALU_DEP_4)
	v_dual_add_nc_u32 v18, 16, v16 :: v_dual_bitop2_b32 v12, s2, v3 bitop3:0x54
	v_dual_add_nc_u32 v4, s1, v5 :: v_dual_ashrrev_i32 v17, 31, v16
	s_delay_alu instid0(VALU_DEP_2) | instskip(NEXT) | instid1(VALU_DEP_3)
	v_dual_lshlrev_b32 v3, 3, v3 :: v_dual_ashrrev_i32 v13, 31, v12
	v_dual_ashrrev_i32 v19, 31, v18 :: v_dual_lshrrev_b32 v2, 5, v1
	v_and_b32_e32 v0, 7, v0
	s_delay_alu instid0(VALU_DEP_4) | instskip(NEXT) | instid1(VALU_DEP_4)
	v_mul_u64_e32 v[8:9], s[28:29], v[16:17]
	v_mul_u64_e32 v[6:7], s[14:15], v[12:13]
	s_delay_alu instid0(VALU_DEP_4)
	v_mul_u64_e32 v[10:11], s[28:29], v[18:19]
	s_wait_kmcnt 0x0
	v_cmp_gt_i32_e64 s0, s3, v12
	v_dual_lshlrev_b32 v1, 3, v0 :: v_dual_add_nc_u32 v12, s2, v15
	v_cmp_gt_i32_e32 vcc_lo, s3, v16
	v_cmp_gt_i64_e64 s14, s[8:9], 0
	v_cmp_gt_i32_e64 s1, s3, v4
	s_delay_alu instid0(VALU_DEP_4)
	v_lshl_or_b32 v5, v5, 6, v1
	v_cmp_le_i32_e64 s2, v12, v16
	v_dual_add_nc_u32 v14, 16, v12 :: v_dual_lshlrev_b32 v36, 3, v15
	v_cmp_gt_i32_e64 s3, s3, v18
	v_cmp_le_i32_e64 s4, v12, v18
	s_and_b32 s28, vcc_lo, s2
	v_cmp_le_i32_e64 s2, v14, v16
	v_cmp_le_i32_e64 s5, v14, v18
	v_lshl_or_b32 v1, v2, 8, v3
	v_add_nc_u32_e32 v3, 0x800, v5
	v_dual_ashrrev_i32 v5, 31, v4 :: v_dual_ashrrev_i32 v15, 31, v14
	v_lshl_add_u32 v37, v20, 6, 0x800
	v_dual_ashrrev_i32 v13, 31, v12 :: v_dual_mov_b32 v17, 0
	s_and_b32 s29, vcc_lo, s2
	s_and_b32 s35, s3, s4
	s_and_b32 s36, s3, s5
	;; [unrolled: 1-line block ×3, first 2 shown]
	s_lshl_b64 s[2:3], s[22:23], 3
	s_lshl_b64 s[4:5], s[16:17], 3
	;; [unrolled: 1-line block ×3, first 2 shown]
	s_branch .LBB472_6
.LBB472_5:                              ;   in Loop: Header=BB472_6 Depth=1
	s_wait_xcnt 0x0
	s_or_b32 exec_lo, exec_lo, s16
	s_add_co_i32 s24, s24, 0x10000
	s_delay_alu instid0(SALU_CYCLE_1)
	s_cmp_lt_u32 s24, s33
	s_cbranch_scc0 .LBB472_35
.LBB472_6:                              ; =>This Loop Header: Depth=1
                                        ;     Child Loop BB472_9 Depth 2
	v_mov_b32_e32 v16, s24
	v_mov_b64_e32 v[26:27], 0
	v_mov_b64_e32 v[22:23], 0
	;; [unrolled: 1-line block ×4, first 2 shown]
	global_load_b64 v[24:25], v16, s[26:27] scale_offset
	s_and_not1_b32 vcc_lo, exec_lo, s37
	s_cbranch_vccnz .LBB472_15
; %bb.7:                                ;   in Loop: Header=BB472_6 Depth=1
	s_lshl_b64 s[16:17], s[24:25], 3
	v_mov_b64_e32 v[22:23], 0
	s_add_nc_u64 s[22:23], s[12:13], s[16:17]
	s_add_nc_u64 s[16:17], s[18:19], s[16:17]
	s_clause 0x1
	global_load_b64 v[18:19], v17, s[22:23]
	global_load_b64 v[20:21], v17, s[16:17]
	v_mov_b64_e32 v[26:27], 0
	s_wait_xcnt 0x0
	s_mov_b64 s[16:17], 0
	s_wait_loadcnt 0x1
	v_add_nc_u64_e32 v[28:29], s[4:5], v[18:19]
	s_wait_loadcnt 0x0
	v_add_nc_u64_e32 v[30:31], s[2:3], v[20:21]
	v_mov_b64_e32 v[18:19], 0
	v_mov_b64_e32 v[20:21], 0
	s_delay_alu instid0(VALU_DEP_4) | instskip(NEXT) | instid1(VALU_DEP_4)
	v_lshl_add_u64 v[28:29], v[6:7], 3, v[28:29]
	v_lshl_add_u64 v[30:31], v[4:5], 3, v[30:31]
	s_branch .LBB472_9
.LBB472_8:                              ;   in Loop: Header=BB472_9 Depth=2
	s_wait_xcnt 0x0
	s_or_b32 exec_lo, exec_lo, s22
	s_wait_loadcnt_dscnt 0x0
	ds_store_b64 v3, v[34:35]
	s_wait_dscnt 0x0
	s_barrier_signal -1
	s_barrier_wait -1
	ds_load_b128 v[32:35], v37
	ds_load_2addr_b64 v[38:41], v36 offset1:16
	ds_load_b128 v[42:45], v37 offset:1024
	ds_load_b128 v[46:49], v37 offset:16
	;; [unrolled: 1-line block ×3, first 2 shown]
	s_add_nc_u64 s[16:17], s[16:17], 8
	s_delay_alu instid0(SALU_CYCLE_1)
	v_cmp_gt_i64_e64 s22, s[8:9], s[16:17]
	s_and_b32 vcc_lo, exec_lo, s22
	s_wait_dscnt 0x3
	v_fmac_f64_e32 v[26:27], v[38:39], v[32:33]
	v_fmac_f64_e32 v[22:23], v[40:41], v[32:33]
	s_wait_dscnt 0x2
	v_fmac_f64_e32 v[20:21], v[38:39], v[42:43]
	v_fmac_f64_e32 v[18:19], v[40:41], v[42:43]
	ds_load_2addr_b64 v[38:41], v36 offset0:32 offset1:48
	s_wait_dscnt 0x0
	v_fmac_f64_e32 v[26:27], v[38:39], v[34:35]
	v_fmac_f64_e32 v[22:23], v[40:41], v[34:35]
	v_fmac_f64_e32 v[20:21], v[38:39], v[44:45]
	v_fmac_f64_e32 v[18:19], v[40:41], v[44:45]
	ds_load_2addr_b64 v[32:35], v36 offset0:64 offset1:80
	s_wait_dscnt 0x0
	v_fmac_f64_e32 v[26:27], v[32:33], v[46:47]
	v_fmac_f64_e32 v[22:23], v[34:35], v[46:47]
	v_fmac_f64_e32 v[20:21], v[32:33], v[50:51]
	v_fmac_f64_e32 v[18:19], v[34:35], v[50:51]
	ds_load_2addr_b64 v[32:35], v36 offset0:96 offset1:112
	s_wait_dscnt 0x0
	v_fmac_f64_e32 v[26:27], v[32:33], v[48:49]
	v_fmac_f64_e32 v[22:23], v[34:35], v[48:49]
	v_fmac_f64_e32 v[20:21], v[32:33], v[52:53]
	v_fmac_f64_e32 v[18:19], v[34:35], v[52:53]
	ds_load_b128 v[32:35], v37 offset:32
	ds_load_2addr_b64 v[38:41], v36 offset0:128 offset1:144
	ds_load_b128 v[42:45], v37 offset:1056
	ds_load_b128 v[46:49], v37 offset:48
	;; [unrolled: 1-line block ×3, first 2 shown]
	s_wait_dscnt 0x3
	v_fmac_f64_e32 v[26:27], v[38:39], v[32:33]
	v_fmac_f64_e32 v[22:23], v[40:41], v[32:33]
	s_wait_dscnt 0x2
	v_fmac_f64_e32 v[20:21], v[38:39], v[42:43]
	v_fmac_f64_e32 v[18:19], v[40:41], v[42:43]
	ds_load_2addr_b64 v[38:41], v36 offset0:160 offset1:176
	s_wait_dscnt 0x0
	v_fmac_f64_e32 v[26:27], v[38:39], v[34:35]
	v_fmac_f64_e32 v[22:23], v[40:41], v[34:35]
	;; [unrolled: 1-line block ×4, first 2 shown]
	ds_load_2addr_b64 v[32:35], v36 offset0:192 offset1:208
	s_wait_dscnt 0x0
	v_fmac_f64_e32 v[26:27], v[32:33], v[46:47]
	v_fmac_f64_e32 v[22:23], v[34:35], v[46:47]
	;; [unrolled: 1-line block ×4, first 2 shown]
	ds_load_2addr_b64 v[32:35], v36 offset0:224 offset1:240
	s_wait_dscnt 0x0
	s_barrier_signal -1
	s_barrier_wait -1
	v_fmac_f64_e32 v[26:27], v[32:33], v[48:49]
	v_fmac_f64_e32 v[22:23], v[34:35], v[48:49]
	;; [unrolled: 1-line block ×4, first 2 shown]
	s_cbranch_vccz .LBB472_15
.LBB472_9:                              ;   Parent Loop BB472_6 Depth=1
                                        ; =>  This Inner Loop Header: Depth=2
	v_mov_b64_e32 v[32:33], 0
	s_and_saveexec_b32 s22, s0
	s_cbranch_execz .LBB472_13
; %bb.10:                               ;   in Loop: Header=BB472_9 Depth=2
	v_mov_b64_e32 v[32:33], 0
	v_add_nc_u32_e32 v16, s16, v2
	s_mov_b32 s23, exec_lo
	s_delay_alu instid0(VALU_DEP_1)
	v_cmpx_gt_u64_e64 s[8:9], v[16:17]
	s_cbranch_execz .LBB472_12
; %bb.11:                               ;   in Loop: Header=BB472_9 Depth=2
	v_lshl_add_u64 v[32:33], v[16:17], 3, v[28:29]
	flat_load_b64 v[32:33], v[32:33]
.LBB472_12:                             ;   in Loop: Header=BB472_9 Depth=2
	s_wait_xcnt 0x0
	s_or_b32 exec_lo, exec_lo, s23
.LBB472_13:                             ;   in Loop: Header=BB472_9 Depth=2
	s_delay_alu instid0(SALU_CYCLE_1)
	s_or_b32 exec_lo, exec_lo, s22
	v_add_nc_u32_e32 v16, s16, v0
	v_mov_b64_e32 v[34:35], 0
	s_wait_loadcnt_dscnt 0x0
	ds_store_b64 v1, v[32:33]
	v_cmp_gt_u64_e32 vcc_lo, s[8:9], v[16:17]
	s_and_b32 s23, vcc_lo, s1
	s_delay_alu instid0(SALU_CYCLE_1)
	s_and_saveexec_b32 s22, s23
	s_cbranch_execz .LBB472_8
; %bb.14:                               ;   in Loop: Header=BB472_9 Depth=2
	v_mul_u64_e32 v[32:33], s[20:21], v[16:17]
	s_delay_alu instid0(VALU_DEP_1)
	v_lshl_add_u64 v[32:33], v[32:33], 3, v[30:31]
	flat_load_b64 v[34:35], v[32:33]
	s_branch .LBB472_8
.LBB472_15:                             ;   in Loop: Header=BB472_6 Depth=1
	s_wait_loadcnt 0x0
	v_add_nc_u64_e32 v[24:25], s[14:15], v[24:25]
	s_delay_alu instid0(VALU_DEP_1)
	v_lshl_add_u64 v[28:29], v[8:9], 3, v[24:25]
	s_wait_xcnt 0x0
	s_and_saveexec_b32 s16, s28
	s_cbranch_execz .LBB472_19
; %bb.16:                               ;   in Loop: Header=BB472_6 Depth=1
	v_mul_f64_e32 v[26:27], s[10:11], v[26:27]
	v_lshl_add_u64 v[30:31], v[12:13], 3, v[28:29]
	s_and_b32 vcc_lo, exec_lo, s34
	s_cbranch_vccz .LBB472_30
; %bb.17:                               ;   in Loop: Header=BB472_6 Depth=1
	flat_load_b64 v[32:33], v[30:31]
	s_wait_loadcnt_dscnt 0x0
	v_fma_f64 v[32:33], s[6:7], v[32:33], v[26:27]
	flat_store_b64 v[30:31], v[32:33]
	s_cbranch_execnz .LBB472_19
.LBB472_18:                             ;   in Loop: Header=BB472_6 Depth=1
	flat_store_b64 v[30:31], v[26:27]
.LBB472_19:                             ;   in Loop: Header=BB472_6 Depth=1
	s_wait_xcnt 0x0
	s_or_b32 exec_lo, exec_lo, s16
	s_and_saveexec_b32 s16, s29
	s_cbranch_execz .LBB472_23
; %bb.20:                               ;   in Loop: Header=BB472_6 Depth=1
	v_mul_f64_e32 v[22:23], s[10:11], v[22:23]
	v_lshl_add_u64 v[26:27], v[14:15], 3, v[28:29]
	s_and_not1_b32 vcc_lo, exec_lo, s34
	s_cbranch_vccnz .LBB472_31
; %bb.21:                               ;   in Loop: Header=BB472_6 Depth=1
	flat_load_b64 v[28:29], v[26:27]
	s_wait_loadcnt_dscnt 0x0
	v_fma_f64 v[28:29], s[6:7], v[28:29], v[22:23]
	flat_store_b64 v[26:27], v[28:29]
	s_cbranch_execnz .LBB472_23
.LBB472_22:                             ;   in Loop: Header=BB472_6 Depth=1
	flat_store_b64 v[26:27], v[22:23]
.LBB472_23:                             ;   in Loop: Header=BB472_6 Depth=1
	s_wait_xcnt 0x0
	s_or_b32 exec_lo, exec_lo, s16
	v_lshl_add_u64 v[22:23], v[10:11], 3, v[24:25]
	s_and_saveexec_b32 s16, s35
	s_cbranch_execz .LBB472_27
; %bb.24:                               ;   in Loop: Header=BB472_6 Depth=1
	v_mul_f64_e32 v[20:21], s[10:11], v[20:21]
	s_delay_alu instid0(VALU_DEP_2)
	v_lshl_add_u64 v[24:25], v[12:13], 3, v[22:23]
	s_and_not1_b32 vcc_lo, exec_lo, s34
	s_cbranch_vccnz .LBB472_32
; %bb.25:                               ;   in Loop: Header=BB472_6 Depth=1
	flat_load_b64 v[26:27], v[24:25]
	s_wait_loadcnt_dscnt 0x0
	v_fma_f64 v[26:27], s[6:7], v[26:27], v[20:21]
	flat_store_b64 v[24:25], v[26:27]
	s_cbranch_execnz .LBB472_27
.LBB472_26:                             ;   in Loop: Header=BB472_6 Depth=1
	flat_store_b64 v[24:25], v[20:21]
.LBB472_27:                             ;   in Loop: Header=BB472_6 Depth=1
	s_wait_xcnt 0x0
	s_or_b32 exec_lo, exec_lo, s16
	s_and_saveexec_b32 s16, s36
	s_cbranch_execz .LBB472_5
; %bb.28:                               ;   in Loop: Header=BB472_6 Depth=1
	s_delay_alu instid0(VALU_DEP_4)
	v_mul_f64_e32 v[18:19], s[10:11], v[18:19]
	v_lshl_add_u64 v[20:21], v[14:15], 3, v[22:23]
	s_and_not1_b32 vcc_lo, exec_lo, s34
	s_cbranch_vccnz .LBB472_33
; %bb.29:                               ;   in Loop: Header=BB472_6 Depth=1
	flat_load_b64 v[22:23], v[20:21]
	s_wait_loadcnt_dscnt 0x0
	v_fma_f64 v[22:23], s[6:7], v[22:23], v[18:19]
	flat_store_b64 v[20:21], v[22:23]
	s_cbranch_execnz .LBB472_5
	s_branch .LBB472_34
.LBB472_30:                             ;   in Loop: Header=BB472_6 Depth=1
	s_branch .LBB472_18
.LBB472_31:                             ;   in Loop: Header=BB472_6 Depth=1
	s_branch .LBB472_22
.LBB472_32:                             ;   in Loop: Header=BB472_6 Depth=1
	s_branch .LBB472_26
.LBB472_33:                             ;   in Loop: Header=BB472_6 Depth=1
.LBB472_34:                             ;   in Loop: Header=BB472_6 Depth=1
	flat_store_b64 v[20:21], v[18:19]
	s_branch .LBB472_5
.LBB472_35:
	s_endpgm
	.section	.rodata,"a",@progbits
	.p2align	6, 0x0
	.amdhsa_kernel _ZL29rocblas_internal_gemmt_kernelIlLi16ELi32ELi8ELc84ELc84ELc85ELb0ELb0EdPKdPKS1_PKPdEviT_T9_T10_S7_lS9_S7_lS8_T11_S7_li
		.amdhsa_group_segment_fixed_size 4096
		.amdhsa_private_segment_fixed_size 0
		.amdhsa_kernarg_size 108
		.amdhsa_user_sgpr_count 2
		.amdhsa_user_sgpr_dispatch_ptr 0
		.amdhsa_user_sgpr_queue_ptr 0
		.amdhsa_user_sgpr_kernarg_segment_ptr 1
		.amdhsa_user_sgpr_dispatch_id 0
		.amdhsa_user_sgpr_kernarg_preload_length 0
		.amdhsa_user_sgpr_kernarg_preload_offset 0
		.amdhsa_user_sgpr_private_segment_size 0
		.amdhsa_wavefront_size32 1
		.amdhsa_uses_dynamic_stack 0
		.amdhsa_enable_private_segment 0
		.amdhsa_system_sgpr_workgroup_id_x 1
		.amdhsa_system_sgpr_workgroup_id_y 1
		.amdhsa_system_sgpr_workgroup_id_z 1
		.amdhsa_system_sgpr_workgroup_info 0
		.amdhsa_system_vgpr_workitem_id 1
		.amdhsa_next_free_vgpr 54
		.amdhsa_next_free_sgpr 38
		.amdhsa_named_barrier_count 0
		.amdhsa_reserve_vcc 1
		.amdhsa_float_round_mode_32 0
		.amdhsa_float_round_mode_16_64 0
		.amdhsa_float_denorm_mode_32 3
		.amdhsa_float_denorm_mode_16_64 3
		.amdhsa_fp16_overflow 0
		.amdhsa_memory_ordered 1
		.amdhsa_forward_progress 1
		.amdhsa_inst_pref_size 14
		.amdhsa_round_robin_scheduling 0
		.amdhsa_exception_fp_ieee_invalid_op 0
		.amdhsa_exception_fp_denorm_src 0
		.amdhsa_exception_fp_ieee_div_zero 0
		.amdhsa_exception_fp_ieee_overflow 0
		.amdhsa_exception_fp_ieee_underflow 0
		.amdhsa_exception_fp_ieee_inexact 0
		.amdhsa_exception_int_div_zero 0
	.end_amdhsa_kernel
	.section	.text._ZL29rocblas_internal_gemmt_kernelIlLi16ELi32ELi8ELc84ELc84ELc85ELb0ELb0EdPKdPKS1_PKPdEviT_T9_T10_S7_lS9_S7_lS8_T11_S7_li,"axG",@progbits,_ZL29rocblas_internal_gemmt_kernelIlLi16ELi32ELi8ELc84ELc84ELc85ELb0ELb0EdPKdPKS1_PKPdEviT_T9_T10_S7_lS9_S7_lS8_T11_S7_li,comdat
.Lfunc_end472:
	.size	_ZL29rocblas_internal_gemmt_kernelIlLi16ELi32ELi8ELc84ELc84ELc85ELb0ELb0EdPKdPKS1_PKPdEviT_T9_T10_S7_lS9_S7_lS8_T11_S7_li, .Lfunc_end472-_ZL29rocblas_internal_gemmt_kernelIlLi16ELi32ELi8ELc84ELc84ELc85ELb0ELb0EdPKdPKS1_PKPdEviT_T9_T10_S7_lS9_S7_lS8_T11_S7_li
                                        ; -- End function
	.set _ZL29rocblas_internal_gemmt_kernelIlLi16ELi32ELi8ELc84ELc84ELc85ELb0ELb0EdPKdPKS1_PKPdEviT_T9_T10_S7_lS9_S7_lS8_T11_S7_li.num_vgpr, 54
	.set _ZL29rocblas_internal_gemmt_kernelIlLi16ELi32ELi8ELc84ELc84ELc85ELb0ELb0EdPKdPKS1_PKPdEviT_T9_T10_S7_lS9_S7_lS8_T11_S7_li.num_agpr, 0
	.set _ZL29rocblas_internal_gemmt_kernelIlLi16ELi32ELi8ELc84ELc84ELc85ELb0ELb0EdPKdPKS1_PKPdEviT_T9_T10_S7_lS9_S7_lS8_T11_S7_li.numbered_sgpr, 38
	.set _ZL29rocblas_internal_gemmt_kernelIlLi16ELi32ELi8ELc84ELc84ELc85ELb0ELb0EdPKdPKS1_PKPdEviT_T9_T10_S7_lS9_S7_lS8_T11_S7_li.num_named_barrier, 0
	.set _ZL29rocblas_internal_gemmt_kernelIlLi16ELi32ELi8ELc84ELc84ELc85ELb0ELb0EdPKdPKS1_PKPdEviT_T9_T10_S7_lS9_S7_lS8_T11_S7_li.private_seg_size, 0
	.set _ZL29rocblas_internal_gemmt_kernelIlLi16ELi32ELi8ELc84ELc84ELc85ELb0ELb0EdPKdPKS1_PKPdEviT_T9_T10_S7_lS9_S7_lS8_T11_S7_li.uses_vcc, 1
	.set _ZL29rocblas_internal_gemmt_kernelIlLi16ELi32ELi8ELc84ELc84ELc85ELb0ELb0EdPKdPKS1_PKPdEviT_T9_T10_S7_lS9_S7_lS8_T11_S7_li.uses_flat_scratch, 0
	.set _ZL29rocblas_internal_gemmt_kernelIlLi16ELi32ELi8ELc84ELc84ELc85ELb0ELb0EdPKdPKS1_PKPdEviT_T9_T10_S7_lS9_S7_lS8_T11_S7_li.has_dyn_sized_stack, 0
	.set _ZL29rocblas_internal_gemmt_kernelIlLi16ELi32ELi8ELc84ELc84ELc85ELb0ELb0EdPKdPKS1_PKPdEviT_T9_T10_S7_lS9_S7_lS8_T11_S7_li.has_recursion, 0
	.set _ZL29rocblas_internal_gemmt_kernelIlLi16ELi32ELi8ELc84ELc84ELc85ELb0ELb0EdPKdPKS1_PKPdEviT_T9_T10_S7_lS9_S7_lS8_T11_S7_li.has_indirect_call, 0
	.section	.AMDGPU.csdata,"",@progbits
; Kernel info:
; codeLenInByte = 1676
; TotalNumSgprs: 40
; NumVgprs: 54
; ScratchSize: 0
; MemoryBound: 0
; FloatMode: 240
; IeeeMode: 1
; LDSByteSize: 4096 bytes/workgroup (compile time only)
; SGPRBlocks: 0
; VGPRBlocks: 3
; NumSGPRsForWavesPerEU: 40
; NumVGPRsForWavesPerEU: 54
; NamedBarCnt: 0
; Occupancy: 16
; WaveLimiterHint : 1
; COMPUTE_PGM_RSRC2:SCRATCH_EN: 0
; COMPUTE_PGM_RSRC2:USER_SGPR: 2
; COMPUTE_PGM_RSRC2:TRAP_HANDLER: 0
; COMPUTE_PGM_RSRC2:TGID_X_EN: 1
; COMPUTE_PGM_RSRC2:TGID_Y_EN: 1
; COMPUTE_PGM_RSRC2:TGID_Z_EN: 1
; COMPUTE_PGM_RSRC2:TIDIG_COMP_CNT: 1
	.section	.text._ZL29rocblas_internal_gemmt_kernelIlLi16ELi32ELi8ELc84ELc67ELc85ELb0ELb0EdPKdPKS1_PKPdEviT_T9_T10_S7_lS9_S7_lS8_T11_S7_li,"axG",@progbits,_ZL29rocblas_internal_gemmt_kernelIlLi16ELi32ELi8ELc84ELc67ELc85ELb0ELb0EdPKdPKS1_PKPdEviT_T9_T10_S7_lS9_S7_lS8_T11_S7_li,comdat
	.globl	_ZL29rocblas_internal_gemmt_kernelIlLi16ELi32ELi8ELc84ELc67ELc85ELb0ELb0EdPKdPKS1_PKPdEviT_T9_T10_S7_lS9_S7_lS8_T11_S7_li ; -- Begin function _ZL29rocblas_internal_gemmt_kernelIlLi16ELi32ELi8ELc84ELc67ELc85ELb0ELb0EdPKdPKS1_PKPdEviT_T9_T10_S7_lS9_S7_lS8_T11_S7_li
	.p2align	8
	.type	_ZL29rocblas_internal_gemmt_kernelIlLi16ELi32ELi8ELc84ELc67ELc85ELb0ELb0EdPKdPKS1_PKPdEviT_T9_T10_S7_lS9_S7_lS8_T11_S7_li,@function
_ZL29rocblas_internal_gemmt_kernelIlLi16ELi32ELi8ELc84ELc67ELc85ELb0ELb0EdPKdPKS1_PKPdEviT_T9_T10_S7_lS9_S7_lS8_T11_S7_li: ; @_ZL29rocblas_internal_gemmt_kernelIlLi16ELi32ELi8ELc84ELc67ELc85ELb0ELb0EdPKdPKS1_PKPdEviT_T9_T10_S7_lS9_S7_lS8_T11_S7_li
; %bb.0:
	s_load_b256 s[24:31], s[0:1], 0x48
	s_wait_kmcnt 0x0
	s_load_b64 s[6:7], s[24:25], 0x0
	s_load_b512 s[8:23], s[0:1], 0x8
	s_wait_kmcnt 0x0
	v_cmp_neq_f64_e64 s2, s[6:7], 1.0
	s_load_b64 s[10:11], s[10:11], 0x0
	s_and_b32 vcc_lo, exec_lo, s2
	s_cbranch_vccnz .LBB473_2
; %bb.1:
	s_wait_kmcnt 0x0
	v_cmp_neq_f64_e64 s2, s[10:11], 0
	s_cmp_lg_u64 s[8:9], 0
	s_cselect_b32 s3, -1, 0
	s_delay_alu instid0(SALU_CYCLE_1)
	s_and_b32 s2, s3, s2
.LBB473_2:
	s_delay_alu instid0(SALU_CYCLE_1)
	s_and_not1_b32 vcc_lo, exec_lo, s2
	s_cbranch_vccnz .LBB473_35
; %bb.3:
	s_load_b32 s33, s[0:1], 0x68
	s_bfe_u32 s2, ttmp6, 0x40014
	s_lshr_b32 s3, ttmp7, 16
	s_add_co_i32 s2, s2, 1
	s_bfe_u32 s5, ttmp6, 0x40008
	s_mul_i32 s4, s3, s2
	s_getreg_b32 s2, hwreg(HW_REG_IB_STS2, 6, 4)
	s_add_co_i32 s5, s5, s4
	s_cmp_eq_u32 s2, 0
	s_mov_b32 s25, 0
	s_cselect_b32 s24, s3, s5
	s_wait_kmcnt 0x0
	s_cmp_ge_u32 s24, s33
	s_cbranch_scc1 .LBB473_35
; %bb.4:
	s_load_b32 s3, s[0:1], 0x0
	s_wait_xcnt 0x0
	s_bfe_u32 s1, ttmp6, 0x4000c
	s_bfe_u32 s4, ttmp6, 0x40010
	s_add_co_i32 s1, s1, 1
	s_and_b32 s5, ttmp7, 0xffff
	s_add_co_i32 s4, s4, 1
	v_and_b32_e32 v15, 0x3ff, v0
	v_bfe_u32 v20, v0, 10, 10
	s_and_b32 s0, ttmp6, 15
	s_mul_i32 s1, ttmp9, s1
	s_mul_i32 s4, s5, s4
	s_bfe_u32 s34, ttmp6, 0x40004
	s_add_co_i32 s0, s0, s1
	s_add_co_i32 s34, s34, s4
	s_cmp_eq_u32 s2, 0
	v_lshl_add_u32 v1, v20, 4, v15
	s_cselect_b32 s1, s5, s34
	s_cselect_b32 s0, ttmp9, s0
	s_lshl_b32 s1, s1, 5
	s_lshl_b32 s2, s0, 5
	v_dual_add_nc_u32 v16, s1, v20 :: v_dual_bitop2_b32 v3, 31, v1 bitop3:0x40
	v_lshrrev_b32_e32 v5, 3, v1
	v_cmp_neq_f64_e64 s37, s[10:11], 0
	v_cmp_neq_f64_e64 s34, s[6:7], 0
	s_delay_alu instid0(VALU_DEP_4) | instskip(NEXT) | instid1(VALU_DEP_4)
	v_dual_add_nc_u32 v18, 16, v16 :: v_dual_bitop2_b32 v12, s2, v3 bitop3:0x54
	v_dual_add_nc_u32 v4, s1, v5 :: v_dual_ashrrev_i32 v17, 31, v16
	s_delay_alu instid0(VALU_DEP_2) | instskip(NEXT) | instid1(VALU_DEP_3)
	v_dual_lshlrev_b32 v3, 3, v3 :: v_dual_ashrrev_i32 v13, 31, v12
	v_dual_ashrrev_i32 v19, 31, v18 :: v_dual_lshrrev_b32 v2, 5, v1
	v_and_b32_e32 v0, 7, v0
	s_delay_alu instid0(VALU_DEP_4) | instskip(NEXT) | instid1(VALU_DEP_4)
	v_mul_u64_e32 v[8:9], s[28:29], v[16:17]
	v_mul_u64_e32 v[6:7], s[14:15], v[12:13]
	s_delay_alu instid0(VALU_DEP_4)
	v_mul_u64_e32 v[10:11], s[28:29], v[18:19]
	s_wait_kmcnt 0x0
	v_cmp_gt_i32_e64 s0, s3, v12
	v_dual_lshlrev_b32 v1, 3, v0 :: v_dual_add_nc_u32 v12, s2, v15
	v_cmp_gt_i32_e32 vcc_lo, s3, v16
	v_cmp_gt_i64_e64 s14, s[8:9], 0
	v_cmp_gt_i32_e64 s1, s3, v4
	s_delay_alu instid0(VALU_DEP_4)
	v_lshl_or_b32 v5, v5, 6, v1
	v_cmp_le_i32_e64 s2, v12, v16
	v_dual_add_nc_u32 v14, 16, v12 :: v_dual_lshlrev_b32 v36, 3, v15
	v_cmp_gt_i32_e64 s3, s3, v18
	v_cmp_le_i32_e64 s4, v12, v18
	s_and_b32 s28, vcc_lo, s2
	v_cmp_le_i32_e64 s2, v14, v16
	v_cmp_le_i32_e64 s5, v14, v18
	v_lshl_or_b32 v1, v2, 8, v3
	v_add_nc_u32_e32 v3, 0x800, v5
	v_dual_ashrrev_i32 v5, 31, v4 :: v_dual_ashrrev_i32 v15, 31, v14
	v_lshl_add_u32 v37, v20, 6, 0x800
	v_dual_ashrrev_i32 v13, 31, v12 :: v_dual_mov_b32 v17, 0
	s_and_b32 s29, vcc_lo, s2
	s_and_b32 s35, s3, s4
	s_and_b32 s36, s3, s5
	;; [unrolled: 1-line block ×3, first 2 shown]
	s_lshl_b64 s[2:3], s[22:23], 3
	s_lshl_b64 s[4:5], s[16:17], 3
	;; [unrolled: 1-line block ×3, first 2 shown]
	s_branch .LBB473_6
.LBB473_5:                              ;   in Loop: Header=BB473_6 Depth=1
	s_wait_xcnt 0x0
	s_or_b32 exec_lo, exec_lo, s16
	s_add_co_i32 s24, s24, 0x10000
	s_delay_alu instid0(SALU_CYCLE_1)
	s_cmp_lt_u32 s24, s33
	s_cbranch_scc0 .LBB473_35
.LBB473_6:                              ; =>This Loop Header: Depth=1
                                        ;     Child Loop BB473_9 Depth 2
	v_mov_b32_e32 v16, s24
	v_mov_b64_e32 v[26:27], 0
	v_mov_b64_e32 v[22:23], 0
	v_mov_b64_e32 v[20:21], 0
	v_mov_b64_e32 v[18:19], 0
	global_load_b64 v[24:25], v16, s[26:27] scale_offset
	s_and_not1_b32 vcc_lo, exec_lo, s37
	s_cbranch_vccnz .LBB473_15
; %bb.7:                                ;   in Loop: Header=BB473_6 Depth=1
	s_lshl_b64 s[16:17], s[24:25], 3
	v_mov_b64_e32 v[22:23], 0
	s_add_nc_u64 s[22:23], s[12:13], s[16:17]
	s_add_nc_u64 s[16:17], s[18:19], s[16:17]
	s_clause 0x1
	global_load_b64 v[18:19], v17, s[22:23]
	global_load_b64 v[20:21], v17, s[16:17]
	v_mov_b64_e32 v[26:27], 0
	s_wait_xcnt 0x0
	s_mov_b64 s[16:17], 0
	s_wait_loadcnt 0x1
	v_add_nc_u64_e32 v[28:29], s[4:5], v[18:19]
	s_wait_loadcnt 0x0
	v_add_nc_u64_e32 v[30:31], s[2:3], v[20:21]
	v_mov_b64_e32 v[18:19], 0
	v_mov_b64_e32 v[20:21], 0
	s_delay_alu instid0(VALU_DEP_4) | instskip(NEXT) | instid1(VALU_DEP_4)
	v_lshl_add_u64 v[28:29], v[6:7], 3, v[28:29]
	v_lshl_add_u64 v[30:31], v[4:5], 3, v[30:31]
	s_branch .LBB473_9
.LBB473_8:                              ;   in Loop: Header=BB473_9 Depth=2
	s_wait_xcnt 0x0
	s_or_b32 exec_lo, exec_lo, s22
	s_wait_loadcnt_dscnt 0x0
	ds_store_b64 v3, v[34:35]
	s_wait_dscnt 0x0
	s_barrier_signal -1
	s_barrier_wait -1
	ds_load_b128 v[32:35], v37
	ds_load_2addr_b64 v[38:41], v36 offset1:16
	ds_load_b128 v[42:45], v37 offset:1024
	ds_load_b128 v[46:49], v37 offset:16
	;; [unrolled: 1-line block ×3, first 2 shown]
	s_add_nc_u64 s[16:17], s[16:17], 8
	s_delay_alu instid0(SALU_CYCLE_1)
	v_cmp_gt_i64_e64 s22, s[8:9], s[16:17]
	s_and_b32 vcc_lo, exec_lo, s22
	s_wait_dscnt 0x3
	v_fmac_f64_e32 v[26:27], v[38:39], v[32:33]
	v_fmac_f64_e32 v[22:23], v[40:41], v[32:33]
	s_wait_dscnt 0x2
	v_fmac_f64_e32 v[20:21], v[38:39], v[42:43]
	v_fmac_f64_e32 v[18:19], v[40:41], v[42:43]
	ds_load_2addr_b64 v[38:41], v36 offset0:32 offset1:48
	s_wait_dscnt 0x0
	v_fmac_f64_e32 v[26:27], v[38:39], v[34:35]
	v_fmac_f64_e32 v[22:23], v[40:41], v[34:35]
	v_fmac_f64_e32 v[20:21], v[38:39], v[44:45]
	v_fmac_f64_e32 v[18:19], v[40:41], v[44:45]
	ds_load_2addr_b64 v[32:35], v36 offset0:64 offset1:80
	s_wait_dscnt 0x0
	v_fmac_f64_e32 v[26:27], v[32:33], v[46:47]
	v_fmac_f64_e32 v[22:23], v[34:35], v[46:47]
	;; [unrolled: 6-line block ×3, first 2 shown]
	v_fmac_f64_e32 v[20:21], v[32:33], v[52:53]
	v_fmac_f64_e32 v[18:19], v[34:35], v[52:53]
	ds_load_b128 v[32:35], v37 offset:32
	ds_load_2addr_b64 v[38:41], v36 offset0:128 offset1:144
	ds_load_b128 v[42:45], v37 offset:1056
	ds_load_b128 v[46:49], v37 offset:48
	;; [unrolled: 1-line block ×3, first 2 shown]
	s_wait_dscnt 0x3
	v_fmac_f64_e32 v[26:27], v[38:39], v[32:33]
	v_fmac_f64_e32 v[22:23], v[40:41], v[32:33]
	s_wait_dscnt 0x2
	v_fmac_f64_e32 v[20:21], v[38:39], v[42:43]
	v_fmac_f64_e32 v[18:19], v[40:41], v[42:43]
	ds_load_2addr_b64 v[38:41], v36 offset0:160 offset1:176
	s_wait_dscnt 0x0
	v_fmac_f64_e32 v[26:27], v[38:39], v[34:35]
	v_fmac_f64_e32 v[22:23], v[40:41], v[34:35]
	;; [unrolled: 1-line block ×4, first 2 shown]
	ds_load_2addr_b64 v[32:35], v36 offset0:192 offset1:208
	s_wait_dscnt 0x0
	v_fmac_f64_e32 v[26:27], v[32:33], v[46:47]
	v_fmac_f64_e32 v[22:23], v[34:35], v[46:47]
	;; [unrolled: 1-line block ×4, first 2 shown]
	ds_load_2addr_b64 v[32:35], v36 offset0:224 offset1:240
	s_wait_dscnt 0x0
	s_barrier_signal -1
	s_barrier_wait -1
	v_fmac_f64_e32 v[26:27], v[32:33], v[48:49]
	v_fmac_f64_e32 v[22:23], v[34:35], v[48:49]
	;; [unrolled: 1-line block ×4, first 2 shown]
	s_cbranch_vccz .LBB473_15
.LBB473_9:                              ;   Parent Loop BB473_6 Depth=1
                                        ; =>  This Inner Loop Header: Depth=2
	v_mov_b64_e32 v[32:33], 0
	s_and_saveexec_b32 s22, s0
	s_cbranch_execz .LBB473_13
; %bb.10:                               ;   in Loop: Header=BB473_9 Depth=2
	v_mov_b64_e32 v[32:33], 0
	v_add_nc_u32_e32 v16, s16, v2
	s_mov_b32 s23, exec_lo
	s_delay_alu instid0(VALU_DEP_1)
	v_cmpx_gt_u64_e64 s[8:9], v[16:17]
	s_cbranch_execz .LBB473_12
; %bb.11:                               ;   in Loop: Header=BB473_9 Depth=2
	v_lshl_add_u64 v[32:33], v[16:17], 3, v[28:29]
	flat_load_b64 v[32:33], v[32:33]
.LBB473_12:                             ;   in Loop: Header=BB473_9 Depth=2
	s_wait_xcnt 0x0
	s_or_b32 exec_lo, exec_lo, s23
.LBB473_13:                             ;   in Loop: Header=BB473_9 Depth=2
	s_delay_alu instid0(SALU_CYCLE_1)
	s_or_b32 exec_lo, exec_lo, s22
	v_add_nc_u32_e32 v16, s16, v0
	v_mov_b64_e32 v[34:35], 0
	s_wait_loadcnt_dscnt 0x0
	ds_store_b64 v1, v[32:33]
	v_cmp_gt_u64_e32 vcc_lo, s[8:9], v[16:17]
	s_and_b32 s23, vcc_lo, s1
	s_delay_alu instid0(SALU_CYCLE_1)
	s_and_saveexec_b32 s22, s23
	s_cbranch_execz .LBB473_8
; %bb.14:                               ;   in Loop: Header=BB473_9 Depth=2
	v_mul_u64_e32 v[32:33], s[20:21], v[16:17]
	s_delay_alu instid0(VALU_DEP_1)
	v_lshl_add_u64 v[32:33], v[32:33], 3, v[30:31]
	flat_load_b64 v[34:35], v[32:33]
	s_branch .LBB473_8
.LBB473_15:                             ;   in Loop: Header=BB473_6 Depth=1
	s_wait_loadcnt 0x0
	v_add_nc_u64_e32 v[24:25], s[14:15], v[24:25]
	s_delay_alu instid0(VALU_DEP_1)
	v_lshl_add_u64 v[28:29], v[8:9], 3, v[24:25]
	s_wait_xcnt 0x0
	s_and_saveexec_b32 s16, s28
	s_cbranch_execz .LBB473_19
; %bb.16:                               ;   in Loop: Header=BB473_6 Depth=1
	v_mul_f64_e32 v[26:27], s[10:11], v[26:27]
	v_lshl_add_u64 v[30:31], v[12:13], 3, v[28:29]
	s_and_b32 vcc_lo, exec_lo, s34
	s_cbranch_vccz .LBB473_30
; %bb.17:                               ;   in Loop: Header=BB473_6 Depth=1
	flat_load_b64 v[32:33], v[30:31]
	s_wait_loadcnt_dscnt 0x0
	v_fma_f64 v[32:33], s[6:7], v[32:33], v[26:27]
	flat_store_b64 v[30:31], v[32:33]
	s_cbranch_execnz .LBB473_19
.LBB473_18:                             ;   in Loop: Header=BB473_6 Depth=1
	flat_store_b64 v[30:31], v[26:27]
.LBB473_19:                             ;   in Loop: Header=BB473_6 Depth=1
	s_wait_xcnt 0x0
	s_or_b32 exec_lo, exec_lo, s16
	s_and_saveexec_b32 s16, s29
	s_cbranch_execz .LBB473_23
; %bb.20:                               ;   in Loop: Header=BB473_6 Depth=1
	v_mul_f64_e32 v[22:23], s[10:11], v[22:23]
	v_lshl_add_u64 v[26:27], v[14:15], 3, v[28:29]
	s_and_not1_b32 vcc_lo, exec_lo, s34
	s_cbranch_vccnz .LBB473_31
; %bb.21:                               ;   in Loop: Header=BB473_6 Depth=1
	flat_load_b64 v[28:29], v[26:27]
	s_wait_loadcnt_dscnt 0x0
	v_fma_f64 v[28:29], s[6:7], v[28:29], v[22:23]
	flat_store_b64 v[26:27], v[28:29]
	s_cbranch_execnz .LBB473_23
.LBB473_22:                             ;   in Loop: Header=BB473_6 Depth=1
	flat_store_b64 v[26:27], v[22:23]
.LBB473_23:                             ;   in Loop: Header=BB473_6 Depth=1
	s_wait_xcnt 0x0
	s_or_b32 exec_lo, exec_lo, s16
	v_lshl_add_u64 v[22:23], v[10:11], 3, v[24:25]
	s_and_saveexec_b32 s16, s35
	s_cbranch_execz .LBB473_27
; %bb.24:                               ;   in Loop: Header=BB473_6 Depth=1
	v_mul_f64_e32 v[20:21], s[10:11], v[20:21]
	s_delay_alu instid0(VALU_DEP_2)
	v_lshl_add_u64 v[24:25], v[12:13], 3, v[22:23]
	s_and_not1_b32 vcc_lo, exec_lo, s34
	s_cbranch_vccnz .LBB473_32
; %bb.25:                               ;   in Loop: Header=BB473_6 Depth=1
	flat_load_b64 v[26:27], v[24:25]
	s_wait_loadcnt_dscnt 0x0
	v_fma_f64 v[26:27], s[6:7], v[26:27], v[20:21]
	flat_store_b64 v[24:25], v[26:27]
	s_cbranch_execnz .LBB473_27
.LBB473_26:                             ;   in Loop: Header=BB473_6 Depth=1
	flat_store_b64 v[24:25], v[20:21]
.LBB473_27:                             ;   in Loop: Header=BB473_6 Depth=1
	s_wait_xcnt 0x0
	s_or_b32 exec_lo, exec_lo, s16
	s_and_saveexec_b32 s16, s36
	s_cbranch_execz .LBB473_5
; %bb.28:                               ;   in Loop: Header=BB473_6 Depth=1
	s_delay_alu instid0(VALU_DEP_4)
	v_mul_f64_e32 v[18:19], s[10:11], v[18:19]
	v_lshl_add_u64 v[20:21], v[14:15], 3, v[22:23]
	s_and_not1_b32 vcc_lo, exec_lo, s34
	s_cbranch_vccnz .LBB473_33
; %bb.29:                               ;   in Loop: Header=BB473_6 Depth=1
	flat_load_b64 v[22:23], v[20:21]
	s_wait_loadcnt_dscnt 0x0
	v_fma_f64 v[22:23], s[6:7], v[22:23], v[18:19]
	flat_store_b64 v[20:21], v[22:23]
	s_cbranch_execnz .LBB473_5
	s_branch .LBB473_34
.LBB473_30:                             ;   in Loop: Header=BB473_6 Depth=1
	s_branch .LBB473_18
.LBB473_31:                             ;   in Loop: Header=BB473_6 Depth=1
	s_branch .LBB473_22
.LBB473_32:                             ;   in Loop: Header=BB473_6 Depth=1
	s_branch .LBB473_26
.LBB473_33:                             ;   in Loop: Header=BB473_6 Depth=1
.LBB473_34:                             ;   in Loop: Header=BB473_6 Depth=1
	flat_store_b64 v[20:21], v[18:19]
	s_branch .LBB473_5
.LBB473_35:
	s_endpgm
	.section	.rodata,"a",@progbits
	.p2align	6, 0x0
	.amdhsa_kernel _ZL29rocblas_internal_gemmt_kernelIlLi16ELi32ELi8ELc84ELc67ELc85ELb0ELb0EdPKdPKS1_PKPdEviT_T9_T10_S7_lS9_S7_lS8_T11_S7_li
		.amdhsa_group_segment_fixed_size 4096
		.amdhsa_private_segment_fixed_size 0
		.amdhsa_kernarg_size 108
		.amdhsa_user_sgpr_count 2
		.amdhsa_user_sgpr_dispatch_ptr 0
		.amdhsa_user_sgpr_queue_ptr 0
		.amdhsa_user_sgpr_kernarg_segment_ptr 1
		.amdhsa_user_sgpr_dispatch_id 0
		.amdhsa_user_sgpr_kernarg_preload_length 0
		.amdhsa_user_sgpr_kernarg_preload_offset 0
		.amdhsa_user_sgpr_private_segment_size 0
		.amdhsa_wavefront_size32 1
		.amdhsa_uses_dynamic_stack 0
		.amdhsa_enable_private_segment 0
		.amdhsa_system_sgpr_workgroup_id_x 1
		.amdhsa_system_sgpr_workgroup_id_y 1
		.amdhsa_system_sgpr_workgroup_id_z 1
		.amdhsa_system_sgpr_workgroup_info 0
		.amdhsa_system_vgpr_workitem_id 1
		.amdhsa_next_free_vgpr 54
		.amdhsa_next_free_sgpr 38
		.amdhsa_named_barrier_count 0
		.amdhsa_reserve_vcc 1
		.amdhsa_float_round_mode_32 0
		.amdhsa_float_round_mode_16_64 0
		.amdhsa_float_denorm_mode_32 3
		.amdhsa_float_denorm_mode_16_64 3
		.amdhsa_fp16_overflow 0
		.amdhsa_memory_ordered 1
		.amdhsa_forward_progress 1
		.amdhsa_inst_pref_size 14
		.amdhsa_round_robin_scheduling 0
		.amdhsa_exception_fp_ieee_invalid_op 0
		.amdhsa_exception_fp_denorm_src 0
		.amdhsa_exception_fp_ieee_div_zero 0
		.amdhsa_exception_fp_ieee_overflow 0
		.amdhsa_exception_fp_ieee_underflow 0
		.amdhsa_exception_fp_ieee_inexact 0
		.amdhsa_exception_int_div_zero 0
	.end_amdhsa_kernel
	.section	.text._ZL29rocblas_internal_gemmt_kernelIlLi16ELi32ELi8ELc84ELc67ELc85ELb0ELb0EdPKdPKS1_PKPdEviT_T9_T10_S7_lS9_S7_lS8_T11_S7_li,"axG",@progbits,_ZL29rocblas_internal_gemmt_kernelIlLi16ELi32ELi8ELc84ELc67ELc85ELb0ELb0EdPKdPKS1_PKPdEviT_T9_T10_S7_lS9_S7_lS8_T11_S7_li,comdat
.Lfunc_end473:
	.size	_ZL29rocblas_internal_gemmt_kernelIlLi16ELi32ELi8ELc84ELc67ELc85ELb0ELb0EdPKdPKS1_PKPdEviT_T9_T10_S7_lS9_S7_lS8_T11_S7_li, .Lfunc_end473-_ZL29rocblas_internal_gemmt_kernelIlLi16ELi32ELi8ELc84ELc67ELc85ELb0ELb0EdPKdPKS1_PKPdEviT_T9_T10_S7_lS9_S7_lS8_T11_S7_li
                                        ; -- End function
	.set _ZL29rocblas_internal_gemmt_kernelIlLi16ELi32ELi8ELc84ELc67ELc85ELb0ELb0EdPKdPKS1_PKPdEviT_T9_T10_S7_lS9_S7_lS8_T11_S7_li.num_vgpr, 54
	.set _ZL29rocblas_internal_gemmt_kernelIlLi16ELi32ELi8ELc84ELc67ELc85ELb0ELb0EdPKdPKS1_PKPdEviT_T9_T10_S7_lS9_S7_lS8_T11_S7_li.num_agpr, 0
	.set _ZL29rocblas_internal_gemmt_kernelIlLi16ELi32ELi8ELc84ELc67ELc85ELb0ELb0EdPKdPKS1_PKPdEviT_T9_T10_S7_lS9_S7_lS8_T11_S7_li.numbered_sgpr, 38
	.set _ZL29rocblas_internal_gemmt_kernelIlLi16ELi32ELi8ELc84ELc67ELc85ELb0ELb0EdPKdPKS1_PKPdEviT_T9_T10_S7_lS9_S7_lS8_T11_S7_li.num_named_barrier, 0
	.set _ZL29rocblas_internal_gemmt_kernelIlLi16ELi32ELi8ELc84ELc67ELc85ELb0ELb0EdPKdPKS1_PKPdEviT_T9_T10_S7_lS9_S7_lS8_T11_S7_li.private_seg_size, 0
	.set _ZL29rocblas_internal_gemmt_kernelIlLi16ELi32ELi8ELc84ELc67ELc85ELb0ELb0EdPKdPKS1_PKPdEviT_T9_T10_S7_lS9_S7_lS8_T11_S7_li.uses_vcc, 1
	.set _ZL29rocblas_internal_gemmt_kernelIlLi16ELi32ELi8ELc84ELc67ELc85ELb0ELb0EdPKdPKS1_PKPdEviT_T9_T10_S7_lS9_S7_lS8_T11_S7_li.uses_flat_scratch, 0
	.set _ZL29rocblas_internal_gemmt_kernelIlLi16ELi32ELi8ELc84ELc67ELc85ELb0ELb0EdPKdPKS1_PKPdEviT_T9_T10_S7_lS9_S7_lS8_T11_S7_li.has_dyn_sized_stack, 0
	.set _ZL29rocblas_internal_gemmt_kernelIlLi16ELi32ELi8ELc84ELc67ELc85ELb0ELb0EdPKdPKS1_PKPdEviT_T9_T10_S7_lS9_S7_lS8_T11_S7_li.has_recursion, 0
	.set _ZL29rocblas_internal_gemmt_kernelIlLi16ELi32ELi8ELc84ELc67ELc85ELb0ELb0EdPKdPKS1_PKPdEviT_T9_T10_S7_lS9_S7_lS8_T11_S7_li.has_indirect_call, 0
	.section	.AMDGPU.csdata,"",@progbits
; Kernel info:
; codeLenInByte = 1676
; TotalNumSgprs: 40
; NumVgprs: 54
; ScratchSize: 0
; MemoryBound: 0
; FloatMode: 240
; IeeeMode: 1
; LDSByteSize: 4096 bytes/workgroup (compile time only)
; SGPRBlocks: 0
; VGPRBlocks: 3
; NumSGPRsForWavesPerEU: 40
; NumVGPRsForWavesPerEU: 54
; NamedBarCnt: 0
; Occupancy: 16
; WaveLimiterHint : 1
; COMPUTE_PGM_RSRC2:SCRATCH_EN: 0
; COMPUTE_PGM_RSRC2:USER_SGPR: 2
; COMPUTE_PGM_RSRC2:TRAP_HANDLER: 0
; COMPUTE_PGM_RSRC2:TGID_X_EN: 1
; COMPUTE_PGM_RSRC2:TGID_Y_EN: 1
; COMPUTE_PGM_RSRC2:TGID_Z_EN: 1
; COMPUTE_PGM_RSRC2:TIDIG_COMP_CNT: 1
	.section	.text._ZL29rocblas_internal_gemmt_kernelIlLi16ELi32ELi8ELc67ELc78ELc85ELb0ELb0EdPKdPKS1_PKPdEviT_T9_T10_S7_lS9_S7_lS8_T11_S7_li,"axG",@progbits,_ZL29rocblas_internal_gemmt_kernelIlLi16ELi32ELi8ELc67ELc78ELc85ELb0ELb0EdPKdPKS1_PKPdEviT_T9_T10_S7_lS9_S7_lS8_T11_S7_li,comdat
	.globl	_ZL29rocblas_internal_gemmt_kernelIlLi16ELi32ELi8ELc67ELc78ELc85ELb0ELb0EdPKdPKS1_PKPdEviT_T9_T10_S7_lS9_S7_lS8_T11_S7_li ; -- Begin function _ZL29rocblas_internal_gemmt_kernelIlLi16ELi32ELi8ELc67ELc78ELc85ELb0ELb0EdPKdPKS1_PKPdEviT_T9_T10_S7_lS9_S7_lS8_T11_S7_li
	.p2align	8
	.type	_ZL29rocblas_internal_gemmt_kernelIlLi16ELi32ELi8ELc67ELc78ELc85ELb0ELb0EdPKdPKS1_PKPdEviT_T9_T10_S7_lS9_S7_lS8_T11_S7_li,@function
_ZL29rocblas_internal_gemmt_kernelIlLi16ELi32ELi8ELc67ELc78ELc85ELb0ELb0EdPKdPKS1_PKPdEviT_T9_T10_S7_lS9_S7_lS8_T11_S7_li: ; @_ZL29rocblas_internal_gemmt_kernelIlLi16ELi32ELi8ELc67ELc78ELc85ELb0ELb0EdPKdPKS1_PKPdEviT_T9_T10_S7_lS9_S7_lS8_T11_S7_li
; %bb.0:
	s_load_b256 s[24:31], s[0:1], 0x48
	s_wait_kmcnt 0x0
	s_load_b64 s[6:7], s[24:25], 0x0
	s_load_b512 s[8:23], s[0:1], 0x8
	s_wait_kmcnt 0x0
	v_cmp_neq_f64_e64 s2, s[6:7], 1.0
	s_load_b64 s[10:11], s[10:11], 0x0
	s_and_b32 vcc_lo, exec_lo, s2
	s_cbranch_vccnz .LBB474_2
; %bb.1:
	s_wait_kmcnt 0x0
	v_cmp_neq_f64_e64 s2, s[10:11], 0
	s_cmp_lg_u64 s[8:9], 0
	s_cselect_b32 s3, -1, 0
	s_delay_alu instid0(SALU_CYCLE_1)
	s_and_b32 s2, s3, s2
.LBB474_2:
	s_delay_alu instid0(SALU_CYCLE_1)
	s_and_not1_b32 vcc_lo, exec_lo, s2
	s_cbranch_vccnz .LBB474_35
; %bb.3:
	s_load_b32 s33, s[0:1], 0x68
	s_bfe_u32 s2, ttmp6, 0x40014
	s_lshr_b32 s3, ttmp7, 16
	s_add_co_i32 s2, s2, 1
	s_bfe_u32 s5, ttmp6, 0x40008
	s_mul_i32 s4, s3, s2
	s_getreg_b32 s2, hwreg(HW_REG_IB_STS2, 6, 4)
	s_add_co_i32 s5, s5, s4
	s_cmp_eq_u32 s2, 0
	s_mov_b32 s25, 0
	s_cselect_b32 s24, s3, s5
	s_wait_kmcnt 0x0
	s_cmp_ge_u32 s24, s33
	s_cbranch_scc1 .LBB474_35
; %bb.4:
	s_load_b32 s3, s[0:1], 0x0
	s_wait_xcnt 0x0
	s_bfe_u32 s1, ttmp6, 0x4000c
	s_bfe_u32 s5, ttmp6, 0x40010
	s_and_b32 s4, ttmp7, 0xffff
	s_add_co_i32 s1, s1, 1
	s_add_co_i32 s5, s5, 1
	v_and_b32_e32 v20, 0x3ff, v0
	v_bfe_u32 v21, v0, 10, 10
	s_and_b32 s0, ttmp6, 15
	s_mul_i32 s1, ttmp9, s1
	s_mul_i32 s5, s4, s5
	s_bfe_u32 s34, ttmp6, 0x40004
	s_add_co_i32 s0, s0, s1
	s_add_co_i32 s34, s34, s5
	s_cmp_eq_u32 s2, 0
	v_lshl_add_u32 v1, v21, 4, v20
	s_cselect_b32 s1, s4, s34
	s_cselect_b32 s0, ttmp9, s0
	s_lshl_b32 s1, s1, 5
	s_lshl_b32 s2, s0, 5
	v_dual_lshrrev_b32 v3, 3, v1 :: v_dual_bitop2_b32 v22, 31, v1 bitop3:0x40
	v_add_nc_u32_e32 v16, s1, v21
	v_lshrrev_b32_e32 v2, 5, v1
	v_cmp_neq_f64_e64 s35, s[10:11], 0
	s_delay_alu instid0(VALU_DEP_4) | instskip(NEXT) | instid1(VALU_DEP_4)
	v_dual_add_nc_u32 v14, s1, v3 :: v_dual_bitop2_b32 v12, s2, v22 bitop3:0x54
	v_dual_add_nc_u32 v18, 16, v16 :: v_dual_ashrrev_i32 v17, 31, v16
	s_delay_alu instid0(VALU_DEP_2) | instskip(NEXT) | instid1(VALU_DEP_2)
	v_dual_ashrrev_i32 v15, 31, v14 :: v_dual_bitop2_b32 v0, 7, v0 bitop3:0x40
	v_dual_ashrrev_i32 v13, 31, v12 :: v_dual_ashrrev_i32 v19, 31, v18
	s_delay_alu instid0(VALU_DEP_3)
	v_mul_u64_e32 v[8:9], s[28:29], v[16:17]
	s_wait_kmcnt 0x0
	v_cmp_gt_i32_e64 s0, s3, v12
	v_mul_u64_e32 v[6:7], s[20:21], v[14:15]
	v_mul_u64_e32 v[4:5], s[14:15], v[12:13]
	v_cmp_neq_f64_e64 s20, s[6:7], 0
	v_mul_u64_e32 v[10:11], s[28:29], v[18:19]
	v_dual_add_nc_u32 v12, s2, v20 :: v_dual_lshlrev_b32 v36, 3, v20
	v_dual_lshlrev_b32 v1, 3, v22 :: v_dual_lshlrev_b32 v13, 3, v0
	v_cmp_gt_i32_e64 s1, s3, v14
	v_cmp_gt_i32_e32 vcc_lo, s3, v16
	s_delay_alu instid0(VALU_DEP_4)
	v_cmp_le_i32_e64 s2, v12, v16
	v_add_nc_u32_e32 v14, 16, v12
	v_lshl_or_b32 v3, v3, 6, v13
	v_cmp_gt_i64_e64 s14, s[8:9], 0
	v_cmp_gt_i32_e64 s3, s3, v18
	s_and_b32 s21, vcc_lo, s2
	v_cmp_le_i32_e64 s4, v12, v18
	v_ashrrev_i32_e32 v13, 31, v12
	v_cmp_le_i32_e64 s2, v14, v16
	v_cmp_le_i32_e64 s5, v14, v18
	v_lshl_or_b32 v1, v2, 8, v1
	v_add_nc_u32_e32 v3, 0x800, v3
	v_lshl_add_u32 v37, v21, 6, 0x800
	v_dual_ashrrev_i32 v15, 31, v14 :: v_dual_mov_b32 v17, 0
	s_and_b32 s28, vcc_lo, s2
	s_and_b32 s29, s3, s4
	s_and_b32 s34, s3, s5
	s_and_b32 s35, s35, s14
	s_lshl_b64 s[2:3], s[22:23], 3
	s_lshl_b64 s[4:5], s[16:17], 3
	;; [unrolled: 1-line block ×3, first 2 shown]
	s_branch .LBB474_6
.LBB474_5:                              ;   in Loop: Header=BB474_6 Depth=1
	s_wait_xcnt 0x0
	s_or_b32 exec_lo, exec_lo, s16
	s_add_co_i32 s24, s24, 0x10000
	s_delay_alu instid0(SALU_CYCLE_1)
	s_cmp_lt_u32 s24, s33
	s_cbranch_scc0 .LBB474_35
.LBB474_6:                              ; =>This Loop Header: Depth=1
                                        ;     Child Loop BB474_9 Depth 2
	v_mov_b32_e32 v16, s24
	v_mov_b64_e32 v[26:27], 0
	v_mov_b64_e32 v[22:23], 0
	;; [unrolled: 1-line block ×4, first 2 shown]
	global_load_b64 v[24:25], v16, s[26:27] scale_offset
	s_and_not1_b32 vcc_lo, exec_lo, s35
	s_cbranch_vccnz .LBB474_15
; %bb.7:                                ;   in Loop: Header=BB474_6 Depth=1
	s_lshl_b64 s[16:17], s[24:25], 3
	v_mov_b64_e32 v[22:23], 0
	s_add_nc_u64 s[22:23], s[12:13], s[16:17]
	s_add_nc_u64 s[16:17], s[18:19], s[16:17]
	s_clause 0x1
	global_load_b64 v[18:19], v17, s[22:23]
	global_load_b64 v[20:21], v17, s[16:17]
	v_mov_b64_e32 v[26:27], 0
	s_wait_xcnt 0x0
	s_mov_b64 s[16:17], 0
	s_wait_loadcnt 0x1
	v_add_nc_u64_e32 v[28:29], s[4:5], v[18:19]
	s_wait_loadcnt 0x0
	v_add_nc_u64_e32 v[30:31], s[2:3], v[20:21]
	v_mov_b64_e32 v[18:19], 0
	v_mov_b64_e32 v[20:21], 0
	s_delay_alu instid0(VALU_DEP_4) | instskip(NEXT) | instid1(VALU_DEP_4)
	v_lshl_add_u64 v[28:29], v[4:5], 3, v[28:29]
	v_lshl_add_u64 v[30:31], v[6:7], 3, v[30:31]
	s_branch .LBB474_9
.LBB474_8:                              ;   in Loop: Header=BB474_9 Depth=2
	s_wait_xcnt 0x0
	s_or_b32 exec_lo, exec_lo, s22
	s_wait_loadcnt_dscnt 0x0
	ds_store_b64 v3, v[34:35]
	s_wait_dscnt 0x0
	s_barrier_signal -1
	s_barrier_wait -1
	ds_load_b128 v[32:35], v37
	ds_load_2addr_b64 v[38:41], v36 offset1:16
	ds_load_b128 v[42:45], v37 offset:1024
	ds_load_b128 v[46:49], v37 offset:16
	;; [unrolled: 1-line block ×3, first 2 shown]
	s_add_nc_u64 s[16:17], s[16:17], 8
	s_delay_alu instid0(SALU_CYCLE_1)
	v_cmp_gt_i64_e64 s22, s[8:9], s[16:17]
	s_and_b32 vcc_lo, exec_lo, s22
	s_wait_dscnt 0x3
	v_fmac_f64_e32 v[26:27], v[38:39], v[32:33]
	v_fmac_f64_e32 v[22:23], v[40:41], v[32:33]
	s_wait_dscnt 0x2
	v_fmac_f64_e32 v[20:21], v[38:39], v[42:43]
	v_fmac_f64_e32 v[18:19], v[40:41], v[42:43]
	ds_load_2addr_b64 v[38:41], v36 offset0:32 offset1:48
	s_wait_dscnt 0x0
	v_fmac_f64_e32 v[26:27], v[38:39], v[34:35]
	v_fmac_f64_e32 v[22:23], v[40:41], v[34:35]
	v_fmac_f64_e32 v[20:21], v[38:39], v[44:45]
	v_fmac_f64_e32 v[18:19], v[40:41], v[44:45]
	ds_load_2addr_b64 v[32:35], v36 offset0:64 offset1:80
	s_wait_dscnt 0x0
	v_fmac_f64_e32 v[26:27], v[32:33], v[46:47]
	v_fmac_f64_e32 v[22:23], v[34:35], v[46:47]
	;; [unrolled: 6-line block ×3, first 2 shown]
	v_fmac_f64_e32 v[20:21], v[32:33], v[52:53]
	v_fmac_f64_e32 v[18:19], v[34:35], v[52:53]
	ds_load_b128 v[32:35], v37 offset:32
	ds_load_2addr_b64 v[38:41], v36 offset0:128 offset1:144
	ds_load_b128 v[42:45], v37 offset:1056
	ds_load_b128 v[46:49], v37 offset:48
	;; [unrolled: 1-line block ×3, first 2 shown]
	s_wait_dscnt 0x3
	v_fmac_f64_e32 v[26:27], v[38:39], v[32:33]
	v_fmac_f64_e32 v[22:23], v[40:41], v[32:33]
	s_wait_dscnt 0x2
	v_fmac_f64_e32 v[20:21], v[38:39], v[42:43]
	v_fmac_f64_e32 v[18:19], v[40:41], v[42:43]
	ds_load_2addr_b64 v[38:41], v36 offset0:160 offset1:176
	s_wait_dscnt 0x0
	v_fmac_f64_e32 v[26:27], v[38:39], v[34:35]
	v_fmac_f64_e32 v[22:23], v[40:41], v[34:35]
	v_fmac_f64_e32 v[20:21], v[38:39], v[44:45]
	v_fmac_f64_e32 v[18:19], v[40:41], v[44:45]
	ds_load_2addr_b64 v[32:35], v36 offset0:192 offset1:208
	s_wait_dscnt 0x0
	v_fmac_f64_e32 v[26:27], v[32:33], v[46:47]
	v_fmac_f64_e32 v[22:23], v[34:35], v[46:47]
	;; [unrolled: 1-line block ×4, first 2 shown]
	ds_load_2addr_b64 v[32:35], v36 offset0:224 offset1:240
	s_wait_dscnt 0x0
	s_barrier_signal -1
	s_barrier_wait -1
	v_fmac_f64_e32 v[26:27], v[32:33], v[48:49]
	v_fmac_f64_e32 v[22:23], v[34:35], v[48:49]
	;; [unrolled: 1-line block ×4, first 2 shown]
	s_cbranch_vccz .LBB474_15
.LBB474_9:                              ;   Parent Loop BB474_6 Depth=1
                                        ; =>  This Inner Loop Header: Depth=2
	v_mov_b64_e32 v[32:33], 0
	s_and_saveexec_b32 s22, s0
	s_cbranch_execz .LBB474_13
; %bb.10:                               ;   in Loop: Header=BB474_9 Depth=2
	v_mov_b64_e32 v[32:33], 0
	v_add_nc_u32_e32 v16, s16, v2
	s_mov_b32 s23, exec_lo
	s_delay_alu instid0(VALU_DEP_1)
	v_cmpx_gt_u64_e64 s[8:9], v[16:17]
	s_cbranch_execz .LBB474_12
; %bb.11:                               ;   in Loop: Header=BB474_9 Depth=2
	v_lshl_add_u64 v[32:33], v[16:17], 3, v[28:29]
	flat_load_b64 v[32:33], v[32:33]
.LBB474_12:                             ;   in Loop: Header=BB474_9 Depth=2
	s_wait_xcnt 0x0
	s_or_b32 exec_lo, exec_lo, s23
.LBB474_13:                             ;   in Loop: Header=BB474_9 Depth=2
	s_delay_alu instid0(SALU_CYCLE_1)
	s_or_b32 exec_lo, exec_lo, s22
	v_add_nc_u32_e32 v16, s16, v0
	v_mov_b64_e32 v[34:35], 0
	s_wait_loadcnt_dscnt 0x0
	ds_store_b64 v1, v[32:33]
	v_cmp_gt_u64_e32 vcc_lo, s[8:9], v[16:17]
	s_and_b32 s23, vcc_lo, s1
	s_delay_alu instid0(SALU_CYCLE_1)
	s_and_saveexec_b32 s22, s23
	s_cbranch_execz .LBB474_8
; %bb.14:                               ;   in Loop: Header=BB474_9 Depth=2
	v_lshl_add_u64 v[32:33], v[16:17], 3, v[30:31]
	flat_load_b64 v[34:35], v[32:33]
	s_branch .LBB474_8
.LBB474_15:                             ;   in Loop: Header=BB474_6 Depth=1
	s_wait_loadcnt 0x0
	v_add_nc_u64_e32 v[24:25], s[14:15], v[24:25]
	s_delay_alu instid0(VALU_DEP_1)
	v_lshl_add_u64 v[28:29], v[8:9], 3, v[24:25]
	s_wait_xcnt 0x0
	s_and_saveexec_b32 s16, s21
	s_cbranch_execz .LBB474_19
; %bb.16:                               ;   in Loop: Header=BB474_6 Depth=1
	v_mul_f64_e32 v[26:27], s[10:11], v[26:27]
	v_lshl_add_u64 v[30:31], v[12:13], 3, v[28:29]
	s_and_b32 vcc_lo, exec_lo, s20
	s_cbranch_vccz .LBB474_30
; %bb.17:                               ;   in Loop: Header=BB474_6 Depth=1
	flat_load_b64 v[32:33], v[30:31]
	s_wait_loadcnt_dscnt 0x0
	v_fma_f64 v[32:33], s[6:7], v[32:33], v[26:27]
	flat_store_b64 v[30:31], v[32:33]
	s_cbranch_execnz .LBB474_19
.LBB474_18:                             ;   in Loop: Header=BB474_6 Depth=1
	flat_store_b64 v[30:31], v[26:27]
.LBB474_19:                             ;   in Loop: Header=BB474_6 Depth=1
	s_wait_xcnt 0x0
	s_or_b32 exec_lo, exec_lo, s16
	s_and_saveexec_b32 s16, s28
	s_cbranch_execz .LBB474_23
; %bb.20:                               ;   in Loop: Header=BB474_6 Depth=1
	v_mul_f64_e32 v[22:23], s[10:11], v[22:23]
	v_lshl_add_u64 v[26:27], v[14:15], 3, v[28:29]
	s_and_not1_b32 vcc_lo, exec_lo, s20
	s_cbranch_vccnz .LBB474_31
; %bb.21:                               ;   in Loop: Header=BB474_6 Depth=1
	flat_load_b64 v[28:29], v[26:27]
	s_wait_loadcnt_dscnt 0x0
	v_fma_f64 v[28:29], s[6:7], v[28:29], v[22:23]
	flat_store_b64 v[26:27], v[28:29]
	s_cbranch_execnz .LBB474_23
.LBB474_22:                             ;   in Loop: Header=BB474_6 Depth=1
	flat_store_b64 v[26:27], v[22:23]
.LBB474_23:                             ;   in Loop: Header=BB474_6 Depth=1
	s_wait_xcnt 0x0
	s_or_b32 exec_lo, exec_lo, s16
	v_lshl_add_u64 v[22:23], v[10:11], 3, v[24:25]
	s_and_saveexec_b32 s16, s29
	s_cbranch_execz .LBB474_27
; %bb.24:                               ;   in Loop: Header=BB474_6 Depth=1
	v_mul_f64_e32 v[20:21], s[10:11], v[20:21]
	s_delay_alu instid0(VALU_DEP_2)
	v_lshl_add_u64 v[24:25], v[12:13], 3, v[22:23]
	s_and_not1_b32 vcc_lo, exec_lo, s20
	s_cbranch_vccnz .LBB474_32
; %bb.25:                               ;   in Loop: Header=BB474_6 Depth=1
	flat_load_b64 v[26:27], v[24:25]
	s_wait_loadcnt_dscnt 0x0
	v_fma_f64 v[26:27], s[6:7], v[26:27], v[20:21]
	flat_store_b64 v[24:25], v[26:27]
	s_cbranch_execnz .LBB474_27
.LBB474_26:                             ;   in Loop: Header=BB474_6 Depth=1
	flat_store_b64 v[24:25], v[20:21]
.LBB474_27:                             ;   in Loop: Header=BB474_6 Depth=1
	s_wait_xcnt 0x0
	s_or_b32 exec_lo, exec_lo, s16
	s_and_saveexec_b32 s16, s34
	s_cbranch_execz .LBB474_5
; %bb.28:                               ;   in Loop: Header=BB474_6 Depth=1
	s_delay_alu instid0(VALU_DEP_4)
	v_mul_f64_e32 v[18:19], s[10:11], v[18:19]
	v_lshl_add_u64 v[20:21], v[14:15], 3, v[22:23]
	s_and_not1_b32 vcc_lo, exec_lo, s20
	s_cbranch_vccnz .LBB474_33
; %bb.29:                               ;   in Loop: Header=BB474_6 Depth=1
	flat_load_b64 v[22:23], v[20:21]
	s_wait_loadcnt_dscnt 0x0
	v_fma_f64 v[22:23], s[6:7], v[22:23], v[18:19]
	flat_store_b64 v[20:21], v[22:23]
	s_cbranch_execnz .LBB474_5
	s_branch .LBB474_34
.LBB474_30:                             ;   in Loop: Header=BB474_6 Depth=1
	s_branch .LBB474_18
.LBB474_31:                             ;   in Loop: Header=BB474_6 Depth=1
	s_branch .LBB474_22
.LBB474_32:                             ;   in Loop: Header=BB474_6 Depth=1
	s_branch .LBB474_26
.LBB474_33:                             ;   in Loop: Header=BB474_6 Depth=1
.LBB474_34:                             ;   in Loop: Header=BB474_6 Depth=1
	flat_store_b64 v[20:21], v[18:19]
	s_branch .LBB474_5
.LBB474_35:
	s_endpgm
	.section	.rodata,"a",@progbits
	.p2align	6, 0x0
	.amdhsa_kernel _ZL29rocblas_internal_gemmt_kernelIlLi16ELi32ELi8ELc67ELc78ELc85ELb0ELb0EdPKdPKS1_PKPdEviT_T9_T10_S7_lS9_S7_lS8_T11_S7_li
		.amdhsa_group_segment_fixed_size 4096
		.amdhsa_private_segment_fixed_size 0
		.amdhsa_kernarg_size 108
		.amdhsa_user_sgpr_count 2
		.amdhsa_user_sgpr_dispatch_ptr 0
		.amdhsa_user_sgpr_queue_ptr 0
		.amdhsa_user_sgpr_kernarg_segment_ptr 1
		.amdhsa_user_sgpr_dispatch_id 0
		.amdhsa_user_sgpr_kernarg_preload_length 0
		.amdhsa_user_sgpr_kernarg_preload_offset 0
		.amdhsa_user_sgpr_private_segment_size 0
		.amdhsa_wavefront_size32 1
		.amdhsa_uses_dynamic_stack 0
		.amdhsa_enable_private_segment 0
		.amdhsa_system_sgpr_workgroup_id_x 1
		.amdhsa_system_sgpr_workgroup_id_y 1
		.amdhsa_system_sgpr_workgroup_id_z 1
		.amdhsa_system_sgpr_workgroup_info 0
		.amdhsa_system_vgpr_workitem_id 1
		.amdhsa_next_free_vgpr 54
		.amdhsa_next_free_sgpr 36
		.amdhsa_named_barrier_count 0
		.amdhsa_reserve_vcc 1
		.amdhsa_float_round_mode_32 0
		.amdhsa_float_round_mode_16_64 0
		.amdhsa_float_denorm_mode_32 3
		.amdhsa_float_denorm_mode_16_64 3
		.amdhsa_fp16_overflow 0
		.amdhsa_memory_ordered 1
		.amdhsa_forward_progress 1
		.amdhsa_inst_pref_size 13
		.amdhsa_round_robin_scheduling 0
		.amdhsa_exception_fp_ieee_invalid_op 0
		.amdhsa_exception_fp_denorm_src 0
		.amdhsa_exception_fp_ieee_div_zero 0
		.amdhsa_exception_fp_ieee_overflow 0
		.amdhsa_exception_fp_ieee_underflow 0
		.amdhsa_exception_fp_ieee_inexact 0
		.amdhsa_exception_int_div_zero 0
	.end_amdhsa_kernel
	.section	.text._ZL29rocblas_internal_gemmt_kernelIlLi16ELi32ELi8ELc67ELc78ELc85ELb0ELb0EdPKdPKS1_PKPdEviT_T9_T10_S7_lS9_S7_lS8_T11_S7_li,"axG",@progbits,_ZL29rocblas_internal_gemmt_kernelIlLi16ELi32ELi8ELc67ELc78ELc85ELb0ELb0EdPKdPKS1_PKPdEviT_T9_T10_S7_lS9_S7_lS8_T11_S7_li,comdat
.Lfunc_end474:
	.size	_ZL29rocblas_internal_gemmt_kernelIlLi16ELi32ELi8ELc67ELc78ELc85ELb0ELb0EdPKdPKS1_PKPdEviT_T9_T10_S7_lS9_S7_lS8_T11_S7_li, .Lfunc_end474-_ZL29rocblas_internal_gemmt_kernelIlLi16ELi32ELi8ELc67ELc78ELc85ELb0ELb0EdPKdPKS1_PKPdEviT_T9_T10_S7_lS9_S7_lS8_T11_S7_li
                                        ; -- End function
	.set _ZL29rocblas_internal_gemmt_kernelIlLi16ELi32ELi8ELc67ELc78ELc85ELb0ELb0EdPKdPKS1_PKPdEviT_T9_T10_S7_lS9_S7_lS8_T11_S7_li.num_vgpr, 54
	.set _ZL29rocblas_internal_gemmt_kernelIlLi16ELi32ELi8ELc67ELc78ELc85ELb0ELb0EdPKdPKS1_PKPdEviT_T9_T10_S7_lS9_S7_lS8_T11_S7_li.num_agpr, 0
	.set _ZL29rocblas_internal_gemmt_kernelIlLi16ELi32ELi8ELc67ELc78ELc85ELb0ELb0EdPKdPKS1_PKPdEviT_T9_T10_S7_lS9_S7_lS8_T11_S7_li.numbered_sgpr, 36
	.set _ZL29rocblas_internal_gemmt_kernelIlLi16ELi32ELi8ELc67ELc78ELc85ELb0ELb0EdPKdPKS1_PKPdEviT_T9_T10_S7_lS9_S7_lS8_T11_S7_li.num_named_barrier, 0
	.set _ZL29rocblas_internal_gemmt_kernelIlLi16ELi32ELi8ELc67ELc78ELc85ELb0ELb0EdPKdPKS1_PKPdEviT_T9_T10_S7_lS9_S7_lS8_T11_S7_li.private_seg_size, 0
	.set _ZL29rocblas_internal_gemmt_kernelIlLi16ELi32ELi8ELc67ELc78ELc85ELb0ELb0EdPKdPKS1_PKPdEviT_T9_T10_S7_lS9_S7_lS8_T11_S7_li.uses_vcc, 1
	.set _ZL29rocblas_internal_gemmt_kernelIlLi16ELi32ELi8ELc67ELc78ELc85ELb0ELb0EdPKdPKS1_PKPdEviT_T9_T10_S7_lS9_S7_lS8_T11_S7_li.uses_flat_scratch, 0
	.set _ZL29rocblas_internal_gemmt_kernelIlLi16ELi32ELi8ELc67ELc78ELc85ELb0ELb0EdPKdPKS1_PKPdEviT_T9_T10_S7_lS9_S7_lS8_T11_S7_li.has_dyn_sized_stack, 0
	.set _ZL29rocblas_internal_gemmt_kernelIlLi16ELi32ELi8ELc67ELc78ELc85ELb0ELb0EdPKdPKS1_PKPdEviT_T9_T10_S7_lS9_S7_lS8_T11_S7_li.has_recursion, 0
	.set _ZL29rocblas_internal_gemmt_kernelIlLi16ELi32ELi8ELc67ELc78ELc85ELb0ELb0EdPKdPKS1_PKPdEviT_T9_T10_S7_lS9_S7_lS8_T11_S7_li.has_indirect_call, 0
	.section	.AMDGPU.csdata,"",@progbits
; Kernel info:
; codeLenInByte = 1664
; TotalNumSgprs: 38
; NumVgprs: 54
; ScratchSize: 0
; MemoryBound: 0
; FloatMode: 240
; IeeeMode: 1
; LDSByteSize: 4096 bytes/workgroup (compile time only)
; SGPRBlocks: 0
; VGPRBlocks: 3
; NumSGPRsForWavesPerEU: 38
; NumVGPRsForWavesPerEU: 54
; NamedBarCnt: 0
; Occupancy: 16
; WaveLimiterHint : 1
; COMPUTE_PGM_RSRC2:SCRATCH_EN: 0
; COMPUTE_PGM_RSRC2:USER_SGPR: 2
; COMPUTE_PGM_RSRC2:TRAP_HANDLER: 0
; COMPUTE_PGM_RSRC2:TGID_X_EN: 1
; COMPUTE_PGM_RSRC2:TGID_Y_EN: 1
; COMPUTE_PGM_RSRC2:TGID_Z_EN: 1
; COMPUTE_PGM_RSRC2:TIDIG_COMP_CNT: 1
	.section	.text._ZL29rocblas_internal_gemmt_kernelIlLi16ELi32ELi8ELc67ELc84ELc85ELb0ELb0EdPKdPKS1_PKPdEviT_T9_T10_S7_lS9_S7_lS8_T11_S7_li,"axG",@progbits,_ZL29rocblas_internal_gemmt_kernelIlLi16ELi32ELi8ELc67ELc84ELc85ELb0ELb0EdPKdPKS1_PKPdEviT_T9_T10_S7_lS9_S7_lS8_T11_S7_li,comdat
	.globl	_ZL29rocblas_internal_gemmt_kernelIlLi16ELi32ELi8ELc67ELc84ELc85ELb0ELb0EdPKdPKS1_PKPdEviT_T9_T10_S7_lS9_S7_lS8_T11_S7_li ; -- Begin function _ZL29rocblas_internal_gemmt_kernelIlLi16ELi32ELi8ELc67ELc84ELc85ELb0ELb0EdPKdPKS1_PKPdEviT_T9_T10_S7_lS9_S7_lS8_T11_S7_li
	.p2align	8
	.type	_ZL29rocblas_internal_gemmt_kernelIlLi16ELi32ELi8ELc67ELc84ELc85ELb0ELb0EdPKdPKS1_PKPdEviT_T9_T10_S7_lS9_S7_lS8_T11_S7_li,@function
_ZL29rocblas_internal_gemmt_kernelIlLi16ELi32ELi8ELc67ELc84ELc85ELb0ELb0EdPKdPKS1_PKPdEviT_T9_T10_S7_lS9_S7_lS8_T11_S7_li: ; @_ZL29rocblas_internal_gemmt_kernelIlLi16ELi32ELi8ELc67ELc84ELc85ELb0ELb0EdPKdPKS1_PKPdEviT_T9_T10_S7_lS9_S7_lS8_T11_S7_li
; %bb.0:
	s_load_b256 s[24:31], s[0:1], 0x48
	s_wait_kmcnt 0x0
	s_load_b64 s[6:7], s[24:25], 0x0
	s_load_b512 s[8:23], s[0:1], 0x8
	s_wait_kmcnt 0x0
	v_cmp_neq_f64_e64 s2, s[6:7], 1.0
	s_load_b64 s[10:11], s[10:11], 0x0
	s_and_b32 vcc_lo, exec_lo, s2
	s_cbranch_vccnz .LBB475_2
; %bb.1:
	s_wait_kmcnt 0x0
	v_cmp_neq_f64_e64 s2, s[10:11], 0
	s_cmp_lg_u64 s[8:9], 0
	s_cselect_b32 s3, -1, 0
	s_delay_alu instid0(SALU_CYCLE_1)
	s_and_b32 s2, s3, s2
.LBB475_2:
	s_delay_alu instid0(SALU_CYCLE_1)
	s_and_not1_b32 vcc_lo, exec_lo, s2
	s_cbranch_vccnz .LBB475_35
; %bb.3:
	s_load_b32 s33, s[0:1], 0x68
	s_bfe_u32 s2, ttmp6, 0x40014
	s_lshr_b32 s3, ttmp7, 16
	s_add_co_i32 s2, s2, 1
	s_bfe_u32 s5, ttmp6, 0x40008
	s_mul_i32 s4, s3, s2
	s_getreg_b32 s2, hwreg(HW_REG_IB_STS2, 6, 4)
	s_add_co_i32 s5, s5, s4
	s_cmp_eq_u32 s2, 0
	s_mov_b32 s25, 0
	s_cselect_b32 s24, s3, s5
	s_wait_kmcnt 0x0
	s_cmp_ge_u32 s24, s33
	s_cbranch_scc1 .LBB475_35
; %bb.4:
	s_load_b32 s3, s[0:1], 0x0
	s_wait_xcnt 0x0
	s_bfe_u32 s1, ttmp6, 0x4000c
	s_bfe_u32 s4, ttmp6, 0x40010
	s_add_co_i32 s1, s1, 1
	s_and_b32 s5, ttmp7, 0xffff
	s_add_co_i32 s4, s4, 1
	v_and_b32_e32 v15, 0x3ff, v0
	v_bfe_u32 v20, v0, 10, 10
	s_and_b32 s0, ttmp6, 15
	s_mul_i32 s1, ttmp9, s1
	s_mul_i32 s4, s5, s4
	s_bfe_u32 s34, ttmp6, 0x40004
	s_add_co_i32 s0, s0, s1
	s_add_co_i32 s34, s34, s4
	s_cmp_eq_u32 s2, 0
	v_lshl_add_u32 v1, v20, 4, v15
	s_cselect_b32 s1, s5, s34
	s_cselect_b32 s0, ttmp9, s0
	s_lshl_b32 s1, s1, 5
	s_lshl_b32 s2, s0, 5
	v_dual_add_nc_u32 v16, s1, v20 :: v_dual_bitop2_b32 v3, 31, v1 bitop3:0x40
	v_lshrrev_b32_e32 v5, 3, v1
	v_cmp_neq_f64_e64 s37, s[10:11], 0
	v_cmp_neq_f64_e64 s34, s[6:7], 0
	s_delay_alu instid0(VALU_DEP_4) | instskip(NEXT) | instid1(VALU_DEP_4)
	v_dual_add_nc_u32 v18, 16, v16 :: v_dual_bitop2_b32 v12, s2, v3 bitop3:0x54
	v_dual_add_nc_u32 v4, s1, v5 :: v_dual_ashrrev_i32 v17, 31, v16
	s_delay_alu instid0(VALU_DEP_2) | instskip(NEXT) | instid1(VALU_DEP_3)
	v_dual_lshlrev_b32 v3, 3, v3 :: v_dual_ashrrev_i32 v13, 31, v12
	v_dual_ashrrev_i32 v19, 31, v18 :: v_dual_lshrrev_b32 v2, 5, v1
	v_and_b32_e32 v0, 7, v0
	s_delay_alu instid0(VALU_DEP_4) | instskip(NEXT) | instid1(VALU_DEP_4)
	v_mul_u64_e32 v[8:9], s[28:29], v[16:17]
	v_mul_u64_e32 v[6:7], s[14:15], v[12:13]
	s_delay_alu instid0(VALU_DEP_4)
	v_mul_u64_e32 v[10:11], s[28:29], v[18:19]
	s_wait_kmcnt 0x0
	v_cmp_gt_i32_e64 s0, s3, v12
	v_dual_lshlrev_b32 v1, 3, v0 :: v_dual_add_nc_u32 v12, s2, v15
	v_cmp_gt_i32_e32 vcc_lo, s3, v16
	v_cmp_gt_i64_e64 s14, s[8:9], 0
	v_cmp_gt_i32_e64 s1, s3, v4
	s_delay_alu instid0(VALU_DEP_4)
	v_lshl_or_b32 v5, v5, 6, v1
	v_cmp_le_i32_e64 s2, v12, v16
	v_dual_add_nc_u32 v14, 16, v12 :: v_dual_lshlrev_b32 v36, 3, v15
	v_cmp_gt_i32_e64 s3, s3, v18
	v_cmp_le_i32_e64 s4, v12, v18
	s_and_b32 s28, vcc_lo, s2
	v_cmp_le_i32_e64 s2, v14, v16
	v_cmp_le_i32_e64 s5, v14, v18
	v_lshl_or_b32 v1, v2, 8, v3
	v_add_nc_u32_e32 v3, 0x800, v5
	v_dual_ashrrev_i32 v5, 31, v4 :: v_dual_ashrrev_i32 v15, 31, v14
	v_lshl_add_u32 v37, v20, 6, 0x800
	v_dual_ashrrev_i32 v13, 31, v12 :: v_dual_mov_b32 v17, 0
	s_and_b32 s29, vcc_lo, s2
	s_and_b32 s35, s3, s4
	s_and_b32 s36, s3, s5
	;; [unrolled: 1-line block ×3, first 2 shown]
	s_lshl_b64 s[2:3], s[22:23], 3
	s_lshl_b64 s[4:5], s[16:17], 3
	;; [unrolled: 1-line block ×3, first 2 shown]
	s_branch .LBB475_6
.LBB475_5:                              ;   in Loop: Header=BB475_6 Depth=1
	s_wait_xcnt 0x0
	s_or_b32 exec_lo, exec_lo, s16
	s_add_co_i32 s24, s24, 0x10000
	s_delay_alu instid0(SALU_CYCLE_1)
	s_cmp_lt_u32 s24, s33
	s_cbranch_scc0 .LBB475_35
.LBB475_6:                              ; =>This Loop Header: Depth=1
                                        ;     Child Loop BB475_9 Depth 2
	v_mov_b32_e32 v16, s24
	v_mov_b64_e32 v[26:27], 0
	v_mov_b64_e32 v[22:23], 0
	v_mov_b64_e32 v[20:21], 0
	v_mov_b64_e32 v[18:19], 0
	global_load_b64 v[24:25], v16, s[26:27] scale_offset
	s_and_not1_b32 vcc_lo, exec_lo, s37
	s_cbranch_vccnz .LBB475_15
; %bb.7:                                ;   in Loop: Header=BB475_6 Depth=1
	s_lshl_b64 s[16:17], s[24:25], 3
	v_mov_b64_e32 v[22:23], 0
	s_add_nc_u64 s[22:23], s[12:13], s[16:17]
	s_add_nc_u64 s[16:17], s[18:19], s[16:17]
	s_clause 0x1
	global_load_b64 v[18:19], v17, s[22:23]
	global_load_b64 v[20:21], v17, s[16:17]
	v_mov_b64_e32 v[26:27], 0
	s_wait_xcnt 0x0
	s_mov_b64 s[16:17], 0
	s_wait_loadcnt 0x1
	v_add_nc_u64_e32 v[28:29], s[4:5], v[18:19]
	s_wait_loadcnt 0x0
	v_add_nc_u64_e32 v[30:31], s[2:3], v[20:21]
	v_mov_b64_e32 v[18:19], 0
	v_mov_b64_e32 v[20:21], 0
	s_delay_alu instid0(VALU_DEP_4) | instskip(NEXT) | instid1(VALU_DEP_4)
	v_lshl_add_u64 v[28:29], v[6:7], 3, v[28:29]
	v_lshl_add_u64 v[30:31], v[4:5], 3, v[30:31]
	s_branch .LBB475_9
.LBB475_8:                              ;   in Loop: Header=BB475_9 Depth=2
	s_wait_xcnt 0x0
	s_or_b32 exec_lo, exec_lo, s22
	s_wait_loadcnt_dscnt 0x0
	ds_store_b64 v3, v[34:35]
	s_wait_dscnt 0x0
	s_barrier_signal -1
	s_barrier_wait -1
	ds_load_b128 v[32:35], v37
	ds_load_2addr_b64 v[38:41], v36 offset1:16
	ds_load_b128 v[42:45], v37 offset:1024
	ds_load_b128 v[46:49], v37 offset:16
	;; [unrolled: 1-line block ×3, first 2 shown]
	s_add_nc_u64 s[16:17], s[16:17], 8
	s_delay_alu instid0(SALU_CYCLE_1)
	v_cmp_gt_i64_e64 s22, s[8:9], s[16:17]
	s_and_b32 vcc_lo, exec_lo, s22
	s_wait_dscnt 0x3
	v_fmac_f64_e32 v[26:27], v[38:39], v[32:33]
	v_fmac_f64_e32 v[22:23], v[40:41], v[32:33]
	s_wait_dscnt 0x2
	v_fmac_f64_e32 v[20:21], v[38:39], v[42:43]
	v_fmac_f64_e32 v[18:19], v[40:41], v[42:43]
	ds_load_2addr_b64 v[38:41], v36 offset0:32 offset1:48
	s_wait_dscnt 0x0
	v_fmac_f64_e32 v[26:27], v[38:39], v[34:35]
	v_fmac_f64_e32 v[22:23], v[40:41], v[34:35]
	v_fmac_f64_e32 v[20:21], v[38:39], v[44:45]
	v_fmac_f64_e32 v[18:19], v[40:41], v[44:45]
	ds_load_2addr_b64 v[32:35], v36 offset0:64 offset1:80
	s_wait_dscnt 0x0
	v_fmac_f64_e32 v[26:27], v[32:33], v[46:47]
	v_fmac_f64_e32 v[22:23], v[34:35], v[46:47]
	;; [unrolled: 6-line block ×3, first 2 shown]
	v_fmac_f64_e32 v[20:21], v[32:33], v[52:53]
	v_fmac_f64_e32 v[18:19], v[34:35], v[52:53]
	ds_load_b128 v[32:35], v37 offset:32
	ds_load_2addr_b64 v[38:41], v36 offset0:128 offset1:144
	ds_load_b128 v[42:45], v37 offset:1056
	ds_load_b128 v[46:49], v37 offset:48
	;; [unrolled: 1-line block ×3, first 2 shown]
	s_wait_dscnt 0x3
	v_fmac_f64_e32 v[26:27], v[38:39], v[32:33]
	v_fmac_f64_e32 v[22:23], v[40:41], v[32:33]
	s_wait_dscnt 0x2
	v_fmac_f64_e32 v[20:21], v[38:39], v[42:43]
	v_fmac_f64_e32 v[18:19], v[40:41], v[42:43]
	ds_load_2addr_b64 v[38:41], v36 offset0:160 offset1:176
	s_wait_dscnt 0x0
	v_fmac_f64_e32 v[26:27], v[38:39], v[34:35]
	v_fmac_f64_e32 v[22:23], v[40:41], v[34:35]
	;; [unrolled: 1-line block ×4, first 2 shown]
	ds_load_2addr_b64 v[32:35], v36 offset0:192 offset1:208
	s_wait_dscnt 0x0
	v_fmac_f64_e32 v[26:27], v[32:33], v[46:47]
	v_fmac_f64_e32 v[22:23], v[34:35], v[46:47]
	;; [unrolled: 1-line block ×4, first 2 shown]
	ds_load_2addr_b64 v[32:35], v36 offset0:224 offset1:240
	s_wait_dscnt 0x0
	s_barrier_signal -1
	s_barrier_wait -1
	v_fmac_f64_e32 v[26:27], v[32:33], v[48:49]
	v_fmac_f64_e32 v[22:23], v[34:35], v[48:49]
	;; [unrolled: 1-line block ×4, first 2 shown]
	s_cbranch_vccz .LBB475_15
.LBB475_9:                              ;   Parent Loop BB475_6 Depth=1
                                        ; =>  This Inner Loop Header: Depth=2
	v_mov_b64_e32 v[32:33], 0
	s_and_saveexec_b32 s22, s0
	s_cbranch_execz .LBB475_13
; %bb.10:                               ;   in Loop: Header=BB475_9 Depth=2
	v_mov_b64_e32 v[32:33], 0
	v_add_nc_u32_e32 v16, s16, v2
	s_mov_b32 s23, exec_lo
	s_delay_alu instid0(VALU_DEP_1)
	v_cmpx_gt_u64_e64 s[8:9], v[16:17]
	s_cbranch_execz .LBB475_12
; %bb.11:                               ;   in Loop: Header=BB475_9 Depth=2
	v_lshl_add_u64 v[32:33], v[16:17], 3, v[28:29]
	flat_load_b64 v[32:33], v[32:33]
.LBB475_12:                             ;   in Loop: Header=BB475_9 Depth=2
	s_wait_xcnt 0x0
	s_or_b32 exec_lo, exec_lo, s23
.LBB475_13:                             ;   in Loop: Header=BB475_9 Depth=2
	s_delay_alu instid0(SALU_CYCLE_1)
	s_or_b32 exec_lo, exec_lo, s22
	v_add_nc_u32_e32 v16, s16, v0
	v_mov_b64_e32 v[34:35], 0
	s_wait_loadcnt_dscnt 0x0
	ds_store_b64 v1, v[32:33]
	v_cmp_gt_u64_e32 vcc_lo, s[8:9], v[16:17]
	s_and_b32 s23, vcc_lo, s1
	s_delay_alu instid0(SALU_CYCLE_1)
	s_and_saveexec_b32 s22, s23
	s_cbranch_execz .LBB475_8
; %bb.14:                               ;   in Loop: Header=BB475_9 Depth=2
	v_mul_u64_e32 v[32:33], s[20:21], v[16:17]
	s_delay_alu instid0(VALU_DEP_1)
	v_lshl_add_u64 v[32:33], v[32:33], 3, v[30:31]
	flat_load_b64 v[34:35], v[32:33]
	s_branch .LBB475_8
.LBB475_15:                             ;   in Loop: Header=BB475_6 Depth=1
	s_wait_loadcnt 0x0
	v_add_nc_u64_e32 v[24:25], s[14:15], v[24:25]
	s_delay_alu instid0(VALU_DEP_1)
	v_lshl_add_u64 v[28:29], v[8:9], 3, v[24:25]
	s_wait_xcnt 0x0
	s_and_saveexec_b32 s16, s28
	s_cbranch_execz .LBB475_19
; %bb.16:                               ;   in Loop: Header=BB475_6 Depth=1
	v_mul_f64_e32 v[26:27], s[10:11], v[26:27]
	v_lshl_add_u64 v[30:31], v[12:13], 3, v[28:29]
	s_and_b32 vcc_lo, exec_lo, s34
	s_cbranch_vccz .LBB475_30
; %bb.17:                               ;   in Loop: Header=BB475_6 Depth=1
	flat_load_b64 v[32:33], v[30:31]
	s_wait_loadcnt_dscnt 0x0
	v_fma_f64 v[32:33], s[6:7], v[32:33], v[26:27]
	flat_store_b64 v[30:31], v[32:33]
	s_cbranch_execnz .LBB475_19
.LBB475_18:                             ;   in Loop: Header=BB475_6 Depth=1
	flat_store_b64 v[30:31], v[26:27]
.LBB475_19:                             ;   in Loop: Header=BB475_6 Depth=1
	s_wait_xcnt 0x0
	s_or_b32 exec_lo, exec_lo, s16
	s_and_saveexec_b32 s16, s29
	s_cbranch_execz .LBB475_23
; %bb.20:                               ;   in Loop: Header=BB475_6 Depth=1
	v_mul_f64_e32 v[22:23], s[10:11], v[22:23]
	v_lshl_add_u64 v[26:27], v[14:15], 3, v[28:29]
	s_and_not1_b32 vcc_lo, exec_lo, s34
	s_cbranch_vccnz .LBB475_31
; %bb.21:                               ;   in Loop: Header=BB475_6 Depth=1
	flat_load_b64 v[28:29], v[26:27]
	s_wait_loadcnt_dscnt 0x0
	v_fma_f64 v[28:29], s[6:7], v[28:29], v[22:23]
	flat_store_b64 v[26:27], v[28:29]
	s_cbranch_execnz .LBB475_23
.LBB475_22:                             ;   in Loop: Header=BB475_6 Depth=1
	flat_store_b64 v[26:27], v[22:23]
.LBB475_23:                             ;   in Loop: Header=BB475_6 Depth=1
	s_wait_xcnt 0x0
	s_or_b32 exec_lo, exec_lo, s16
	v_lshl_add_u64 v[22:23], v[10:11], 3, v[24:25]
	s_and_saveexec_b32 s16, s35
	s_cbranch_execz .LBB475_27
; %bb.24:                               ;   in Loop: Header=BB475_6 Depth=1
	v_mul_f64_e32 v[20:21], s[10:11], v[20:21]
	s_delay_alu instid0(VALU_DEP_2)
	v_lshl_add_u64 v[24:25], v[12:13], 3, v[22:23]
	s_and_not1_b32 vcc_lo, exec_lo, s34
	s_cbranch_vccnz .LBB475_32
; %bb.25:                               ;   in Loop: Header=BB475_6 Depth=1
	flat_load_b64 v[26:27], v[24:25]
	s_wait_loadcnt_dscnt 0x0
	v_fma_f64 v[26:27], s[6:7], v[26:27], v[20:21]
	flat_store_b64 v[24:25], v[26:27]
	s_cbranch_execnz .LBB475_27
.LBB475_26:                             ;   in Loop: Header=BB475_6 Depth=1
	flat_store_b64 v[24:25], v[20:21]
.LBB475_27:                             ;   in Loop: Header=BB475_6 Depth=1
	s_wait_xcnt 0x0
	s_or_b32 exec_lo, exec_lo, s16
	s_and_saveexec_b32 s16, s36
	s_cbranch_execz .LBB475_5
; %bb.28:                               ;   in Loop: Header=BB475_6 Depth=1
	s_delay_alu instid0(VALU_DEP_4)
	v_mul_f64_e32 v[18:19], s[10:11], v[18:19]
	v_lshl_add_u64 v[20:21], v[14:15], 3, v[22:23]
	s_and_not1_b32 vcc_lo, exec_lo, s34
	s_cbranch_vccnz .LBB475_33
; %bb.29:                               ;   in Loop: Header=BB475_6 Depth=1
	flat_load_b64 v[22:23], v[20:21]
	s_wait_loadcnt_dscnt 0x0
	v_fma_f64 v[22:23], s[6:7], v[22:23], v[18:19]
	flat_store_b64 v[20:21], v[22:23]
	s_cbranch_execnz .LBB475_5
	s_branch .LBB475_34
.LBB475_30:                             ;   in Loop: Header=BB475_6 Depth=1
	s_branch .LBB475_18
.LBB475_31:                             ;   in Loop: Header=BB475_6 Depth=1
	s_branch .LBB475_22
.LBB475_32:                             ;   in Loop: Header=BB475_6 Depth=1
	s_branch .LBB475_26
.LBB475_33:                             ;   in Loop: Header=BB475_6 Depth=1
.LBB475_34:                             ;   in Loop: Header=BB475_6 Depth=1
	flat_store_b64 v[20:21], v[18:19]
	s_branch .LBB475_5
.LBB475_35:
	s_endpgm
	.section	.rodata,"a",@progbits
	.p2align	6, 0x0
	.amdhsa_kernel _ZL29rocblas_internal_gemmt_kernelIlLi16ELi32ELi8ELc67ELc84ELc85ELb0ELb0EdPKdPKS1_PKPdEviT_T9_T10_S7_lS9_S7_lS8_T11_S7_li
		.amdhsa_group_segment_fixed_size 4096
		.amdhsa_private_segment_fixed_size 0
		.amdhsa_kernarg_size 108
		.amdhsa_user_sgpr_count 2
		.amdhsa_user_sgpr_dispatch_ptr 0
		.amdhsa_user_sgpr_queue_ptr 0
		.amdhsa_user_sgpr_kernarg_segment_ptr 1
		.amdhsa_user_sgpr_dispatch_id 0
		.amdhsa_user_sgpr_kernarg_preload_length 0
		.amdhsa_user_sgpr_kernarg_preload_offset 0
		.amdhsa_user_sgpr_private_segment_size 0
		.amdhsa_wavefront_size32 1
		.amdhsa_uses_dynamic_stack 0
		.amdhsa_enable_private_segment 0
		.amdhsa_system_sgpr_workgroup_id_x 1
		.amdhsa_system_sgpr_workgroup_id_y 1
		.amdhsa_system_sgpr_workgroup_id_z 1
		.amdhsa_system_sgpr_workgroup_info 0
		.amdhsa_system_vgpr_workitem_id 1
		.amdhsa_next_free_vgpr 54
		.amdhsa_next_free_sgpr 38
		.amdhsa_named_barrier_count 0
		.amdhsa_reserve_vcc 1
		.amdhsa_float_round_mode_32 0
		.amdhsa_float_round_mode_16_64 0
		.amdhsa_float_denorm_mode_32 3
		.amdhsa_float_denorm_mode_16_64 3
		.amdhsa_fp16_overflow 0
		.amdhsa_memory_ordered 1
		.amdhsa_forward_progress 1
		.amdhsa_inst_pref_size 14
		.amdhsa_round_robin_scheduling 0
		.amdhsa_exception_fp_ieee_invalid_op 0
		.amdhsa_exception_fp_denorm_src 0
		.amdhsa_exception_fp_ieee_div_zero 0
		.amdhsa_exception_fp_ieee_overflow 0
		.amdhsa_exception_fp_ieee_underflow 0
		.amdhsa_exception_fp_ieee_inexact 0
		.amdhsa_exception_int_div_zero 0
	.end_amdhsa_kernel
	.section	.text._ZL29rocblas_internal_gemmt_kernelIlLi16ELi32ELi8ELc67ELc84ELc85ELb0ELb0EdPKdPKS1_PKPdEviT_T9_T10_S7_lS9_S7_lS8_T11_S7_li,"axG",@progbits,_ZL29rocblas_internal_gemmt_kernelIlLi16ELi32ELi8ELc67ELc84ELc85ELb0ELb0EdPKdPKS1_PKPdEviT_T9_T10_S7_lS9_S7_lS8_T11_S7_li,comdat
.Lfunc_end475:
	.size	_ZL29rocblas_internal_gemmt_kernelIlLi16ELi32ELi8ELc67ELc84ELc85ELb0ELb0EdPKdPKS1_PKPdEviT_T9_T10_S7_lS9_S7_lS8_T11_S7_li, .Lfunc_end475-_ZL29rocblas_internal_gemmt_kernelIlLi16ELi32ELi8ELc67ELc84ELc85ELb0ELb0EdPKdPKS1_PKPdEviT_T9_T10_S7_lS9_S7_lS8_T11_S7_li
                                        ; -- End function
	.set _ZL29rocblas_internal_gemmt_kernelIlLi16ELi32ELi8ELc67ELc84ELc85ELb0ELb0EdPKdPKS1_PKPdEviT_T9_T10_S7_lS9_S7_lS8_T11_S7_li.num_vgpr, 54
	.set _ZL29rocblas_internal_gemmt_kernelIlLi16ELi32ELi8ELc67ELc84ELc85ELb0ELb0EdPKdPKS1_PKPdEviT_T9_T10_S7_lS9_S7_lS8_T11_S7_li.num_agpr, 0
	.set _ZL29rocblas_internal_gemmt_kernelIlLi16ELi32ELi8ELc67ELc84ELc85ELb0ELb0EdPKdPKS1_PKPdEviT_T9_T10_S7_lS9_S7_lS8_T11_S7_li.numbered_sgpr, 38
	.set _ZL29rocblas_internal_gemmt_kernelIlLi16ELi32ELi8ELc67ELc84ELc85ELb0ELb0EdPKdPKS1_PKPdEviT_T9_T10_S7_lS9_S7_lS8_T11_S7_li.num_named_barrier, 0
	.set _ZL29rocblas_internal_gemmt_kernelIlLi16ELi32ELi8ELc67ELc84ELc85ELb0ELb0EdPKdPKS1_PKPdEviT_T9_T10_S7_lS9_S7_lS8_T11_S7_li.private_seg_size, 0
	.set _ZL29rocblas_internal_gemmt_kernelIlLi16ELi32ELi8ELc67ELc84ELc85ELb0ELb0EdPKdPKS1_PKPdEviT_T9_T10_S7_lS9_S7_lS8_T11_S7_li.uses_vcc, 1
	.set _ZL29rocblas_internal_gemmt_kernelIlLi16ELi32ELi8ELc67ELc84ELc85ELb0ELb0EdPKdPKS1_PKPdEviT_T9_T10_S7_lS9_S7_lS8_T11_S7_li.uses_flat_scratch, 0
	.set _ZL29rocblas_internal_gemmt_kernelIlLi16ELi32ELi8ELc67ELc84ELc85ELb0ELb0EdPKdPKS1_PKPdEviT_T9_T10_S7_lS9_S7_lS8_T11_S7_li.has_dyn_sized_stack, 0
	.set _ZL29rocblas_internal_gemmt_kernelIlLi16ELi32ELi8ELc67ELc84ELc85ELb0ELb0EdPKdPKS1_PKPdEviT_T9_T10_S7_lS9_S7_lS8_T11_S7_li.has_recursion, 0
	.set _ZL29rocblas_internal_gemmt_kernelIlLi16ELi32ELi8ELc67ELc84ELc85ELb0ELb0EdPKdPKS1_PKPdEviT_T9_T10_S7_lS9_S7_lS8_T11_S7_li.has_indirect_call, 0
	.section	.AMDGPU.csdata,"",@progbits
; Kernel info:
; codeLenInByte = 1676
; TotalNumSgprs: 40
; NumVgprs: 54
; ScratchSize: 0
; MemoryBound: 0
; FloatMode: 240
; IeeeMode: 1
; LDSByteSize: 4096 bytes/workgroup (compile time only)
; SGPRBlocks: 0
; VGPRBlocks: 3
; NumSGPRsForWavesPerEU: 40
; NumVGPRsForWavesPerEU: 54
; NamedBarCnt: 0
; Occupancy: 16
; WaveLimiterHint : 1
; COMPUTE_PGM_RSRC2:SCRATCH_EN: 0
; COMPUTE_PGM_RSRC2:USER_SGPR: 2
; COMPUTE_PGM_RSRC2:TRAP_HANDLER: 0
; COMPUTE_PGM_RSRC2:TGID_X_EN: 1
; COMPUTE_PGM_RSRC2:TGID_Y_EN: 1
; COMPUTE_PGM_RSRC2:TGID_Z_EN: 1
; COMPUTE_PGM_RSRC2:TIDIG_COMP_CNT: 1
	.section	.text._ZL29rocblas_internal_gemmt_kernelIlLi16ELi32ELi8ELc67ELc67ELc85ELb0ELb0EdPKdPKS1_PKPdEviT_T9_T10_S7_lS9_S7_lS8_T11_S7_li,"axG",@progbits,_ZL29rocblas_internal_gemmt_kernelIlLi16ELi32ELi8ELc67ELc67ELc85ELb0ELb0EdPKdPKS1_PKPdEviT_T9_T10_S7_lS9_S7_lS8_T11_S7_li,comdat
	.globl	_ZL29rocblas_internal_gemmt_kernelIlLi16ELi32ELi8ELc67ELc67ELc85ELb0ELb0EdPKdPKS1_PKPdEviT_T9_T10_S7_lS9_S7_lS8_T11_S7_li ; -- Begin function _ZL29rocblas_internal_gemmt_kernelIlLi16ELi32ELi8ELc67ELc67ELc85ELb0ELb0EdPKdPKS1_PKPdEviT_T9_T10_S7_lS9_S7_lS8_T11_S7_li
	.p2align	8
	.type	_ZL29rocblas_internal_gemmt_kernelIlLi16ELi32ELi8ELc67ELc67ELc85ELb0ELb0EdPKdPKS1_PKPdEviT_T9_T10_S7_lS9_S7_lS8_T11_S7_li,@function
_ZL29rocblas_internal_gemmt_kernelIlLi16ELi32ELi8ELc67ELc67ELc85ELb0ELb0EdPKdPKS1_PKPdEviT_T9_T10_S7_lS9_S7_lS8_T11_S7_li: ; @_ZL29rocblas_internal_gemmt_kernelIlLi16ELi32ELi8ELc67ELc67ELc85ELb0ELb0EdPKdPKS1_PKPdEviT_T9_T10_S7_lS9_S7_lS8_T11_S7_li
; %bb.0:
	s_load_b256 s[24:31], s[0:1], 0x48
	s_wait_kmcnt 0x0
	s_load_b64 s[6:7], s[24:25], 0x0
	s_load_b512 s[8:23], s[0:1], 0x8
	s_wait_kmcnt 0x0
	v_cmp_neq_f64_e64 s2, s[6:7], 1.0
	s_load_b64 s[10:11], s[10:11], 0x0
	s_and_b32 vcc_lo, exec_lo, s2
	s_cbranch_vccnz .LBB476_2
; %bb.1:
	s_wait_kmcnt 0x0
	v_cmp_neq_f64_e64 s2, s[10:11], 0
	s_cmp_lg_u64 s[8:9], 0
	s_cselect_b32 s3, -1, 0
	s_delay_alu instid0(SALU_CYCLE_1)
	s_and_b32 s2, s3, s2
.LBB476_2:
	s_delay_alu instid0(SALU_CYCLE_1)
	s_and_not1_b32 vcc_lo, exec_lo, s2
	s_cbranch_vccnz .LBB476_35
; %bb.3:
	s_load_b32 s33, s[0:1], 0x68
	s_bfe_u32 s2, ttmp6, 0x40014
	s_lshr_b32 s3, ttmp7, 16
	s_add_co_i32 s2, s2, 1
	s_bfe_u32 s5, ttmp6, 0x40008
	s_mul_i32 s4, s3, s2
	s_getreg_b32 s2, hwreg(HW_REG_IB_STS2, 6, 4)
	s_add_co_i32 s5, s5, s4
	s_cmp_eq_u32 s2, 0
	s_mov_b32 s25, 0
	s_cselect_b32 s24, s3, s5
	s_wait_kmcnt 0x0
	s_cmp_ge_u32 s24, s33
	s_cbranch_scc1 .LBB476_35
; %bb.4:
	s_load_b32 s3, s[0:1], 0x0
	s_wait_xcnt 0x0
	s_bfe_u32 s1, ttmp6, 0x4000c
	s_bfe_u32 s4, ttmp6, 0x40010
	s_add_co_i32 s1, s1, 1
	s_and_b32 s5, ttmp7, 0xffff
	s_add_co_i32 s4, s4, 1
	v_and_b32_e32 v15, 0x3ff, v0
	v_bfe_u32 v20, v0, 10, 10
	s_and_b32 s0, ttmp6, 15
	s_mul_i32 s1, ttmp9, s1
	s_mul_i32 s4, s5, s4
	s_bfe_u32 s34, ttmp6, 0x40004
	s_add_co_i32 s0, s0, s1
	s_add_co_i32 s34, s34, s4
	s_cmp_eq_u32 s2, 0
	v_lshl_add_u32 v1, v20, 4, v15
	s_cselect_b32 s1, s5, s34
	s_cselect_b32 s0, ttmp9, s0
	s_lshl_b32 s1, s1, 5
	s_lshl_b32 s2, s0, 5
	v_dual_add_nc_u32 v16, s1, v20 :: v_dual_bitop2_b32 v3, 31, v1 bitop3:0x40
	v_lshrrev_b32_e32 v5, 3, v1
	v_cmp_neq_f64_e64 s37, s[10:11], 0
	v_cmp_neq_f64_e64 s34, s[6:7], 0
	s_delay_alu instid0(VALU_DEP_4) | instskip(NEXT) | instid1(VALU_DEP_4)
	v_dual_add_nc_u32 v18, 16, v16 :: v_dual_bitop2_b32 v12, s2, v3 bitop3:0x54
	v_dual_add_nc_u32 v4, s1, v5 :: v_dual_ashrrev_i32 v17, 31, v16
	s_delay_alu instid0(VALU_DEP_2) | instskip(NEXT) | instid1(VALU_DEP_3)
	v_dual_lshlrev_b32 v3, 3, v3 :: v_dual_ashrrev_i32 v13, 31, v12
	v_dual_ashrrev_i32 v19, 31, v18 :: v_dual_lshrrev_b32 v2, 5, v1
	v_and_b32_e32 v0, 7, v0
	s_delay_alu instid0(VALU_DEP_4) | instskip(NEXT) | instid1(VALU_DEP_4)
	v_mul_u64_e32 v[8:9], s[28:29], v[16:17]
	v_mul_u64_e32 v[6:7], s[14:15], v[12:13]
	s_delay_alu instid0(VALU_DEP_4)
	v_mul_u64_e32 v[10:11], s[28:29], v[18:19]
	s_wait_kmcnt 0x0
	v_cmp_gt_i32_e64 s0, s3, v12
	v_dual_lshlrev_b32 v1, 3, v0 :: v_dual_add_nc_u32 v12, s2, v15
	v_cmp_gt_i32_e32 vcc_lo, s3, v16
	v_cmp_gt_i64_e64 s14, s[8:9], 0
	v_cmp_gt_i32_e64 s1, s3, v4
	s_delay_alu instid0(VALU_DEP_4)
	v_lshl_or_b32 v5, v5, 6, v1
	v_cmp_le_i32_e64 s2, v12, v16
	v_dual_add_nc_u32 v14, 16, v12 :: v_dual_lshlrev_b32 v36, 3, v15
	v_cmp_gt_i32_e64 s3, s3, v18
	v_cmp_le_i32_e64 s4, v12, v18
	s_and_b32 s28, vcc_lo, s2
	v_cmp_le_i32_e64 s2, v14, v16
	v_cmp_le_i32_e64 s5, v14, v18
	v_lshl_or_b32 v1, v2, 8, v3
	v_add_nc_u32_e32 v3, 0x800, v5
	v_dual_ashrrev_i32 v5, 31, v4 :: v_dual_ashrrev_i32 v15, 31, v14
	v_lshl_add_u32 v37, v20, 6, 0x800
	v_dual_ashrrev_i32 v13, 31, v12 :: v_dual_mov_b32 v17, 0
	s_and_b32 s29, vcc_lo, s2
	s_and_b32 s35, s3, s4
	s_and_b32 s36, s3, s5
	;; [unrolled: 1-line block ×3, first 2 shown]
	s_lshl_b64 s[2:3], s[22:23], 3
	s_lshl_b64 s[4:5], s[16:17], 3
	;; [unrolled: 1-line block ×3, first 2 shown]
	s_branch .LBB476_6
.LBB476_5:                              ;   in Loop: Header=BB476_6 Depth=1
	s_wait_xcnt 0x0
	s_or_b32 exec_lo, exec_lo, s16
	s_add_co_i32 s24, s24, 0x10000
	s_delay_alu instid0(SALU_CYCLE_1)
	s_cmp_lt_u32 s24, s33
	s_cbranch_scc0 .LBB476_35
.LBB476_6:                              ; =>This Loop Header: Depth=1
                                        ;     Child Loop BB476_9 Depth 2
	v_mov_b32_e32 v16, s24
	v_mov_b64_e32 v[26:27], 0
	v_mov_b64_e32 v[22:23], 0
	;; [unrolled: 1-line block ×4, first 2 shown]
	global_load_b64 v[24:25], v16, s[26:27] scale_offset
	s_and_not1_b32 vcc_lo, exec_lo, s37
	s_cbranch_vccnz .LBB476_15
; %bb.7:                                ;   in Loop: Header=BB476_6 Depth=1
	s_lshl_b64 s[16:17], s[24:25], 3
	v_mov_b64_e32 v[22:23], 0
	s_add_nc_u64 s[22:23], s[12:13], s[16:17]
	s_add_nc_u64 s[16:17], s[18:19], s[16:17]
	s_clause 0x1
	global_load_b64 v[18:19], v17, s[22:23]
	global_load_b64 v[20:21], v17, s[16:17]
	v_mov_b64_e32 v[26:27], 0
	s_wait_xcnt 0x0
	s_mov_b64 s[16:17], 0
	s_wait_loadcnt 0x1
	v_add_nc_u64_e32 v[28:29], s[4:5], v[18:19]
	s_wait_loadcnt 0x0
	v_add_nc_u64_e32 v[30:31], s[2:3], v[20:21]
	v_mov_b64_e32 v[18:19], 0
	v_mov_b64_e32 v[20:21], 0
	s_delay_alu instid0(VALU_DEP_4) | instskip(NEXT) | instid1(VALU_DEP_4)
	v_lshl_add_u64 v[28:29], v[6:7], 3, v[28:29]
	v_lshl_add_u64 v[30:31], v[4:5], 3, v[30:31]
	s_branch .LBB476_9
.LBB476_8:                              ;   in Loop: Header=BB476_9 Depth=2
	s_wait_xcnt 0x0
	s_or_b32 exec_lo, exec_lo, s22
	s_wait_loadcnt_dscnt 0x0
	ds_store_b64 v3, v[34:35]
	s_wait_dscnt 0x0
	s_barrier_signal -1
	s_barrier_wait -1
	ds_load_b128 v[32:35], v37
	ds_load_2addr_b64 v[38:41], v36 offset1:16
	ds_load_b128 v[42:45], v37 offset:1024
	ds_load_b128 v[46:49], v37 offset:16
	ds_load_b128 v[50:53], v37 offset:1040
	s_add_nc_u64 s[16:17], s[16:17], 8
	s_delay_alu instid0(SALU_CYCLE_1)
	v_cmp_gt_i64_e64 s22, s[8:9], s[16:17]
	s_and_b32 vcc_lo, exec_lo, s22
	s_wait_dscnt 0x3
	v_fmac_f64_e32 v[26:27], v[38:39], v[32:33]
	v_fmac_f64_e32 v[22:23], v[40:41], v[32:33]
	s_wait_dscnt 0x2
	v_fmac_f64_e32 v[20:21], v[38:39], v[42:43]
	v_fmac_f64_e32 v[18:19], v[40:41], v[42:43]
	ds_load_2addr_b64 v[38:41], v36 offset0:32 offset1:48
	s_wait_dscnt 0x0
	v_fmac_f64_e32 v[26:27], v[38:39], v[34:35]
	v_fmac_f64_e32 v[22:23], v[40:41], v[34:35]
	v_fmac_f64_e32 v[20:21], v[38:39], v[44:45]
	v_fmac_f64_e32 v[18:19], v[40:41], v[44:45]
	ds_load_2addr_b64 v[32:35], v36 offset0:64 offset1:80
	s_wait_dscnt 0x0
	v_fmac_f64_e32 v[26:27], v[32:33], v[46:47]
	v_fmac_f64_e32 v[22:23], v[34:35], v[46:47]
	;; [unrolled: 6-line block ×3, first 2 shown]
	v_fmac_f64_e32 v[20:21], v[32:33], v[52:53]
	v_fmac_f64_e32 v[18:19], v[34:35], v[52:53]
	ds_load_b128 v[32:35], v37 offset:32
	ds_load_2addr_b64 v[38:41], v36 offset0:128 offset1:144
	ds_load_b128 v[42:45], v37 offset:1056
	ds_load_b128 v[46:49], v37 offset:48
	;; [unrolled: 1-line block ×3, first 2 shown]
	s_wait_dscnt 0x3
	v_fmac_f64_e32 v[26:27], v[38:39], v[32:33]
	v_fmac_f64_e32 v[22:23], v[40:41], v[32:33]
	s_wait_dscnt 0x2
	v_fmac_f64_e32 v[20:21], v[38:39], v[42:43]
	v_fmac_f64_e32 v[18:19], v[40:41], v[42:43]
	ds_load_2addr_b64 v[38:41], v36 offset0:160 offset1:176
	s_wait_dscnt 0x0
	v_fmac_f64_e32 v[26:27], v[38:39], v[34:35]
	v_fmac_f64_e32 v[22:23], v[40:41], v[34:35]
	;; [unrolled: 1-line block ×4, first 2 shown]
	ds_load_2addr_b64 v[32:35], v36 offset0:192 offset1:208
	s_wait_dscnt 0x0
	v_fmac_f64_e32 v[26:27], v[32:33], v[46:47]
	v_fmac_f64_e32 v[22:23], v[34:35], v[46:47]
	;; [unrolled: 1-line block ×4, first 2 shown]
	ds_load_2addr_b64 v[32:35], v36 offset0:224 offset1:240
	s_wait_dscnt 0x0
	s_barrier_signal -1
	s_barrier_wait -1
	v_fmac_f64_e32 v[26:27], v[32:33], v[48:49]
	v_fmac_f64_e32 v[22:23], v[34:35], v[48:49]
	;; [unrolled: 1-line block ×4, first 2 shown]
	s_cbranch_vccz .LBB476_15
.LBB476_9:                              ;   Parent Loop BB476_6 Depth=1
                                        ; =>  This Inner Loop Header: Depth=2
	v_mov_b64_e32 v[32:33], 0
	s_and_saveexec_b32 s22, s0
	s_cbranch_execz .LBB476_13
; %bb.10:                               ;   in Loop: Header=BB476_9 Depth=2
	v_mov_b64_e32 v[32:33], 0
	v_add_nc_u32_e32 v16, s16, v2
	s_mov_b32 s23, exec_lo
	s_delay_alu instid0(VALU_DEP_1)
	v_cmpx_gt_u64_e64 s[8:9], v[16:17]
	s_cbranch_execz .LBB476_12
; %bb.11:                               ;   in Loop: Header=BB476_9 Depth=2
	v_lshl_add_u64 v[32:33], v[16:17], 3, v[28:29]
	flat_load_b64 v[32:33], v[32:33]
.LBB476_12:                             ;   in Loop: Header=BB476_9 Depth=2
	s_wait_xcnt 0x0
	s_or_b32 exec_lo, exec_lo, s23
.LBB476_13:                             ;   in Loop: Header=BB476_9 Depth=2
	s_delay_alu instid0(SALU_CYCLE_1)
	s_or_b32 exec_lo, exec_lo, s22
	v_add_nc_u32_e32 v16, s16, v0
	v_mov_b64_e32 v[34:35], 0
	s_wait_loadcnt_dscnt 0x0
	ds_store_b64 v1, v[32:33]
	v_cmp_gt_u64_e32 vcc_lo, s[8:9], v[16:17]
	s_and_b32 s23, vcc_lo, s1
	s_delay_alu instid0(SALU_CYCLE_1)
	s_and_saveexec_b32 s22, s23
	s_cbranch_execz .LBB476_8
; %bb.14:                               ;   in Loop: Header=BB476_9 Depth=2
	v_mul_u64_e32 v[32:33], s[20:21], v[16:17]
	s_delay_alu instid0(VALU_DEP_1)
	v_lshl_add_u64 v[32:33], v[32:33], 3, v[30:31]
	flat_load_b64 v[34:35], v[32:33]
	s_branch .LBB476_8
.LBB476_15:                             ;   in Loop: Header=BB476_6 Depth=1
	s_wait_loadcnt 0x0
	v_add_nc_u64_e32 v[24:25], s[14:15], v[24:25]
	s_delay_alu instid0(VALU_DEP_1)
	v_lshl_add_u64 v[28:29], v[8:9], 3, v[24:25]
	s_wait_xcnt 0x0
	s_and_saveexec_b32 s16, s28
	s_cbranch_execz .LBB476_19
; %bb.16:                               ;   in Loop: Header=BB476_6 Depth=1
	v_mul_f64_e32 v[26:27], s[10:11], v[26:27]
	v_lshl_add_u64 v[30:31], v[12:13], 3, v[28:29]
	s_and_b32 vcc_lo, exec_lo, s34
	s_cbranch_vccz .LBB476_30
; %bb.17:                               ;   in Loop: Header=BB476_6 Depth=1
	flat_load_b64 v[32:33], v[30:31]
	s_wait_loadcnt_dscnt 0x0
	v_fma_f64 v[32:33], s[6:7], v[32:33], v[26:27]
	flat_store_b64 v[30:31], v[32:33]
	s_cbranch_execnz .LBB476_19
.LBB476_18:                             ;   in Loop: Header=BB476_6 Depth=1
	flat_store_b64 v[30:31], v[26:27]
.LBB476_19:                             ;   in Loop: Header=BB476_6 Depth=1
	s_wait_xcnt 0x0
	s_or_b32 exec_lo, exec_lo, s16
	s_and_saveexec_b32 s16, s29
	s_cbranch_execz .LBB476_23
; %bb.20:                               ;   in Loop: Header=BB476_6 Depth=1
	v_mul_f64_e32 v[22:23], s[10:11], v[22:23]
	v_lshl_add_u64 v[26:27], v[14:15], 3, v[28:29]
	s_and_not1_b32 vcc_lo, exec_lo, s34
	s_cbranch_vccnz .LBB476_31
; %bb.21:                               ;   in Loop: Header=BB476_6 Depth=1
	flat_load_b64 v[28:29], v[26:27]
	s_wait_loadcnt_dscnt 0x0
	v_fma_f64 v[28:29], s[6:7], v[28:29], v[22:23]
	flat_store_b64 v[26:27], v[28:29]
	s_cbranch_execnz .LBB476_23
.LBB476_22:                             ;   in Loop: Header=BB476_6 Depth=1
	flat_store_b64 v[26:27], v[22:23]
.LBB476_23:                             ;   in Loop: Header=BB476_6 Depth=1
	s_wait_xcnt 0x0
	s_or_b32 exec_lo, exec_lo, s16
	v_lshl_add_u64 v[22:23], v[10:11], 3, v[24:25]
	s_and_saveexec_b32 s16, s35
	s_cbranch_execz .LBB476_27
; %bb.24:                               ;   in Loop: Header=BB476_6 Depth=1
	v_mul_f64_e32 v[20:21], s[10:11], v[20:21]
	s_delay_alu instid0(VALU_DEP_2)
	v_lshl_add_u64 v[24:25], v[12:13], 3, v[22:23]
	s_and_not1_b32 vcc_lo, exec_lo, s34
	s_cbranch_vccnz .LBB476_32
; %bb.25:                               ;   in Loop: Header=BB476_6 Depth=1
	flat_load_b64 v[26:27], v[24:25]
	s_wait_loadcnt_dscnt 0x0
	v_fma_f64 v[26:27], s[6:7], v[26:27], v[20:21]
	flat_store_b64 v[24:25], v[26:27]
	s_cbranch_execnz .LBB476_27
.LBB476_26:                             ;   in Loop: Header=BB476_6 Depth=1
	flat_store_b64 v[24:25], v[20:21]
.LBB476_27:                             ;   in Loop: Header=BB476_6 Depth=1
	s_wait_xcnt 0x0
	s_or_b32 exec_lo, exec_lo, s16
	s_and_saveexec_b32 s16, s36
	s_cbranch_execz .LBB476_5
; %bb.28:                               ;   in Loop: Header=BB476_6 Depth=1
	s_delay_alu instid0(VALU_DEP_4)
	v_mul_f64_e32 v[18:19], s[10:11], v[18:19]
	v_lshl_add_u64 v[20:21], v[14:15], 3, v[22:23]
	s_and_not1_b32 vcc_lo, exec_lo, s34
	s_cbranch_vccnz .LBB476_33
; %bb.29:                               ;   in Loop: Header=BB476_6 Depth=1
	flat_load_b64 v[22:23], v[20:21]
	s_wait_loadcnt_dscnt 0x0
	v_fma_f64 v[22:23], s[6:7], v[22:23], v[18:19]
	flat_store_b64 v[20:21], v[22:23]
	s_cbranch_execnz .LBB476_5
	s_branch .LBB476_34
.LBB476_30:                             ;   in Loop: Header=BB476_6 Depth=1
	s_branch .LBB476_18
.LBB476_31:                             ;   in Loop: Header=BB476_6 Depth=1
	s_branch .LBB476_22
.LBB476_32:                             ;   in Loop: Header=BB476_6 Depth=1
	s_branch .LBB476_26
.LBB476_33:                             ;   in Loop: Header=BB476_6 Depth=1
.LBB476_34:                             ;   in Loop: Header=BB476_6 Depth=1
	flat_store_b64 v[20:21], v[18:19]
	s_branch .LBB476_5
.LBB476_35:
	s_endpgm
	.section	.rodata,"a",@progbits
	.p2align	6, 0x0
	.amdhsa_kernel _ZL29rocblas_internal_gemmt_kernelIlLi16ELi32ELi8ELc67ELc67ELc85ELb0ELb0EdPKdPKS1_PKPdEviT_T9_T10_S7_lS9_S7_lS8_T11_S7_li
		.amdhsa_group_segment_fixed_size 4096
		.amdhsa_private_segment_fixed_size 0
		.amdhsa_kernarg_size 108
		.amdhsa_user_sgpr_count 2
		.amdhsa_user_sgpr_dispatch_ptr 0
		.amdhsa_user_sgpr_queue_ptr 0
		.amdhsa_user_sgpr_kernarg_segment_ptr 1
		.amdhsa_user_sgpr_dispatch_id 0
		.amdhsa_user_sgpr_kernarg_preload_length 0
		.amdhsa_user_sgpr_kernarg_preload_offset 0
		.amdhsa_user_sgpr_private_segment_size 0
		.amdhsa_wavefront_size32 1
		.amdhsa_uses_dynamic_stack 0
		.amdhsa_enable_private_segment 0
		.amdhsa_system_sgpr_workgroup_id_x 1
		.amdhsa_system_sgpr_workgroup_id_y 1
		.amdhsa_system_sgpr_workgroup_id_z 1
		.amdhsa_system_sgpr_workgroup_info 0
		.amdhsa_system_vgpr_workitem_id 1
		.amdhsa_next_free_vgpr 54
		.amdhsa_next_free_sgpr 38
		.amdhsa_named_barrier_count 0
		.amdhsa_reserve_vcc 1
		.amdhsa_float_round_mode_32 0
		.amdhsa_float_round_mode_16_64 0
		.amdhsa_float_denorm_mode_32 3
		.amdhsa_float_denorm_mode_16_64 3
		.amdhsa_fp16_overflow 0
		.amdhsa_memory_ordered 1
		.amdhsa_forward_progress 1
		.amdhsa_inst_pref_size 14
		.amdhsa_round_robin_scheduling 0
		.amdhsa_exception_fp_ieee_invalid_op 0
		.amdhsa_exception_fp_denorm_src 0
		.amdhsa_exception_fp_ieee_div_zero 0
		.amdhsa_exception_fp_ieee_overflow 0
		.amdhsa_exception_fp_ieee_underflow 0
		.amdhsa_exception_fp_ieee_inexact 0
		.amdhsa_exception_int_div_zero 0
	.end_amdhsa_kernel
	.section	.text._ZL29rocblas_internal_gemmt_kernelIlLi16ELi32ELi8ELc67ELc67ELc85ELb0ELb0EdPKdPKS1_PKPdEviT_T9_T10_S7_lS9_S7_lS8_T11_S7_li,"axG",@progbits,_ZL29rocblas_internal_gemmt_kernelIlLi16ELi32ELi8ELc67ELc67ELc85ELb0ELb0EdPKdPKS1_PKPdEviT_T9_T10_S7_lS9_S7_lS8_T11_S7_li,comdat
.Lfunc_end476:
	.size	_ZL29rocblas_internal_gemmt_kernelIlLi16ELi32ELi8ELc67ELc67ELc85ELb0ELb0EdPKdPKS1_PKPdEviT_T9_T10_S7_lS9_S7_lS8_T11_S7_li, .Lfunc_end476-_ZL29rocblas_internal_gemmt_kernelIlLi16ELi32ELi8ELc67ELc67ELc85ELb0ELb0EdPKdPKS1_PKPdEviT_T9_T10_S7_lS9_S7_lS8_T11_S7_li
                                        ; -- End function
	.set _ZL29rocblas_internal_gemmt_kernelIlLi16ELi32ELi8ELc67ELc67ELc85ELb0ELb0EdPKdPKS1_PKPdEviT_T9_T10_S7_lS9_S7_lS8_T11_S7_li.num_vgpr, 54
	.set _ZL29rocblas_internal_gemmt_kernelIlLi16ELi32ELi8ELc67ELc67ELc85ELb0ELb0EdPKdPKS1_PKPdEviT_T9_T10_S7_lS9_S7_lS8_T11_S7_li.num_agpr, 0
	.set _ZL29rocblas_internal_gemmt_kernelIlLi16ELi32ELi8ELc67ELc67ELc85ELb0ELb0EdPKdPKS1_PKPdEviT_T9_T10_S7_lS9_S7_lS8_T11_S7_li.numbered_sgpr, 38
	.set _ZL29rocblas_internal_gemmt_kernelIlLi16ELi32ELi8ELc67ELc67ELc85ELb0ELb0EdPKdPKS1_PKPdEviT_T9_T10_S7_lS9_S7_lS8_T11_S7_li.num_named_barrier, 0
	.set _ZL29rocblas_internal_gemmt_kernelIlLi16ELi32ELi8ELc67ELc67ELc85ELb0ELb0EdPKdPKS1_PKPdEviT_T9_T10_S7_lS9_S7_lS8_T11_S7_li.private_seg_size, 0
	.set _ZL29rocblas_internal_gemmt_kernelIlLi16ELi32ELi8ELc67ELc67ELc85ELb0ELb0EdPKdPKS1_PKPdEviT_T9_T10_S7_lS9_S7_lS8_T11_S7_li.uses_vcc, 1
	.set _ZL29rocblas_internal_gemmt_kernelIlLi16ELi32ELi8ELc67ELc67ELc85ELb0ELb0EdPKdPKS1_PKPdEviT_T9_T10_S7_lS9_S7_lS8_T11_S7_li.uses_flat_scratch, 0
	.set _ZL29rocblas_internal_gemmt_kernelIlLi16ELi32ELi8ELc67ELc67ELc85ELb0ELb0EdPKdPKS1_PKPdEviT_T9_T10_S7_lS9_S7_lS8_T11_S7_li.has_dyn_sized_stack, 0
	.set _ZL29rocblas_internal_gemmt_kernelIlLi16ELi32ELi8ELc67ELc67ELc85ELb0ELb0EdPKdPKS1_PKPdEviT_T9_T10_S7_lS9_S7_lS8_T11_S7_li.has_recursion, 0
	.set _ZL29rocblas_internal_gemmt_kernelIlLi16ELi32ELi8ELc67ELc67ELc85ELb0ELb0EdPKdPKS1_PKPdEviT_T9_T10_S7_lS9_S7_lS8_T11_S7_li.has_indirect_call, 0
	.section	.AMDGPU.csdata,"",@progbits
; Kernel info:
; codeLenInByte = 1676
; TotalNumSgprs: 40
; NumVgprs: 54
; ScratchSize: 0
; MemoryBound: 0
; FloatMode: 240
; IeeeMode: 1
; LDSByteSize: 4096 bytes/workgroup (compile time only)
; SGPRBlocks: 0
; VGPRBlocks: 3
; NumSGPRsForWavesPerEU: 40
; NumVGPRsForWavesPerEU: 54
; NamedBarCnt: 0
; Occupancy: 16
; WaveLimiterHint : 1
; COMPUTE_PGM_RSRC2:SCRATCH_EN: 0
; COMPUTE_PGM_RSRC2:USER_SGPR: 2
; COMPUTE_PGM_RSRC2:TRAP_HANDLER: 0
; COMPUTE_PGM_RSRC2:TGID_X_EN: 1
; COMPUTE_PGM_RSRC2:TGID_Y_EN: 1
; COMPUTE_PGM_RSRC2:TGID_Z_EN: 1
; COMPUTE_PGM_RSRC2:TIDIG_COMP_CNT: 1
	.section	.text._ZL29rocblas_internal_gemmt_kernelIlLi16ELi32ELi8ELc78ELc78ELc76ELb0ELb0EdPKdPKS1_PKPdEviT_T9_T10_S7_lS9_S7_lS8_T11_S7_li,"axG",@progbits,_ZL29rocblas_internal_gemmt_kernelIlLi16ELi32ELi8ELc78ELc78ELc76ELb0ELb0EdPKdPKS1_PKPdEviT_T9_T10_S7_lS9_S7_lS8_T11_S7_li,comdat
	.globl	_ZL29rocblas_internal_gemmt_kernelIlLi16ELi32ELi8ELc78ELc78ELc76ELb0ELb0EdPKdPKS1_PKPdEviT_T9_T10_S7_lS9_S7_lS8_T11_S7_li ; -- Begin function _ZL29rocblas_internal_gemmt_kernelIlLi16ELi32ELi8ELc78ELc78ELc76ELb0ELb0EdPKdPKS1_PKPdEviT_T9_T10_S7_lS9_S7_lS8_T11_S7_li
	.p2align	8
	.type	_ZL29rocblas_internal_gemmt_kernelIlLi16ELi32ELi8ELc78ELc78ELc76ELb0ELb0EdPKdPKS1_PKPdEviT_T9_T10_S7_lS9_S7_lS8_T11_S7_li,@function
_ZL29rocblas_internal_gemmt_kernelIlLi16ELi32ELi8ELc78ELc78ELc76ELb0ELb0EdPKdPKS1_PKPdEviT_T9_T10_S7_lS9_S7_lS8_T11_S7_li: ; @_ZL29rocblas_internal_gemmt_kernelIlLi16ELi32ELi8ELc78ELc78ELc76ELb0ELb0EdPKdPKS1_PKPdEviT_T9_T10_S7_lS9_S7_lS8_T11_S7_li
; %bb.0:
	s_load_b256 s[24:31], s[0:1], 0x48
	s_wait_kmcnt 0x0
	s_load_b64 s[6:7], s[24:25], 0x0
	s_load_b512 s[8:23], s[0:1], 0x8
	s_wait_kmcnt 0x0
	v_cmp_neq_f64_e64 s2, s[6:7], 1.0
	s_load_b64 s[10:11], s[10:11], 0x0
	s_and_b32 vcc_lo, exec_lo, s2
	s_cbranch_vccnz .LBB477_2
; %bb.1:
	s_wait_kmcnt 0x0
	v_cmp_neq_f64_e64 s2, s[10:11], 0
	s_cmp_lg_u64 s[8:9], 0
	s_cselect_b32 s3, -1, 0
	s_delay_alu instid0(SALU_CYCLE_1)
	s_and_b32 s2, s3, s2
.LBB477_2:
	s_delay_alu instid0(SALU_CYCLE_1)
	s_and_not1_b32 vcc_lo, exec_lo, s2
	s_cbranch_vccnz .LBB477_35
; %bb.3:
	s_load_b32 s33, s[0:1], 0x68
	s_bfe_u32 s2, ttmp6, 0x40014
	s_lshr_b32 s3, ttmp7, 16
	s_add_co_i32 s2, s2, 1
	s_bfe_u32 s5, ttmp6, 0x40008
	s_mul_i32 s4, s3, s2
	s_getreg_b32 s2, hwreg(HW_REG_IB_STS2, 6, 4)
	s_add_co_i32 s5, s5, s4
	s_cmp_eq_u32 s2, 0
	s_mov_b32 s25, 0
	s_cselect_b32 s24, s3, s5
	s_wait_kmcnt 0x0
	s_cmp_ge_u32 s24, s33
	s_cbranch_scc1 .LBB477_35
; %bb.4:
	s_load_b32 s4, s[0:1], 0x0
	s_wait_xcnt 0x0
	s_bfe_u32 s1, ttmp6, 0x4000c
	s_bfe_u32 s3, ttmp6, 0x40010
	s_add_co_i32 s1, s1, 1
	s_and_b32 s5, ttmp7, 0xffff
	s_add_co_i32 s3, s3, 1
	v_and_b32_e32 v13, 0x3ff, v0
	v_bfe_u32 v20, v0, 10, 10
	s_and_b32 s0, ttmp6, 15
	s_mul_i32 s1, ttmp9, s1
	s_mul_i32 s3, s5, s3
	s_bfe_u32 s34, ttmp6, 0x40004
	s_add_co_i32 s0, s0, s1
	s_add_co_i32 s34, s34, s3
	s_cmp_eq_u32 s2, 0
	v_lshl_add_u32 v1, v20, 4, v13
	s_cselect_b32 s1, s5, s34
	s_cselect_b32 s0, ttmp9, s0
	s_lshl_b32 s1, s1, 5
	s_delay_alu instid0(VALU_DEP_1) | instskip(SKIP_3) | instid1(VALU_DEP_4)
	v_dual_lshrrev_b32 v3, 3, v1 :: v_dual_bitop2_b32 v0, 7, v0 bitop3:0x40
	v_dual_lshrrev_b32 v2, 5, v1 :: v_dual_add_nc_u32 v16, s1, v20
	v_and_b32_e32 v1, 31, v1
	v_cmp_neq_f64_e64 s37, s[10:11], 0
	v_add_nc_u32_e32 v14, s1, v3
	s_lshl_b32 s1, s0, 5
	s_delay_alu instid0(SALU_CYCLE_1) | instskip(NEXT) | instid1(VALU_DEP_2)
	v_dual_add_nc_u32 v18, 16, v16 :: v_dual_bitop2_b32 v4, s1, v1 bitop3:0x54
	v_dual_ashrrev_i32 v17, 31, v16 :: v_dual_ashrrev_i32 v15, 31, v14
	s_delay_alu instid0(VALU_DEP_2) | instskip(SKIP_1) | instid1(VALU_DEP_3)
	v_dual_lshlrev_b32 v5, 3, v0 :: v_dual_ashrrev_i32 v19, 31, v18
	v_cmp_neq_f64_e64 s34, s[6:7], 0
	v_mul_u64_e32 v[8:9], s[28:29], v[16:17]
	s_delay_alu instid0(VALU_DEP_4) | instskip(SKIP_4) | instid1(VALU_DEP_3)
	v_mul_u64_e32 v[6:7], s[20:21], v[14:15]
	v_dual_add_nc_u32 v12, s1, v13 :: v_dual_lshlrev_b32 v36, 3, v13
	v_mul_u64_e32 v[10:11], s[28:29], v[18:19]
	s_wait_kmcnt 0x0
	v_cmp_gt_i32_e64 s1, s4, v14
	v_dual_lshlrev_b32 v1, 3, v1 :: v_dual_add_nc_u32 v14, 16, v12
	v_ashrrev_i32_e32 v13, 31, v12
	v_cmp_le_i32_e32 vcc_lo, v16, v12
	v_cmp_gt_i32_e64 s2, s4, v12
	v_lshl_or_b32 v3, v3, 6, v5
	v_cmp_gt_i64_e64 s20, s[8:9], 0
	v_cmp_gt_i32_e64 s0, s4, v4
	v_cmp_le_i32_e64 s3, v16, v14
	v_cmp_gt_i32_e64 s4, s4, v14
	s_and_b32 s28, vcc_lo, s2
	v_cmp_le_i32_e32 vcc_lo, v18, v12
	v_cmp_le_i32_e64 s5, v18, v14
	v_ashrrev_i32_e32 v5, 31, v4
	v_lshl_or_b32 v1, v2, 8, v1
	v_add_nc_u32_e32 v3, 0x800, v3
	v_lshl_add_u32 v37, v20, 6, 0x800
	v_dual_ashrrev_i32 v15, 31, v14 :: v_dual_mov_b32 v17, 0
	s_and_b32 s29, s3, s4
	s_and_b32 s35, vcc_lo, s2
	s_and_b32 s36, s5, s4
	s_and_b32 s37, s37, s20
	s_lshl_b64 s[2:3], s[22:23], 3
	s_lshl_b64 s[4:5], s[16:17], 3
	;; [unrolled: 1-line block ×3, first 2 shown]
	s_branch .LBB477_6
.LBB477_5:                              ;   in Loop: Header=BB477_6 Depth=1
	s_wait_xcnt 0x0
	s_or_b32 exec_lo, exec_lo, s20
	s_add_co_i32 s24, s24, 0x10000
	s_delay_alu instid0(SALU_CYCLE_1)
	s_cmp_lt_u32 s24, s33
	s_cbranch_scc0 .LBB477_35
.LBB477_6:                              ; =>This Loop Header: Depth=1
                                        ;     Child Loop BB477_9 Depth 2
	v_mov_b32_e32 v16, s24
	v_mov_b64_e32 v[26:27], 0
	v_mov_b64_e32 v[22:23], 0
	;; [unrolled: 1-line block ×4, first 2 shown]
	global_load_b64 v[24:25], v16, s[26:27] scale_offset
	s_and_not1_b32 vcc_lo, exec_lo, s37
	s_cbranch_vccnz .LBB477_15
; %bb.7:                                ;   in Loop: Header=BB477_6 Depth=1
	s_lshl_b64 s[20:21], s[24:25], 3
	v_mov_b64_e32 v[22:23], 0
	s_add_nc_u64 s[22:23], s[12:13], s[20:21]
	s_add_nc_u64 s[20:21], s[18:19], s[20:21]
	s_clause 0x1
	global_load_b64 v[18:19], v17, s[22:23]
	global_load_b64 v[20:21], v17, s[20:21]
	v_mov_b64_e32 v[26:27], 0
	s_wait_xcnt 0x0
	s_mov_b64 s[20:21], 0
	s_wait_loadcnt 0x1
	v_add_nc_u64_e32 v[28:29], s[4:5], v[18:19]
	s_wait_loadcnt 0x0
	v_add_nc_u64_e32 v[30:31], s[2:3], v[20:21]
	v_mov_b64_e32 v[18:19], 0
	v_mov_b64_e32 v[20:21], 0
	s_delay_alu instid0(VALU_DEP_4) | instskip(NEXT) | instid1(VALU_DEP_4)
	v_lshl_add_u64 v[28:29], v[4:5], 3, v[28:29]
	v_lshl_add_u64 v[30:31], v[6:7], 3, v[30:31]
	s_branch .LBB477_9
.LBB477_8:                              ;   in Loop: Header=BB477_9 Depth=2
	s_wait_xcnt 0x0
	s_or_b32 exec_lo, exec_lo, s22
	s_wait_loadcnt_dscnt 0x0
	ds_store_b64 v3, v[34:35]
	s_wait_dscnt 0x0
	s_barrier_signal -1
	s_barrier_wait -1
	ds_load_b128 v[32:35], v37
	ds_load_2addr_b64 v[38:41], v36 offset1:16
	ds_load_b128 v[42:45], v37 offset:1024
	ds_load_b128 v[46:49], v37 offset:16
	;; [unrolled: 1-line block ×3, first 2 shown]
	s_add_nc_u64 s[20:21], s[20:21], 8
	s_delay_alu instid0(SALU_CYCLE_1)
	v_cmp_gt_i64_e64 s22, s[8:9], s[20:21]
	s_and_b32 vcc_lo, exec_lo, s22
	s_wait_dscnt 0x3
	v_fmac_f64_e32 v[26:27], v[38:39], v[32:33]
	v_fmac_f64_e32 v[22:23], v[40:41], v[32:33]
	s_wait_dscnt 0x2
	v_fmac_f64_e32 v[20:21], v[38:39], v[42:43]
	v_fmac_f64_e32 v[18:19], v[40:41], v[42:43]
	ds_load_2addr_b64 v[38:41], v36 offset0:32 offset1:48
	s_wait_dscnt 0x0
	v_fmac_f64_e32 v[26:27], v[38:39], v[34:35]
	v_fmac_f64_e32 v[22:23], v[40:41], v[34:35]
	v_fmac_f64_e32 v[20:21], v[38:39], v[44:45]
	v_fmac_f64_e32 v[18:19], v[40:41], v[44:45]
	ds_load_2addr_b64 v[32:35], v36 offset0:64 offset1:80
	s_wait_dscnt 0x0
	v_fmac_f64_e32 v[26:27], v[32:33], v[46:47]
	v_fmac_f64_e32 v[22:23], v[34:35], v[46:47]
	;; [unrolled: 6-line block ×3, first 2 shown]
	v_fmac_f64_e32 v[20:21], v[32:33], v[52:53]
	v_fmac_f64_e32 v[18:19], v[34:35], v[52:53]
	ds_load_b128 v[32:35], v37 offset:32
	ds_load_2addr_b64 v[38:41], v36 offset0:128 offset1:144
	ds_load_b128 v[42:45], v37 offset:1056
	ds_load_b128 v[46:49], v37 offset:48
	;; [unrolled: 1-line block ×3, first 2 shown]
	s_wait_dscnt 0x3
	v_fmac_f64_e32 v[26:27], v[38:39], v[32:33]
	v_fmac_f64_e32 v[22:23], v[40:41], v[32:33]
	s_wait_dscnt 0x2
	v_fmac_f64_e32 v[20:21], v[38:39], v[42:43]
	v_fmac_f64_e32 v[18:19], v[40:41], v[42:43]
	ds_load_2addr_b64 v[38:41], v36 offset0:160 offset1:176
	s_wait_dscnt 0x0
	v_fmac_f64_e32 v[26:27], v[38:39], v[34:35]
	v_fmac_f64_e32 v[22:23], v[40:41], v[34:35]
	v_fmac_f64_e32 v[20:21], v[38:39], v[44:45]
	v_fmac_f64_e32 v[18:19], v[40:41], v[44:45]
	ds_load_2addr_b64 v[32:35], v36 offset0:192 offset1:208
	s_wait_dscnt 0x0
	v_fmac_f64_e32 v[26:27], v[32:33], v[46:47]
	v_fmac_f64_e32 v[22:23], v[34:35], v[46:47]
	;; [unrolled: 1-line block ×4, first 2 shown]
	ds_load_2addr_b64 v[32:35], v36 offset0:224 offset1:240
	s_wait_dscnt 0x0
	s_barrier_signal -1
	s_barrier_wait -1
	v_fmac_f64_e32 v[26:27], v[32:33], v[48:49]
	v_fmac_f64_e32 v[22:23], v[34:35], v[48:49]
	;; [unrolled: 1-line block ×4, first 2 shown]
	s_cbranch_vccz .LBB477_15
.LBB477_9:                              ;   Parent Loop BB477_6 Depth=1
                                        ; =>  This Inner Loop Header: Depth=2
	v_mov_b64_e32 v[32:33], 0
	s_and_saveexec_b32 s22, s0
	s_cbranch_execz .LBB477_13
; %bb.10:                               ;   in Loop: Header=BB477_9 Depth=2
	v_mov_b64_e32 v[32:33], 0
	v_add_nc_u32_e32 v16, s20, v2
	s_mov_b32 s23, exec_lo
	s_delay_alu instid0(VALU_DEP_1)
	v_cmpx_gt_u64_e64 s[8:9], v[16:17]
	s_cbranch_execz .LBB477_12
; %bb.11:                               ;   in Loop: Header=BB477_9 Depth=2
	v_mul_u64_e32 v[32:33], s[14:15], v[16:17]
	s_delay_alu instid0(VALU_DEP_1)
	v_lshl_add_u64 v[32:33], v[32:33], 3, v[28:29]
	flat_load_b64 v[32:33], v[32:33]
.LBB477_12:                             ;   in Loop: Header=BB477_9 Depth=2
	s_wait_xcnt 0x0
	s_or_b32 exec_lo, exec_lo, s23
.LBB477_13:                             ;   in Loop: Header=BB477_9 Depth=2
	s_delay_alu instid0(SALU_CYCLE_1)
	s_or_b32 exec_lo, exec_lo, s22
	v_add_nc_u32_e32 v16, s20, v0
	v_mov_b64_e32 v[34:35], 0
	s_wait_loadcnt_dscnt 0x0
	ds_store_b64 v1, v[32:33]
	v_cmp_gt_u64_e32 vcc_lo, s[8:9], v[16:17]
	s_and_b32 s23, vcc_lo, s1
	s_delay_alu instid0(SALU_CYCLE_1)
	s_and_saveexec_b32 s22, s23
	s_cbranch_execz .LBB477_8
; %bb.14:                               ;   in Loop: Header=BB477_9 Depth=2
	v_lshl_add_u64 v[32:33], v[16:17], 3, v[30:31]
	flat_load_b64 v[34:35], v[32:33]
	s_branch .LBB477_8
.LBB477_15:                             ;   in Loop: Header=BB477_6 Depth=1
	s_wait_loadcnt 0x0
	v_add_nc_u64_e32 v[24:25], s[16:17], v[24:25]
	s_delay_alu instid0(VALU_DEP_1)
	v_lshl_add_u64 v[28:29], v[8:9], 3, v[24:25]
	s_wait_xcnt 0x0
	s_and_saveexec_b32 s20, s28
	s_cbranch_execz .LBB477_19
; %bb.16:                               ;   in Loop: Header=BB477_6 Depth=1
	v_mul_f64_e32 v[26:27], s[10:11], v[26:27]
	v_lshl_add_u64 v[30:31], v[12:13], 3, v[28:29]
	s_and_b32 vcc_lo, exec_lo, s34
	s_cbranch_vccz .LBB477_30
; %bb.17:                               ;   in Loop: Header=BB477_6 Depth=1
	flat_load_b64 v[32:33], v[30:31]
	s_wait_loadcnt_dscnt 0x0
	v_fma_f64 v[32:33], s[6:7], v[32:33], v[26:27]
	flat_store_b64 v[30:31], v[32:33]
	s_cbranch_execnz .LBB477_19
.LBB477_18:                             ;   in Loop: Header=BB477_6 Depth=1
	flat_store_b64 v[30:31], v[26:27]
.LBB477_19:                             ;   in Loop: Header=BB477_6 Depth=1
	s_wait_xcnt 0x0
	s_or_b32 exec_lo, exec_lo, s20
	s_and_saveexec_b32 s20, s29
	s_cbranch_execz .LBB477_23
; %bb.20:                               ;   in Loop: Header=BB477_6 Depth=1
	v_mul_f64_e32 v[22:23], s[10:11], v[22:23]
	v_lshl_add_u64 v[26:27], v[14:15], 3, v[28:29]
	s_and_not1_b32 vcc_lo, exec_lo, s34
	s_cbranch_vccnz .LBB477_31
; %bb.21:                               ;   in Loop: Header=BB477_6 Depth=1
	flat_load_b64 v[28:29], v[26:27]
	s_wait_loadcnt_dscnt 0x0
	v_fma_f64 v[28:29], s[6:7], v[28:29], v[22:23]
	flat_store_b64 v[26:27], v[28:29]
	s_cbranch_execnz .LBB477_23
.LBB477_22:                             ;   in Loop: Header=BB477_6 Depth=1
	flat_store_b64 v[26:27], v[22:23]
.LBB477_23:                             ;   in Loop: Header=BB477_6 Depth=1
	s_wait_xcnt 0x0
	s_or_b32 exec_lo, exec_lo, s20
	v_lshl_add_u64 v[22:23], v[10:11], 3, v[24:25]
	s_and_saveexec_b32 s20, s35
	s_cbranch_execz .LBB477_27
; %bb.24:                               ;   in Loop: Header=BB477_6 Depth=1
	v_mul_f64_e32 v[20:21], s[10:11], v[20:21]
	s_delay_alu instid0(VALU_DEP_2)
	v_lshl_add_u64 v[24:25], v[12:13], 3, v[22:23]
	s_and_not1_b32 vcc_lo, exec_lo, s34
	s_cbranch_vccnz .LBB477_32
; %bb.25:                               ;   in Loop: Header=BB477_6 Depth=1
	flat_load_b64 v[26:27], v[24:25]
	s_wait_loadcnt_dscnt 0x0
	v_fma_f64 v[26:27], s[6:7], v[26:27], v[20:21]
	flat_store_b64 v[24:25], v[26:27]
	s_cbranch_execnz .LBB477_27
.LBB477_26:                             ;   in Loop: Header=BB477_6 Depth=1
	flat_store_b64 v[24:25], v[20:21]
.LBB477_27:                             ;   in Loop: Header=BB477_6 Depth=1
	s_wait_xcnt 0x0
	s_or_b32 exec_lo, exec_lo, s20
	s_and_saveexec_b32 s20, s36
	s_cbranch_execz .LBB477_5
; %bb.28:                               ;   in Loop: Header=BB477_6 Depth=1
	s_delay_alu instid0(VALU_DEP_4)
	v_mul_f64_e32 v[18:19], s[10:11], v[18:19]
	v_lshl_add_u64 v[20:21], v[14:15], 3, v[22:23]
	s_and_not1_b32 vcc_lo, exec_lo, s34
	s_cbranch_vccnz .LBB477_33
; %bb.29:                               ;   in Loop: Header=BB477_6 Depth=1
	flat_load_b64 v[22:23], v[20:21]
	s_wait_loadcnt_dscnt 0x0
	v_fma_f64 v[22:23], s[6:7], v[22:23], v[18:19]
	flat_store_b64 v[20:21], v[22:23]
	s_cbranch_execnz .LBB477_5
	s_branch .LBB477_34
.LBB477_30:                             ;   in Loop: Header=BB477_6 Depth=1
	s_branch .LBB477_18
.LBB477_31:                             ;   in Loop: Header=BB477_6 Depth=1
	s_branch .LBB477_22
.LBB477_32:                             ;   in Loop: Header=BB477_6 Depth=1
	s_branch .LBB477_26
.LBB477_33:                             ;   in Loop: Header=BB477_6 Depth=1
.LBB477_34:                             ;   in Loop: Header=BB477_6 Depth=1
	flat_store_b64 v[20:21], v[18:19]
	s_branch .LBB477_5
.LBB477_35:
	s_endpgm
	.section	.rodata,"a",@progbits
	.p2align	6, 0x0
	.amdhsa_kernel _ZL29rocblas_internal_gemmt_kernelIlLi16ELi32ELi8ELc78ELc78ELc76ELb0ELb0EdPKdPKS1_PKPdEviT_T9_T10_S7_lS9_S7_lS8_T11_S7_li
		.amdhsa_group_segment_fixed_size 4096
		.amdhsa_private_segment_fixed_size 0
		.amdhsa_kernarg_size 108
		.amdhsa_user_sgpr_count 2
		.amdhsa_user_sgpr_dispatch_ptr 0
		.amdhsa_user_sgpr_queue_ptr 0
		.amdhsa_user_sgpr_kernarg_segment_ptr 1
		.amdhsa_user_sgpr_dispatch_id 0
		.amdhsa_user_sgpr_kernarg_preload_length 0
		.amdhsa_user_sgpr_kernarg_preload_offset 0
		.amdhsa_user_sgpr_private_segment_size 0
		.amdhsa_wavefront_size32 1
		.amdhsa_uses_dynamic_stack 0
		.amdhsa_enable_private_segment 0
		.amdhsa_system_sgpr_workgroup_id_x 1
		.amdhsa_system_sgpr_workgroup_id_y 1
		.amdhsa_system_sgpr_workgroup_id_z 1
		.amdhsa_system_sgpr_workgroup_info 0
		.amdhsa_system_vgpr_workitem_id 1
		.amdhsa_next_free_vgpr 54
		.amdhsa_next_free_sgpr 38
		.amdhsa_named_barrier_count 0
		.amdhsa_reserve_vcc 1
		.amdhsa_float_round_mode_32 0
		.amdhsa_float_round_mode_16_64 0
		.amdhsa_float_denorm_mode_32 3
		.amdhsa_float_denorm_mode_16_64 3
		.amdhsa_fp16_overflow 0
		.amdhsa_memory_ordered 1
		.amdhsa_forward_progress 1
		.amdhsa_inst_pref_size 13
		.amdhsa_round_robin_scheduling 0
		.amdhsa_exception_fp_ieee_invalid_op 0
		.amdhsa_exception_fp_denorm_src 0
		.amdhsa_exception_fp_ieee_div_zero 0
		.amdhsa_exception_fp_ieee_overflow 0
		.amdhsa_exception_fp_ieee_underflow 0
		.amdhsa_exception_fp_ieee_inexact 0
		.amdhsa_exception_int_div_zero 0
	.end_amdhsa_kernel
	.section	.text._ZL29rocblas_internal_gemmt_kernelIlLi16ELi32ELi8ELc78ELc78ELc76ELb0ELb0EdPKdPKS1_PKPdEviT_T9_T10_S7_lS9_S7_lS8_T11_S7_li,"axG",@progbits,_ZL29rocblas_internal_gemmt_kernelIlLi16ELi32ELi8ELc78ELc78ELc76ELb0ELb0EdPKdPKS1_PKPdEviT_T9_T10_S7_lS9_S7_lS8_T11_S7_li,comdat
.Lfunc_end477:
	.size	_ZL29rocblas_internal_gemmt_kernelIlLi16ELi32ELi8ELc78ELc78ELc76ELb0ELb0EdPKdPKS1_PKPdEviT_T9_T10_S7_lS9_S7_lS8_T11_S7_li, .Lfunc_end477-_ZL29rocblas_internal_gemmt_kernelIlLi16ELi32ELi8ELc78ELc78ELc76ELb0ELb0EdPKdPKS1_PKPdEviT_T9_T10_S7_lS9_S7_lS8_T11_S7_li
                                        ; -- End function
	.set _ZL29rocblas_internal_gemmt_kernelIlLi16ELi32ELi8ELc78ELc78ELc76ELb0ELb0EdPKdPKS1_PKPdEviT_T9_T10_S7_lS9_S7_lS8_T11_S7_li.num_vgpr, 54
	.set _ZL29rocblas_internal_gemmt_kernelIlLi16ELi32ELi8ELc78ELc78ELc76ELb0ELb0EdPKdPKS1_PKPdEviT_T9_T10_S7_lS9_S7_lS8_T11_S7_li.num_agpr, 0
	.set _ZL29rocblas_internal_gemmt_kernelIlLi16ELi32ELi8ELc78ELc78ELc76ELb0ELb0EdPKdPKS1_PKPdEviT_T9_T10_S7_lS9_S7_lS8_T11_S7_li.numbered_sgpr, 38
	.set _ZL29rocblas_internal_gemmt_kernelIlLi16ELi32ELi8ELc78ELc78ELc76ELb0ELb0EdPKdPKS1_PKPdEviT_T9_T10_S7_lS9_S7_lS8_T11_S7_li.num_named_barrier, 0
	.set _ZL29rocblas_internal_gemmt_kernelIlLi16ELi32ELi8ELc78ELc78ELc76ELb0ELb0EdPKdPKS1_PKPdEviT_T9_T10_S7_lS9_S7_lS8_T11_S7_li.private_seg_size, 0
	.set _ZL29rocblas_internal_gemmt_kernelIlLi16ELi32ELi8ELc78ELc78ELc76ELb0ELb0EdPKdPKS1_PKPdEviT_T9_T10_S7_lS9_S7_lS8_T11_S7_li.uses_vcc, 1
	.set _ZL29rocblas_internal_gemmt_kernelIlLi16ELi32ELi8ELc78ELc78ELc76ELb0ELb0EdPKdPKS1_PKPdEviT_T9_T10_S7_lS9_S7_lS8_T11_S7_li.uses_flat_scratch, 0
	.set _ZL29rocblas_internal_gemmt_kernelIlLi16ELi32ELi8ELc78ELc78ELc76ELb0ELb0EdPKdPKS1_PKPdEviT_T9_T10_S7_lS9_S7_lS8_T11_S7_li.has_dyn_sized_stack, 0
	.set _ZL29rocblas_internal_gemmt_kernelIlLi16ELi32ELi8ELc78ELc78ELc76ELb0ELb0EdPKdPKS1_PKPdEviT_T9_T10_S7_lS9_S7_lS8_T11_S7_li.has_recursion, 0
	.set _ZL29rocblas_internal_gemmt_kernelIlLi16ELi32ELi8ELc78ELc78ELc76ELb0ELb0EdPKdPKS1_PKPdEviT_T9_T10_S7_lS9_S7_lS8_T11_S7_li.has_indirect_call, 0
	.section	.AMDGPU.csdata,"",@progbits
; Kernel info:
; codeLenInByte = 1664
; TotalNumSgprs: 40
; NumVgprs: 54
; ScratchSize: 0
; MemoryBound: 0
; FloatMode: 240
; IeeeMode: 1
; LDSByteSize: 4096 bytes/workgroup (compile time only)
; SGPRBlocks: 0
; VGPRBlocks: 3
; NumSGPRsForWavesPerEU: 40
; NumVGPRsForWavesPerEU: 54
; NamedBarCnt: 0
; Occupancy: 16
; WaveLimiterHint : 1
; COMPUTE_PGM_RSRC2:SCRATCH_EN: 0
; COMPUTE_PGM_RSRC2:USER_SGPR: 2
; COMPUTE_PGM_RSRC2:TRAP_HANDLER: 0
; COMPUTE_PGM_RSRC2:TGID_X_EN: 1
; COMPUTE_PGM_RSRC2:TGID_Y_EN: 1
; COMPUTE_PGM_RSRC2:TGID_Z_EN: 1
; COMPUTE_PGM_RSRC2:TIDIG_COMP_CNT: 1
	.section	.text._ZL29rocblas_internal_gemmt_kernelIlLi16ELi32ELi8ELc78ELc84ELc76ELb0ELb0EdPKdPKS1_PKPdEviT_T9_T10_S7_lS9_S7_lS8_T11_S7_li,"axG",@progbits,_ZL29rocblas_internal_gemmt_kernelIlLi16ELi32ELi8ELc78ELc84ELc76ELb0ELb0EdPKdPKS1_PKPdEviT_T9_T10_S7_lS9_S7_lS8_T11_S7_li,comdat
	.globl	_ZL29rocblas_internal_gemmt_kernelIlLi16ELi32ELi8ELc78ELc84ELc76ELb0ELb0EdPKdPKS1_PKPdEviT_T9_T10_S7_lS9_S7_lS8_T11_S7_li ; -- Begin function _ZL29rocblas_internal_gemmt_kernelIlLi16ELi32ELi8ELc78ELc84ELc76ELb0ELb0EdPKdPKS1_PKPdEviT_T9_T10_S7_lS9_S7_lS8_T11_S7_li
	.p2align	8
	.type	_ZL29rocblas_internal_gemmt_kernelIlLi16ELi32ELi8ELc78ELc84ELc76ELb0ELb0EdPKdPKS1_PKPdEviT_T9_T10_S7_lS9_S7_lS8_T11_S7_li,@function
_ZL29rocblas_internal_gemmt_kernelIlLi16ELi32ELi8ELc78ELc84ELc76ELb0ELb0EdPKdPKS1_PKPdEviT_T9_T10_S7_lS9_S7_lS8_T11_S7_li: ; @_ZL29rocblas_internal_gemmt_kernelIlLi16ELi32ELi8ELc78ELc84ELc76ELb0ELb0EdPKdPKS1_PKPdEviT_T9_T10_S7_lS9_S7_lS8_T11_S7_li
; %bb.0:
	s_load_b256 s[24:31], s[0:1], 0x48
	s_wait_kmcnt 0x0
	s_load_b64 s[6:7], s[24:25], 0x0
	s_load_b512 s[8:23], s[0:1], 0x8
	s_wait_kmcnt 0x0
	v_cmp_neq_f64_e64 s2, s[6:7], 1.0
	s_load_b64 s[10:11], s[10:11], 0x0
	s_and_b32 vcc_lo, exec_lo, s2
	s_cbranch_vccnz .LBB478_2
; %bb.1:
	s_wait_kmcnt 0x0
	v_cmp_neq_f64_e64 s2, s[10:11], 0
	s_cmp_lg_u64 s[8:9], 0
	s_cselect_b32 s3, -1, 0
	s_delay_alu instid0(SALU_CYCLE_1)
	s_and_b32 s2, s3, s2
.LBB478_2:
	s_delay_alu instid0(SALU_CYCLE_1)
	s_and_not1_b32 vcc_lo, exec_lo, s2
	s_cbranch_vccnz .LBB478_35
; %bb.3:
	s_load_b32 s33, s[0:1], 0x68
	s_bfe_u32 s2, ttmp6, 0x40014
	s_lshr_b32 s3, ttmp7, 16
	s_add_co_i32 s2, s2, 1
	s_bfe_u32 s5, ttmp6, 0x40008
	s_mul_i32 s4, s3, s2
	s_getreg_b32 s2, hwreg(HW_REG_IB_STS2, 6, 4)
	s_add_co_i32 s5, s5, s4
	s_cmp_eq_u32 s2, 0
	s_mov_b32 s25, 0
	s_cselect_b32 s24, s3, s5
	s_wait_kmcnt 0x0
	s_cmp_ge_u32 s24, s33
	s_cbranch_scc1 .LBB478_35
; %bb.4:
	s_bfe_u32 s3, ttmp6, 0x4000c
	s_bfe_u32 s5, ttmp6, 0x40010
	s_add_co_i32 s3, s3, 1
	s_and_b32 s34, ttmp7, 0xffff
	s_add_co_i32 s5, s5, 1
	v_and_b32_e32 v13, 0x3ff, v0
	v_bfe_u32 v15, v0, 10, 10
	s_and_b32 s4, ttmp6, 15
	s_mul_i32 s3, ttmp9, s3
	s_mul_i32 s5, s34, s5
	s_bfe_u32 s35, ttmp6, 0x40004
	s_add_co_i32 s4, s4, s3
	s_add_co_i32 s35, s35, s5
	s_cmp_eq_u32 s2, 0
	v_lshl_add_u32 v1, v15, 4, v13
	s_load_b32 s5, s[0:1], 0x0
	s_wait_xcnt 0x0
	s_cselect_b32 s0, s34, s35
	s_cselect_b32 s1, ttmp9, s4
	s_lshl_b32 s0, s0, 5
	s_delay_alu instid0(SALU_CYCLE_1) | instskip(SKIP_3) | instid1(VALU_DEP_2)
	v_dual_lshrrev_b32 v2, 5, v1 :: v_dual_add_nc_u32 v16, s0, v15
	v_dual_lshrrev_b32 v1, 3, v1 :: v_dual_bitop2_b32 v3, 31, v1 bitop3:0x40
	s_lshl_b32 s1, s1, 5
	v_cmp_neq_f64_e64 s37, s[10:11], 0
	v_dual_add_nc_u32 v18, 16, v16 :: v_dual_bitop2_b32 v4, s1, v3 bitop3:0x54
	v_ashrrev_i32_e32 v17, 31, v16
	v_cmp_neq_f64_e64 s34, s[6:7], 0
	v_dual_add_nc_u32 v6, s0, v1 :: v_dual_bitop2_b32 v0, 7, v0 bitop3:0x40
	s_delay_alu instid0(VALU_DEP_4) | instskip(NEXT) | instid1(VALU_DEP_4)
	v_ashrrev_i32_e32 v19, 31, v18
	v_mul_u64_e32 v[8:9], s[28:29], v[16:17]
	s_delay_alu instid0(VALU_DEP_3) | instskip(SKIP_1) | instid1(VALU_DEP_4)
	v_dual_lshlrev_b32 v3, 3, v3 :: v_dual_lshlrev_b32 v5, 3, v0
	v_add_nc_u32_e32 v12, s1, v13
	v_mul_u64_e32 v[10:11], s[28:29], v[18:19]
	v_cmp_gt_i64_e64 s38, s[8:9], 0
	s_wait_kmcnt 0x0
	v_cmp_gt_i32_e64 s0, s5, v4
	v_lshl_or_b32 v7, v1, 6, v5
	v_lshl_or_b32 v1, v2, 8, v3
	v_ashrrev_i32_e32 v5, 31, v4
	v_add_nc_u32_e32 v14, 16, v12
	v_cmp_le_i32_e32 vcc_lo, v16, v12
	v_add_nc_u32_e32 v3, 0x800, v7
	v_ashrrev_i32_e32 v7, 31, v6
	v_cmp_gt_i32_e64 s2, s5, v12
	v_cmp_gt_i32_e64 s1, s5, v6
	v_cmp_le_i32_e64 s3, v16, v14
	v_cmp_gt_i32_e64 s4, s5, v14
	v_cmp_le_i32_e64 s5, v18, v14
	s_and_b32 s28, vcc_lo, s2
	v_cmp_le_i32_e32 vcc_lo, v18, v12
	v_dual_lshlrev_b32 v36, 3, v13 :: v_dual_ashrrev_i32 v13, 31, v12
	v_lshl_add_u32 v37, v15, 6, 0x800
	v_dual_ashrrev_i32 v15, 31, v14 :: v_dual_mov_b32 v17, 0
	s_and_b32 s29, s3, s4
	s_and_b32 s35, vcc_lo, s2
	s_and_b32 s36, s5, s4
	s_and_b32 s37, s37, s38
	s_lshl_b64 s[2:3], s[22:23], 3
	s_lshl_b64 s[4:5], s[16:17], 3
	;; [unrolled: 1-line block ×3, first 2 shown]
	s_branch .LBB478_6
.LBB478_5:                              ;   in Loop: Header=BB478_6 Depth=1
	s_wait_xcnt 0x0
	s_or_b32 exec_lo, exec_lo, s22
	s_add_co_i32 s24, s24, 0x10000
	s_delay_alu instid0(SALU_CYCLE_1)
	s_cmp_lt_u32 s24, s33
	s_cbranch_scc0 .LBB478_35
.LBB478_6:                              ; =>This Loop Header: Depth=1
                                        ;     Child Loop BB478_9 Depth 2
	v_mov_b32_e32 v16, s24
	v_mov_b64_e32 v[26:27], 0
	v_mov_b64_e32 v[22:23], 0
	;; [unrolled: 1-line block ×4, first 2 shown]
	global_load_b64 v[24:25], v16, s[26:27] scale_offset
	s_and_not1_b32 vcc_lo, exec_lo, s37
	s_cbranch_vccnz .LBB478_15
; %bb.7:                                ;   in Loop: Header=BB478_6 Depth=1
	s_lshl_b64 s[22:23], s[24:25], 3
	v_mov_b64_e32 v[22:23], 0
	s_add_nc_u64 s[30:31], s[12:13], s[22:23]
	s_add_nc_u64 s[22:23], s[18:19], s[22:23]
	s_clause 0x1
	global_load_b64 v[18:19], v17, s[30:31]
	global_load_b64 v[20:21], v17, s[22:23]
	v_mov_b64_e32 v[26:27], 0
	s_wait_xcnt 0x0
	s_mov_b64 s[22:23], 0
	s_wait_loadcnt 0x1
	v_add_nc_u64_e32 v[28:29], s[4:5], v[18:19]
	s_wait_loadcnt 0x0
	v_add_nc_u64_e32 v[30:31], s[2:3], v[20:21]
	v_mov_b64_e32 v[18:19], 0
	v_mov_b64_e32 v[20:21], 0
	s_delay_alu instid0(VALU_DEP_4) | instskip(NEXT) | instid1(VALU_DEP_4)
	v_lshl_add_u64 v[28:29], v[4:5], 3, v[28:29]
	v_lshl_add_u64 v[30:31], v[6:7], 3, v[30:31]
	s_branch .LBB478_9
.LBB478_8:                              ;   in Loop: Header=BB478_9 Depth=2
	s_wait_xcnt 0x0
	s_or_b32 exec_lo, exec_lo, s30
	s_wait_loadcnt_dscnt 0x0
	ds_store_b64 v3, v[34:35]
	s_wait_dscnt 0x0
	s_barrier_signal -1
	s_barrier_wait -1
	ds_load_b128 v[32:35], v37
	ds_load_2addr_b64 v[38:41], v36 offset1:16
	ds_load_b128 v[42:45], v37 offset:1024
	ds_load_b128 v[46:49], v37 offset:16
	;; [unrolled: 1-line block ×3, first 2 shown]
	s_add_nc_u64 s[22:23], s[22:23], 8
	s_delay_alu instid0(SALU_CYCLE_1)
	v_cmp_gt_i64_e64 s30, s[8:9], s[22:23]
	s_and_b32 vcc_lo, exec_lo, s30
	s_wait_dscnt 0x3
	v_fmac_f64_e32 v[26:27], v[38:39], v[32:33]
	v_fmac_f64_e32 v[22:23], v[40:41], v[32:33]
	s_wait_dscnt 0x2
	v_fmac_f64_e32 v[20:21], v[38:39], v[42:43]
	v_fmac_f64_e32 v[18:19], v[40:41], v[42:43]
	ds_load_2addr_b64 v[38:41], v36 offset0:32 offset1:48
	s_wait_dscnt 0x0
	v_fmac_f64_e32 v[26:27], v[38:39], v[34:35]
	v_fmac_f64_e32 v[22:23], v[40:41], v[34:35]
	v_fmac_f64_e32 v[20:21], v[38:39], v[44:45]
	v_fmac_f64_e32 v[18:19], v[40:41], v[44:45]
	ds_load_2addr_b64 v[32:35], v36 offset0:64 offset1:80
	s_wait_dscnt 0x0
	v_fmac_f64_e32 v[26:27], v[32:33], v[46:47]
	v_fmac_f64_e32 v[22:23], v[34:35], v[46:47]
	;; [unrolled: 6-line block ×3, first 2 shown]
	v_fmac_f64_e32 v[20:21], v[32:33], v[52:53]
	v_fmac_f64_e32 v[18:19], v[34:35], v[52:53]
	ds_load_b128 v[32:35], v37 offset:32
	ds_load_2addr_b64 v[38:41], v36 offset0:128 offset1:144
	ds_load_b128 v[42:45], v37 offset:1056
	ds_load_b128 v[46:49], v37 offset:48
	;; [unrolled: 1-line block ×3, first 2 shown]
	s_wait_dscnt 0x3
	v_fmac_f64_e32 v[26:27], v[38:39], v[32:33]
	v_fmac_f64_e32 v[22:23], v[40:41], v[32:33]
	s_wait_dscnt 0x2
	v_fmac_f64_e32 v[20:21], v[38:39], v[42:43]
	v_fmac_f64_e32 v[18:19], v[40:41], v[42:43]
	ds_load_2addr_b64 v[38:41], v36 offset0:160 offset1:176
	s_wait_dscnt 0x0
	v_fmac_f64_e32 v[26:27], v[38:39], v[34:35]
	v_fmac_f64_e32 v[22:23], v[40:41], v[34:35]
	;; [unrolled: 1-line block ×4, first 2 shown]
	ds_load_2addr_b64 v[32:35], v36 offset0:192 offset1:208
	s_wait_dscnt 0x0
	v_fmac_f64_e32 v[26:27], v[32:33], v[46:47]
	v_fmac_f64_e32 v[22:23], v[34:35], v[46:47]
	;; [unrolled: 1-line block ×4, first 2 shown]
	ds_load_2addr_b64 v[32:35], v36 offset0:224 offset1:240
	s_wait_dscnt 0x0
	s_barrier_signal -1
	s_barrier_wait -1
	v_fmac_f64_e32 v[26:27], v[32:33], v[48:49]
	v_fmac_f64_e32 v[22:23], v[34:35], v[48:49]
	;; [unrolled: 1-line block ×4, first 2 shown]
	s_cbranch_vccz .LBB478_15
.LBB478_9:                              ;   Parent Loop BB478_6 Depth=1
                                        ; =>  This Inner Loop Header: Depth=2
	v_mov_b64_e32 v[32:33], 0
	s_and_saveexec_b32 s30, s0
	s_cbranch_execz .LBB478_13
; %bb.10:                               ;   in Loop: Header=BB478_9 Depth=2
	v_mov_b64_e32 v[32:33], 0
	v_add_nc_u32_e32 v16, s22, v2
	s_mov_b32 s31, exec_lo
	s_delay_alu instid0(VALU_DEP_1)
	v_cmpx_gt_u64_e64 s[8:9], v[16:17]
	s_cbranch_execz .LBB478_12
; %bb.11:                               ;   in Loop: Header=BB478_9 Depth=2
	v_mul_u64_e32 v[32:33], s[14:15], v[16:17]
	s_delay_alu instid0(VALU_DEP_1)
	v_lshl_add_u64 v[32:33], v[32:33], 3, v[28:29]
	flat_load_b64 v[32:33], v[32:33]
.LBB478_12:                             ;   in Loop: Header=BB478_9 Depth=2
	s_wait_xcnt 0x0
	s_or_b32 exec_lo, exec_lo, s31
.LBB478_13:                             ;   in Loop: Header=BB478_9 Depth=2
	s_delay_alu instid0(SALU_CYCLE_1)
	s_or_b32 exec_lo, exec_lo, s30
	v_add_nc_u32_e32 v16, s22, v0
	v_mov_b64_e32 v[34:35], 0
	s_wait_loadcnt_dscnt 0x0
	ds_store_b64 v1, v[32:33]
	v_cmp_gt_u64_e32 vcc_lo, s[8:9], v[16:17]
	s_and_b32 s31, vcc_lo, s1
	s_delay_alu instid0(SALU_CYCLE_1)
	s_and_saveexec_b32 s30, s31
	s_cbranch_execz .LBB478_8
; %bb.14:                               ;   in Loop: Header=BB478_9 Depth=2
	v_mul_u64_e32 v[32:33], s[20:21], v[16:17]
	s_delay_alu instid0(VALU_DEP_1)
	v_lshl_add_u64 v[32:33], v[32:33], 3, v[30:31]
	flat_load_b64 v[34:35], v[32:33]
	s_branch .LBB478_8
.LBB478_15:                             ;   in Loop: Header=BB478_6 Depth=1
	s_wait_loadcnt 0x0
	v_add_nc_u64_e32 v[24:25], s[16:17], v[24:25]
	s_delay_alu instid0(VALU_DEP_1)
	v_lshl_add_u64 v[28:29], v[8:9], 3, v[24:25]
	s_wait_xcnt 0x0
	s_and_saveexec_b32 s22, s28
	s_cbranch_execz .LBB478_19
; %bb.16:                               ;   in Loop: Header=BB478_6 Depth=1
	v_mul_f64_e32 v[26:27], s[10:11], v[26:27]
	v_lshl_add_u64 v[30:31], v[12:13], 3, v[28:29]
	s_and_b32 vcc_lo, exec_lo, s34
	s_cbranch_vccz .LBB478_30
; %bb.17:                               ;   in Loop: Header=BB478_6 Depth=1
	flat_load_b64 v[32:33], v[30:31]
	s_wait_loadcnt_dscnt 0x0
	v_fma_f64 v[32:33], s[6:7], v[32:33], v[26:27]
	flat_store_b64 v[30:31], v[32:33]
	s_cbranch_execnz .LBB478_19
.LBB478_18:                             ;   in Loop: Header=BB478_6 Depth=1
	flat_store_b64 v[30:31], v[26:27]
.LBB478_19:                             ;   in Loop: Header=BB478_6 Depth=1
	s_wait_xcnt 0x0
	s_or_b32 exec_lo, exec_lo, s22
	s_and_saveexec_b32 s22, s29
	s_cbranch_execz .LBB478_23
; %bb.20:                               ;   in Loop: Header=BB478_6 Depth=1
	v_mul_f64_e32 v[22:23], s[10:11], v[22:23]
	v_lshl_add_u64 v[26:27], v[14:15], 3, v[28:29]
	s_and_not1_b32 vcc_lo, exec_lo, s34
	s_cbranch_vccnz .LBB478_31
; %bb.21:                               ;   in Loop: Header=BB478_6 Depth=1
	flat_load_b64 v[28:29], v[26:27]
	s_wait_loadcnt_dscnt 0x0
	v_fma_f64 v[28:29], s[6:7], v[28:29], v[22:23]
	flat_store_b64 v[26:27], v[28:29]
	s_cbranch_execnz .LBB478_23
.LBB478_22:                             ;   in Loop: Header=BB478_6 Depth=1
	flat_store_b64 v[26:27], v[22:23]
.LBB478_23:                             ;   in Loop: Header=BB478_6 Depth=1
	s_wait_xcnt 0x0
	s_or_b32 exec_lo, exec_lo, s22
	v_lshl_add_u64 v[22:23], v[10:11], 3, v[24:25]
	s_and_saveexec_b32 s22, s35
	s_cbranch_execz .LBB478_27
; %bb.24:                               ;   in Loop: Header=BB478_6 Depth=1
	v_mul_f64_e32 v[20:21], s[10:11], v[20:21]
	s_delay_alu instid0(VALU_DEP_2)
	v_lshl_add_u64 v[24:25], v[12:13], 3, v[22:23]
	s_and_not1_b32 vcc_lo, exec_lo, s34
	s_cbranch_vccnz .LBB478_32
; %bb.25:                               ;   in Loop: Header=BB478_6 Depth=1
	flat_load_b64 v[26:27], v[24:25]
	s_wait_loadcnt_dscnt 0x0
	v_fma_f64 v[26:27], s[6:7], v[26:27], v[20:21]
	flat_store_b64 v[24:25], v[26:27]
	s_cbranch_execnz .LBB478_27
.LBB478_26:                             ;   in Loop: Header=BB478_6 Depth=1
	flat_store_b64 v[24:25], v[20:21]
.LBB478_27:                             ;   in Loop: Header=BB478_6 Depth=1
	s_wait_xcnt 0x0
	s_or_b32 exec_lo, exec_lo, s22
	s_and_saveexec_b32 s22, s36
	s_cbranch_execz .LBB478_5
; %bb.28:                               ;   in Loop: Header=BB478_6 Depth=1
	s_delay_alu instid0(VALU_DEP_4)
	v_mul_f64_e32 v[18:19], s[10:11], v[18:19]
	v_lshl_add_u64 v[20:21], v[14:15], 3, v[22:23]
	s_and_not1_b32 vcc_lo, exec_lo, s34
	s_cbranch_vccnz .LBB478_33
; %bb.29:                               ;   in Loop: Header=BB478_6 Depth=1
	flat_load_b64 v[22:23], v[20:21]
	s_wait_loadcnt_dscnt 0x0
	v_fma_f64 v[22:23], s[6:7], v[22:23], v[18:19]
	flat_store_b64 v[20:21], v[22:23]
	s_cbranch_execnz .LBB478_5
	s_branch .LBB478_34
.LBB478_30:                             ;   in Loop: Header=BB478_6 Depth=1
	s_branch .LBB478_18
.LBB478_31:                             ;   in Loop: Header=BB478_6 Depth=1
	s_branch .LBB478_22
.LBB478_32:                             ;   in Loop: Header=BB478_6 Depth=1
	s_branch .LBB478_26
.LBB478_33:                             ;   in Loop: Header=BB478_6 Depth=1
.LBB478_34:                             ;   in Loop: Header=BB478_6 Depth=1
	flat_store_b64 v[20:21], v[18:19]
	s_branch .LBB478_5
.LBB478_35:
	s_endpgm
	.section	.rodata,"a",@progbits
	.p2align	6, 0x0
	.amdhsa_kernel _ZL29rocblas_internal_gemmt_kernelIlLi16ELi32ELi8ELc78ELc84ELc76ELb0ELb0EdPKdPKS1_PKPdEviT_T9_T10_S7_lS9_S7_lS8_T11_S7_li
		.amdhsa_group_segment_fixed_size 4096
		.amdhsa_private_segment_fixed_size 0
		.amdhsa_kernarg_size 108
		.amdhsa_user_sgpr_count 2
		.amdhsa_user_sgpr_dispatch_ptr 0
		.amdhsa_user_sgpr_queue_ptr 0
		.amdhsa_user_sgpr_kernarg_segment_ptr 1
		.amdhsa_user_sgpr_dispatch_id 0
		.amdhsa_user_sgpr_kernarg_preload_length 0
		.amdhsa_user_sgpr_kernarg_preload_offset 0
		.amdhsa_user_sgpr_private_segment_size 0
		.amdhsa_wavefront_size32 1
		.amdhsa_uses_dynamic_stack 0
		.amdhsa_enable_private_segment 0
		.amdhsa_system_sgpr_workgroup_id_x 1
		.amdhsa_system_sgpr_workgroup_id_y 1
		.amdhsa_system_sgpr_workgroup_id_z 1
		.amdhsa_system_sgpr_workgroup_info 0
		.amdhsa_system_vgpr_workitem_id 1
		.amdhsa_next_free_vgpr 54
		.amdhsa_next_free_sgpr 39
		.amdhsa_named_barrier_count 0
		.amdhsa_reserve_vcc 1
		.amdhsa_float_round_mode_32 0
		.amdhsa_float_round_mode_16_64 0
		.amdhsa_float_denorm_mode_32 3
		.amdhsa_float_denorm_mode_16_64 3
		.amdhsa_fp16_overflow 0
		.amdhsa_memory_ordered 1
		.amdhsa_forward_progress 1
		.amdhsa_inst_pref_size 13
		.amdhsa_round_robin_scheduling 0
		.amdhsa_exception_fp_ieee_invalid_op 0
		.amdhsa_exception_fp_denorm_src 0
		.amdhsa_exception_fp_ieee_div_zero 0
		.amdhsa_exception_fp_ieee_overflow 0
		.amdhsa_exception_fp_ieee_underflow 0
		.amdhsa_exception_fp_ieee_inexact 0
		.amdhsa_exception_int_div_zero 0
	.end_amdhsa_kernel
	.section	.text._ZL29rocblas_internal_gemmt_kernelIlLi16ELi32ELi8ELc78ELc84ELc76ELb0ELb0EdPKdPKS1_PKPdEviT_T9_T10_S7_lS9_S7_lS8_T11_S7_li,"axG",@progbits,_ZL29rocblas_internal_gemmt_kernelIlLi16ELi32ELi8ELc78ELc84ELc76ELb0ELb0EdPKdPKS1_PKPdEviT_T9_T10_S7_lS9_S7_lS8_T11_S7_li,comdat
.Lfunc_end478:
	.size	_ZL29rocblas_internal_gemmt_kernelIlLi16ELi32ELi8ELc78ELc84ELc76ELb0ELb0EdPKdPKS1_PKPdEviT_T9_T10_S7_lS9_S7_lS8_T11_S7_li, .Lfunc_end478-_ZL29rocblas_internal_gemmt_kernelIlLi16ELi32ELi8ELc78ELc84ELc76ELb0ELb0EdPKdPKS1_PKPdEviT_T9_T10_S7_lS9_S7_lS8_T11_S7_li
                                        ; -- End function
	.set _ZL29rocblas_internal_gemmt_kernelIlLi16ELi32ELi8ELc78ELc84ELc76ELb0ELb0EdPKdPKS1_PKPdEviT_T9_T10_S7_lS9_S7_lS8_T11_S7_li.num_vgpr, 54
	.set _ZL29rocblas_internal_gemmt_kernelIlLi16ELi32ELi8ELc78ELc84ELc76ELb0ELb0EdPKdPKS1_PKPdEviT_T9_T10_S7_lS9_S7_lS8_T11_S7_li.num_agpr, 0
	.set _ZL29rocblas_internal_gemmt_kernelIlLi16ELi32ELi8ELc78ELc84ELc76ELb0ELb0EdPKdPKS1_PKPdEviT_T9_T10_S7_lS9_S7_lS8_T11_S7_li.numbered_sgpr, 39
	.set _ZL29rocblas_internal_gemmt_kernelIlLi16ELi32ELi8ELc78ELc84ELc76ELb0ELb0EdPKdPKS1_PKPdEviT_T9_T10_S7_lS9_S7_lS8_T11_S7_li.num_named_barrier, 0
	.set _ZL29rocblas_internal_gemmt_kernelIlLi16ELi32ELi8ELc78ELc84ELc76ELb0ELb0EdPKdPKS1_PKPdEviT_T9_T10_S7_lS9_S7_lS8_T11_S7_li.private_seg_size, 0
	.set _ZL29rocblas_internal_gemmt_kernelIlLi16ELi32ELi8ELc78ELc84ELc76ELb0ELb0EdPKdPKS1_PKPdEviT_T9_T10_S7_lS9_S7_lS8_T11_S7_li.uses_vcc, 1
	.set _ZL29rocblas_internal_gemmt_kernelIlLi16ELi32ELi8ELc78ELc84ELc76ELb0ELb0EdPKdPKS1_PKPdEviT_T9_T10_S7_lS9_S7_lS8_T11_S7_li.uses_flat_scratch, 0
	.set _ZL29rocblas_internal_gemmt_kernelIlLi16ELi32ELi8ELc78ELc84ELc76ELb0ELb0EdPKdPKS1_PKPdEviT_T9_T10_S7_lS9_S7_lS8_T11_S7_li.has_dyn_sized_stack, 0
	.set _ZL29rocblas_internal_gemmt_kernelIlLi16ELi32ELi8ELc78ELc84ELc76ELb0ELb0EdPKdPKS1_PKPdEviT_T9_T10_S7_lS9_S7_lS8_T11_S7_li.has_recursion, 0
	.set _ZL29rocblas_internal_gemmt_kernelIlLi16ELi32ELi8ELc78ELc84ELc76ELb0ELb0EdPKdPKS1_PKPdEviT_T9_T10_S7_lS9_S7_lS8_T11_S7_li.has_indirect_call, 0
	.section	.AMDGPU.csdata,"",@progbits
; Kernel info:
; codeLenInByte = 1660
; TotalNumSgprs: 41
; NumVgprs: 54
; ScratchSize: 0
; MemoryBound: 0
; FloatMode: 240
; IeeeMode: 1
; LDSByteSize: 4096 bytes/workgroup (compile time only)
; SGPRBlocks: 0
; VGPRBlocks: 3
; NumSGPRsForWavesPerEU: 41
; NumVGPRsForWavesPerEU: 54
; NamedBarCnt: 0
; Occupancy: 16
; WaveLimiterHint : 1
; COMPUTE_PGM_RSRC2:SCRATCH_EN: 0
; COMPUTE_PGM_RSRC2:USER_SGPR: 2
; COMPUTE_PGM_RSRC2:TRAP_HANDLER: 0
; COMPUTE_PGM_RSRC2:TGID_X_EN: 1
; COMPUTE_PGM_RSRC2:TGID_Y_EN: 1
; COMPUTE_PGM_RSRC2:TGID_Z_EN: 1
; COMPUTE_PGM_RSRC2:TIDIG_COMP_CNT: 1
	.section	.text._ZL29rocblas_internal_gemmt_kernelIlLi16ELi32ELi8ELc78ELc67ELc76ELb0ELb0EdPKdPKS1_PKPdEviT_T9_T10_S7_lS9_S7_lS8_T11_S7_li,"axG",@progbits,_ZL29rocblas_internal_gemmt_kernelIlLi16ELi32ELi8ELc78ELc67ELc76ELb0ELb0EdPKdPKS1_PKPdEviT_T9_T10_S7_lS9_S7_lS8_T11_S7_li,comdat
	.globl	_ZL29rocblas_internal_gemmt_kernelIlLi16ELi32ELi8ELc78ELc67ELc76ELb0ELb0EdPKdPKS1_PKPdEviT_T9_T10_S7_lS9_S7_lS8_T11_S7_li ; -- Begin function _ZL29rocblas_internal_gemmt_kernelIlLi16ELi32ELi8ELc78ELc67ELc76ELb0ELb0EdPKdPKS1_PKPdEviT_T9_T10_S7_lS9_S7_lS8_T11_S7_li
	.p2align	8
	.type	_ZL29rocblas_internal_gemmt_kernelIlLi16ELi32ELi8ELc78ELc67ELc76ELb0ELb0EdPKdPKS1_PKPdEviT_T9_T10_S7_lS9_S7_lS8_T11_S7_li,@function
_ZL29rocblas_internal_gemmt_kernelIlLi16ELi32ELi8ELc78ELc67ELc76ELb0ELb0EdPKdPKS1_PKPdEviT_T9_T10_S7_lS9_S7_lS8_T11_S7_li: ; @_ZL29rocblas_internal_gemmt_kernelIlLi16ELi32ELi8ELc78ELc67ELc76ELb0ELb0EdPKdPKS1_PKPdEviT_T9_T10_S7_lS9_S7_lS8_T11_S7_li
; %bb.0:
	s_load_b256 s[24:31], s[0:1], 0x48
	s_wait_kmcnt 0x0
	s_load_b64 s[6:7], s[24:25], 0x0
	s_load_b512 s[8:23], s[0:1], 0x8
	s_wait_kmcnt 0x0
	v_cmp_neq_f64_e64 s2, s[6:7], 1.0
	s_load_b64 s[10:11], s[10:11], 0x0
	s_and_b32 vcc_lo, exec_lo, s2
	s_cbranch_vccnz .LBB479_2
; %bb.1:
	s_wait_kmcnt 0x0
	v_cmp_neq_f64_e64 s2, s[10:11], 0
	s_cmp_lg_u64 s[8:9], 0
	s_cselect_b32 s3, -1, 0
	s_delay_alu instid0(SALU_CYCLE_1)
	s_and_b32 s2, s3, s2
.LBB479_2:
	s_delay_alu instid0(SALU_CYCLE_1)
	s_and_not1_b32 vcc_lo, exec_lo, s2
	s_cbranch_vccnz .LBB479_35
; %bb.3:
	s_load_b32 s33, s[0:1], 0x68
	s_bfe_u32 s2, ttmp6, 0x40014
	s_lshr_b32 s3, ttmp7, 16
	s_add_co_i32 s2, s2, 1
	s_bfe_u32 s5, ttmp6, 0x40008
	s_mul_i32 s4, s3, s2
	s_getreg_b32 s2, hwreg(HW_REG_IB_STS2, 6, 4)
	s_add_co_i32 s5, s5, s4
	s_cmp_eq_u32 s2, 0
	s_mov_b32 s25, 0
	s_cselect_b32 s24, s3, s5
	s_wait_kmcnt 0x0
	s_cmp_ge_u32 s24, s33
	s_cbranch_scc1 .LBB479_35
; %bb.4:
	s_bfe_u32 s3, ttmp6, 0x4000c
	s_bfe_u32 s5, ttmp6, 0x40010
	s_add_co_i32 s3, s3, 1
	s_and_b32 s34, ttmp7, 0xffff
	s_add_co_i32 s5, s5, 1
	v_and_b32_e32 v13, 0x3ff, v0
	v_bfe_u32 v15, v0, 10, 10
	s_and_b32 s4, ttmp6, 15
	s_mul_i32 s3, ttmp9, s3
	s_mul_i32 s5, s34, s5
	s_bfe_u32 s35, ttmp6, 0x40004
	s_add_co_i32 s4, s4, s3
	s_add_co_i32 s35, s35, s5
	s_cmp_eq_u32 s2, 0
	v_lshl_add_u32 v1, v15, 4, v13
	s_load_b32 s5, s[0:1], 0x0
	s_wait_xcnt 0x0
	s_cselect_b32 s0, s34, s35
	s_cselect_b32 s1, ttmp9, s4
	s_lshl_b32 s0, s0, 5
	s_delay_alu instid0(SALU_CYCLE_1) | instskip(SKIP_3) | instid1(VALU_DEP_2)
	v_dual_lshrrev_b32 v2, 5, v1 :: v_dual_add_nc_u32 v16, s0, v15
	v_dual_lshrrev_b32 v1, 3, v1 :: v_dual_bitop2_b32 v3, 31, v1 bitop3:0x40
	s_lshl_b32 s1, s1, 5
	v_cmp_neq_f64_e64 s37, s[10:11], 0
	v_dual_add_nc_u32 v18, 16, v16 :: v_dual_bitop2_b32 v4, s1, v3 bitop3:0x54
	v_ashrrev_i32_e32 v17, 31, v16
	v_cmp_neq_f64_e64 s34, s[6:7], 0
	v_dual_add_nc_u32 v6, s0, v1 :: v_dual_bitop2_b32 v0, 7, v0 bitop3:0x40
	s_delay_alu instid0(VALU_DEP_4) | instskip(NEXT) | instid1(VALU_DEP_4)
	v_ashrrev_i32_e32 v19, 31, v18
	v_mul_u64_e32 v[8:9], s[28:29], v[16:17]
	s_delay_alu instid0(VALU_DEP_3) | instskip(SKIP_1) | instid1(VALU_DEP_4)
	v_dual_lshlrev_b32 v3, 3, v3 :: v_dual_lshlrev_b32 v5, 3, v0
	v_add_nc_u32_e32 v12, s1, v13
	v_mul_u64_e32 v[10:11], s[28:29], v[18:19]
	v_cmp_gt_i64_e64 s38, s[8:9], 0
	s_wait_kmcnt 0x0
	v_cmp_gt_i32_e64 s0, s5, v4
	v_lshl_or_b32 v7, v1, 6, v5
	v_lshl_or_b32 v1, v2, 8, v3
	v_ashrrev_i32_e32 v5, 31, v4
	v_add_nc_u32_e32 v14, 16, v12
	v_cmp_le_i32_e32 vcc_lo, v16, v12
	v_add_nc_u32_e32 v3, 0x800, v7
	v_ashrrev_i32_e32 v7, 31, v6
	v_cmp_gt_i32_e64 s2, s5, v12
	v_cmp_gt_i32_e64 s1, s5, v6
	v_cmp_le_i32_e64 s3, v16, v14
	v_cmp_gt_i32_e64 s4, s5, v14
	v_cmp_le_i32_e64 s5, v18, v14
	s_and_b32 s28, vcc_lo, s2
	v_cmp_le_i32_e32 vcc_lo, v18, v12
	v_dual_lshlrev_b32 v36, 3, v13 :: v_dual_ashrrev_i32 v13, 31, v12
	v_lshl_add_u32 v37, v15, 6, 0x800
	v_dual_ashrrev_i32 v15, 31, v14 :: v_dual_mov_b32 v17, 0
	s_and_b32 s29, s3, s4
	s_and_b32 s35, vcc_lo, s2
	s_and_b32 s36, s5, s4
	s_and_b32 s37, s37, s38
	s_lshl_b64 s[2:3], s[22:23], 3
	s_lshl_b64 s[4:5], s[16:17], 3
	s_lshl_b64 s[16:17], s[30:31], 3
	s_branch .LBB479_6
.LBB479_5:                              ;   in Loop: Header=BB479_6 Depth=1
	s_wait_xcnt 0x0
	s_or_b32 exec_lo, exec_lo, s22
	s_add_co_i32 s24, s24, 0x10000
	s_delay_alu instid0(SALU_CYCLE_1)
	s_cmp_lt_u32 s24, s33
	s_cbranch_scc0 .LBB479_35
.LBB479_6:                              ; =>This Loop Header: Depth=1
                                        ;     Child Loop BB479_9 Depth 2
	v_mov_b32_e32 v16, s24
	v_mov_b64_e32 v[26:27], 0
	v_mov_b64_e32 v[22:23], 0
	;; [unrolled: 1-line block ×4, first 2 shown]
	global_load_b64 v[24:25], v16, s[26:27] scale_offset
	s_and_not1_b32 vcc_lo, exec_lo, s37
	s_cbranch_vccnz .LBB479_15
; %bb.7:                                ;   in Loop: Header=BB479_6 Depth=1
	s_lshl_b64 s[22:23], s[24:25], 3
	v_mov_b64_e32 v[22:23], 0
	s_add_nc_u64 s[30:31], s[12:13], s[22:23]
	s_add_nc_u64 s[22:23], s[18:19], s[22:23]
	s_clause 0x1
	global_load_b64 v[18:19], v17, s[30:31]
	global_load_b64 v[20:21], v17, s[22:23]
	v_mov_b64_e32 v[26:27], 0
	s_wait_xcnt 0x0
	s_mov_b64 s[22:23], 0
	s_wait_loadcnt 0x1
	v_add_nc_u64_e32 v[28:29], s[4:5], v[18:19]
	s_wait_loadcnt 0x0
	v_add_nc_u64_e32 v[30:31], s[2:3], v[20:21]
	v_mov_b64_e32 v[18:19], 0
	v_mov_b64_e32 v[20:21], 0
	s_delay_alu instid0(VALU_DEP_4) | instskip(NEXT) | instid1(VALU_DEP_4)
	v_lshl_add_u64 v[28:29], v[4:5], 3, v[28:29]
	v_lshl_add_u64 v[30:31], v[6:7], 3, v[30:31]
	s_branch .LBB479_9
.LBB479_8:                              ;   in Loop: Header=BB479_9 Depth=2
	s_wait_xcnt 0x0
	s_or_b32 exec_lo, exec_lo, s30
	s_wait_loadcnt_dscnt 0x0
	ds_store_b64 v3, v[34:35]
	s_wait_dscnt 0x0
	s_barrier_signal -1
	s_barrier_wait -1
	ds_load_b128 v[32:35], v37
	ds_load_2addr_b64 v[38:41], v36 offset1:16
	ds_load_b128 v[42:45], v37 offset:1024
	ds_load_b128 v[46:49], v37 offset:16
	;; [unrolled: 1-line block ×3, first 2 shown]
	s_add_nc_u64 s[22:23], s[22:23], 8
	s_delay_alu instid0(SALU_CYCLE_1)
	v_cmp_gt_i64_e64 s30, s[8:9], s[22:23]
	s_and_b32 vcc_lo, exec_lo, s30
	s_wait_dscnt 0x3
	v_fmac_f64_e32 v[26:27], v[38:39], v[32:33]
	v_fmac_f64_e32 v[22:23], v[40:41], v[32:33]
	s_wait_dscnt 0x2
	v_fmac_f64_e32 v[20:21], v[38:39], v[42:43]
	v_fmac_f64_e32 v[18:19], v[40:41], v[42:43]
	ds_load_2addr_b64 v[38:41], v36 offset0:32 offset1:48
	s_wait_dscnt 0x0
	v_fmac_f64_e32 v[26:27], v[38:39], v[34:35]
	v_fmac_f64_e32 v[22:23], v[40:41], v[34:35]
	v_fmac_f64_e32 v[20:21], v[38:39], v[44:45]
	v_fmac_f64_e32 v[18:19], v[40:41], v[44:45]
	ds_load_2addr_b64 v[32:35], v36 offset0:64 offset1:80
	s_wait_dscnt 0x0
	v_fmac_f64_e32 v[26:27], v[32:33], v[46:47]
	v_fmac_f64_e32 v[22:23], v[34:35], v[46:47]
	;; [unrolled: 6-line block ×3, first 2 shown]
	v_fmac_f64_e32 v[20:21], v[32:33], v[52:53]
	v_fmac_f64_e32 v[18:19], v[34:35], v[52:53]
	ds_load_b128 v[32:35], v37 offset:32
	ds_load_2addr_b64 v[38:41], v36 offset0:128 offset1:144
	ds_load_b128 v[42:45], v37 offset:1056
	ds_load_b128 v[46:49], v37 offset:48
	;; [unrolled: 1-line block ×3, first 2 shown]
	s_wait_dscnt 0x3
	v_fmac_f64_e32 v[26:27], v[38:39], v[32:33]
	v_fmac_f64_e32 v[22:23], v[40:41], v[32:33]
	s_wait_dscnt 0x2
	v_fmac_f64_e32 v[20:21], v[38:39], v[42:43]
	v_fmac_f64_e32 v[18:19], v[40:41], v[42:43]
	ds_load_2addr_b64 v[38:41], v36 offset0:160 offset1:176
	s_wait_dscnt 0x0
	v_fmac_f64_e32 v[26:27], v[38:39], v[34:35]
	v_fmac_f64_e32 v[22:23], v[40:41], v[34:35]
	;; [unrolled: 1-line block ×4, first 2 shown]
	ds_load_2addr_b64 v[32:35], v36 offset0:192 offset1:208
	s_wait_dscnt 0x0
	v_fmac_f64_e32 v[26:27], v[32:33], v[46:47]
	v_fmac_f64_e32 v[22:23], v[34:35], v[46:47]
	;; [unrolled: 1-line block ×4, first 2 shown]
	ds_load_2addr_b64 v[32:35], v36 offset0:224 offset1:240
	s_wait_dscnt 0x0
	s_barrier_signal -1
	s_barrier_wait -1
	v_fmac_f64_e32 v[26:27], v[32:33], v[48:49]
	v_fmac_f64_e32 v[22:23], v[34:35], v[48:49]
	;; [unrolled: 1-line block ×4, first 2 shown]
	s_cbranch_vccz .LBB479_15
.LBB479_9:                              ;   Parent Loop BB479_6 Depth=1
                                        ; =>  This Inner Loop Header: Depth=2
	v_mov_b64_e32 v[32:33], 0
	s_and_saveexec_b32 s30, s0
	s_cbranch_execz .LBB479_13
; %bb.10:                               ;   in Loop: Header=BB479_9 Depth=2
	v_mov_b64_e32 v[32:33], 0
	v_add_nc_u32_e32 v16, s22, v2
	s_mov_b32 s31, exec_lo
	s_delay_alu instid0(VALU_DEP_1)
	v_cmpx_gt_u64_e64 s[8:9], v[16:17]
	s_cbranch_execz .LBB479_12
; %bb.11:                               ;   in Loop: Header=BB479_9 Depth=2
	v_mul_u64_e32 v[32:33], s[14:15], v[16:17]
	s_delay_alu instid0(VALU_DEP_1)
	v_lshl_add_u64 v[32:33], v[32:33], 3, v[28:29]
	flat_load_b64 v[32:33], v[32:33]
.LBB479_12:                             ;   in Loop: Header=BB479_9 Depth=2
	s_wait_xcnt 0x0
	s_or_b32 exec_lo, exec_lo, s31
.LBB479_13:                             ;   in Loop: Header=BB479_9 Depth=2
	s_delay_alu instid0(SALU_CYCLE_1)
	s_or_b32 exec_lo, exec_lo, s30
	v_add_nc_u32_e32 v16, s22, v0
	v_mov_b64_e32 v[34:35], 0
	s_wait_loadcnt_dscnt 0x0
	ds_store_b64 v1, v[32:33]
	v_cmp_gt_u64_e32 vcc_lo, s[8:9], v[16:17]
	s_and_b32 s31, vcc_lo, s1
	s_delay_alu instid0(SALU_CYCLE_1)
	s_and_saveexec_b32 s30, s31
	s_cbranch_execz .LBB479_8
; %bb.14:                               ;   in Loop: Header=BB479_9 Depth=2
	v_mul_u64_e32 v[32:33], s[20:21], v[16:17]
	s_delay_alu instid0(VALU_DEP_1)
	v_lshl_add_u64 v[32:33], v[32:33], 3, v[30:31]
	flat_load_b64 v[34:35], v[32:33]
	s_branch .LBB479_8
.LBB479_15:                             ;   in Loop: Header=BB479_6 Depth=1
	s_wait_loadcnt 0x0
	v_add_nc_u64_e32 v[24:25], s[16:17], v[24:25]
	s_delay_alu instid0(VALU_DEP_1)
	v_lshl_add_u64 v[28:29], v[8:9], 3, v[24:25]
	s_wait_xcnt 0x0
	s_and_saveexec_b32 s22, s28
	s_cbranch_execz .LBB479_19
; %bb.16:                               ;   in Loop: Header=BB479_6 Depth=1
	v_mul_f64_e32 v[26:27], s[10:11], v[26:27]
	v_lshl_add_u64 v[30:31], v[12:13], 3, v[28:29]
	s_and_b32 vcc_lo, exec_lo, s34
	s_cbranch_vccz .LBB479_30
; %bb.17:                               ;   in Loop: Header=BB479_6 Depth=1
	flat_load_b64 v[32:33], v[30:31]
	s_wait_loadcnt_dscnt 0x0
	v_fma_f64 v[32:33], s[6:7], v[32:33], v[26:27]
	flat_store_b64 v[30:31], v[32:33]
	s_cbranch_execnz .LBB479_19
.LBB479_18:                             ;   in Loop: Header=BB479_6 Depth=1
	flat_store_b64 v[30:31], v[26:27]
.LBB479_19:                             ;   in Loop: Header=BB479_6 Depth=1
	s_wait_xcnt 0x0
	s_or_b32 exec_lo, exec_lo, s22
	s_and_saveexec_b32 s22, s29
	s_cbranch_execz .LBB479_23
; %bb.20:                               ;   in Loop: Header=BB479_6 Depth=1
	v_mul_f64_e32 v[22:23], s[10:11], v[22:23]
	v_lshl_add_u64 v[26:27], v[14:15], 3, v[28:29]
	s_and_not1_b32 vcc_lo, exec_lo, s34
	s_cbranch_vccnz .LBB479_31
; %bb.21:                               ;   in Loop: Header=BB479_6 Depth=1
	flat_load_b64 v[28:29], v[26:27]
	s_wait_loadcnt_dscnt 0x0
	v_fma_f64 v[28:29], s[6:7], v[28:29], v[22:23]
	flat_store_b64 v[26:27], v[28:29]
	s_cbranch_execnz .LBB479_23
.LBB479_22:                             ;   in Loop: Header=BB479_6 Depth=1
	flat_store_b64 v[26:27], v[22:23]
.LBB479_23:                             ;   in Loop: Header=BB479_6 Depth=1
	s_wait_xcnt 0x0
	s_or_b32 exec_lo, exec_lo, s22
	v_lshl_add_u64 v[22:23], v[10:11], 3, v[24:25]
	s_and_saveexec_b32 s22, s35
	s_cbranch_execz .LBB479_27
; %bb.24:                               ;   in Loop: Header=BB479_6 Depth=1
	v_mul_f64_e32 v[20:21], s[10:11], v[20:21]
	s_delay_alu instid0(VALU_DEP_2)
	v_lshl_add_u64 v[24:25], v[12:13], 3, v[22:23]
	s_and_not1_b32 vcc_lo, exec_lo, s34
	s_cbranch_vccnz .LBB479_32
; %bb.25:                               ;   in Loop: Header=BB479_6 Depth=1
	flat_load_b64 v[26:27], v[24:25]
	s_wait_loadcnt_dscnt 0x0
	v_fma_f64 v[26:27], s[6:7], v[26:27], v[20:21]
	flat_store_b64 v[24:25], v[26:27]
	s_cbranch_execnz .LBB479_27
.LBB479_26:                             ;   in Loop: Header=BB479_6 Depth=1
	flat_store_b64 v[24:25], v[20:21]
.LBB479_27:                             ;   in Loop: Header=BB479_6 Depth=1
	s_wait_xcnt 0x0
	s_or_b32 exec_lo, exec_lo, s22
	s_and_saveexec_b32 s22, s36
	s_cbranch_execz .LBB479_5
; %bb.28:                               ;   in Loop: Header=BB479_6 Depth=1
	s_delay_alu instid0(VALU_DEP_4)
	v_mul_f64_e32 v[18:19], s[10:11], v[18:19]
	v_lshl_add_u64 v[20:21], v[14:15], 3, v[22:23]
	s_and_not1_b32 vcc_lo, exec_lo, s34
	s_cbranch_vccnz .LBB479_33
; %bb.29:                               ;   in Loop: Header=BB479_6 Depth=1
	flat_load_b64 v[22:23], v[20:21]
	s_wait_loadcnt_dscnt 0x0
	v_fma_f64 v[22:23], s[6:7], v[22:23], v[18:19]
	flat_store_b64 v[20:21], v[22:23]
	s_cbranch_execnz .LBB479_5
	s_branch .LBB479_34
.LBB479_30:                             ;   in Loop: Header=BB479_6 Depth=1
	s_branch .LBB479_18
.LBB479_31:                             ;   in Loop: Header=BB479_6 Depth=1
	s_branch .LBB479_22
.LBB479_32:                             ;   in Loop: Header=BB479_6 Depth=1
	s_branch .LBB479_26
.LBB479_33:                             ;   in Loop: Header=BB479_6 Depth=1
.LBB479_34:                             ;   in Loop: Header=BB479_6 Depth=1
	flat_store_b64 v[20:21], v[18:19]
	s_branch .LBB479_5
.LBB479_35:
	s_endpgm
	.section	.rodata,"a",@progbits
	.p2align	6, 0x0
	.amdhsa_kernel _ZL29rocblas_internal_gemmt_kernelIlLi16ELi32ELi8ELc78ELc67ELc76ELb0ELb0EdPKdPKS1_PKPdEviT_T9_T10_S7_lS9_S7_lS8_T11_S7_li
		.amdhsa_group_segment_fixed_size 4096
		.amdhsa_private_segment_fixed_size 0
		.amdhsa_kernarg_size 108
		.amdhsa_user_sgpr_count 2
		.amdhsa_user_sgpr_dispatch_ptr 0
		.amdhsa_user_sgpr_queue_ptr 0
		.amdhsa_user_sgpr_kernarg_segment_ptr 1
		.amdhsa_user_sgpr_dispatch_id 0
		.amdhsa_user_sgpr_kernarg_preload_length 0
		.amdhsa_user_sgpr_kernarg_preload_offset 0
		.amdhsa_user_sgpr_private_segment_size 0
		.amdhsa_wavefront_size32 1
		.amdhsa_uses_dynamic_stack 0
		.amdhsa_enable_private_segment 0
		.amdhsa_system_sgpr_workgroup_id_x 1
		.amdhsa_system_sgpr_workgroup_id_y 1
		.amdhsa_system_sgpr_workgroup_id_z 1
		.amdhsa_system_sgpr_workgroup_info 0
		.amdhsa_system_vgpr_workitem_id 1
		.amdhsa_next_free_vgpr 54
		.amdhsa_next_free_sgpr 39
		.amdhsa_named_barrier_count 0
		.amdhsa_reserve_vcc 1
		.amdhsa_float_round_mode_32 0
		.amdhsa_float_round_mode_16_64 0
		.amdhsa_float_denorm_mode_32 3
		.amdhsa_float_denorm_mode_16_64 3
		.amdhsa_fp16_overflow 0
		.amdhsa_memory_ordered 1
		.amdhsa_forward_progress 1
		.amdhsa_inst_pref_size 13
		.amdhsa_round_robin_scheduling 0
		.amdhsa_exception_fp_ieee_invalid_op 0
		.amdhsa_exception_fp_denorm_src 0
		.amdhsa_exception_fp_ieee_div_zero 0
		.amdhsa_exception_fp_ieee_overflow 0
		.amdhsa_exception_fp_ieee_underflow 0
		.amdhsa_exception_fp_ieee_inexact 0
		.amdhsa_exception_int_div_zero 0
	.end_amdhsa_kernel
	.section	.text._ZL29rocblas_internal_gemmt_kernelIlLi16ELi32ELi8ELc78ELc67ELc76ELb0ELb0EdPKdPKS1_PKPdEviT_T9_T10_S7_lS9_S7_lS8_T11_S7_li,"axG",@progbits,_ZL29rocblas_internal_gemmt_kernelIlLi16ELi32ELi8ELc78ELc67ELc76ELb0ELb0EdPKdPKS1_PKPdEviT_T9_T10_S7_lS9_S7_lS8_T11_S7_li,comdat
.Lfunc_end479:
	.size	_ZL29rocblas_internal_gemmt_kernelIlLi16ELi32ELi8ELc78ELc67ELc76ELb0ELb0EdPKdPKS1_PKPdEviT_T9_T10_S7_lS9_S7_lS8_T11_S7_li, .Lfunc_end479-_ZL29rocblas_internal_gemmt_kernelIlLi16ELi32ELi8ELc78ELc67ELc76ELb0ELb0EdPKdPKS1_PKPdEviT_T9_T10_S7_lS9_S7_lS8_T11_S7_li
                                        ; -- End function
	.set _ZL29rocblas_internal_gemmt_kernelIlLi16ELi32ELi8ELc78ELc67ELc76ELb0ELb0EdPKdPKS1_PKPdEviT_T9_T10_S7_lS9_S7_lS8_T11_S7_li.num_vgpr, 54
	.set _ZL29rocblas_internal_gemmt_kernelIlLi16ELi32ELi8ELc78ELc67ELc76ELb0ELb0EdPKdPKS1_PKPdEviT_T9_T10_S7_lS9_S7_lS8_T11_S7_li.num_agpr, 0
	.set _ZL29rocblas_internal_gemmt_kernelIlLi16ELi32ELi8ELc78ELc67ELc76ELb0ELb0EdPKdPKS1_PKPdEviT_T9_T10_S7_lS9_S7_lS8_T11_S7_li.numbered_sgpr, 39
	.set _ZL29rocblas_internal_gemmt_kernelIlLi16ELi32ELi8ELc78ELc67ELc76ELb0ELb0EdPKdPKS1_PKPdEviT_T9_T10_S7_lS9_S7_lS8_T11_S7_li.num_named_barrier, 0
	.set _ZL29rocblas_internal_gemmt_kernelIlLi16ELi32ELi8ELc78ELc67ELc76ELb0ELb0EdPKdPKS1_PKPdEviT_T9_T10_S7_lS9_S7_lS8_T11_S7_li.private_seg_size, 0
	.set _ZL29rocblas_internal_gemmt_kernelIlLi16ELi32ELi8ELc78ELc67ELc76ELb0ELb0EdPKdPKS1_PKPdEviT_T9_T10_S7_lS9_S7_lS8_T11_S7_li.uses_vcc, 1
	.set _ZL29rocblas_internal_gemmt_kernelIlLi16ELi32ELi8ELc78ELc67ELc76ELb0ELb0EdPKdPKS1_PKPdEviT_T9_T10_S7_lS9_S7_lS8_T11_S7_li.uses_flat_scratch, 0
	.set _ZL29rocblas_internal_gemmt_kernelIlLi16ELi32ELi8ELc78ELc67ELc76ELb0ELb0EdPKdPKS1_PKPdEviT_T9_T10_S7_lS9_S7_lS8_T11_S7_li.has_dyn_sized_stack, 0
	.set _ZL29rocblas_internal_gemmt_kernelIlLi16ELi32ELi8ELc78ELc67ELc76ELb0ELb0EdPKdPKS1_PKPdEviT_T9_T10_S7_lS9_S7_lS8_T11_S7_li.has_recursion, 0
	.set _ZL29rocblas_internal_gemmt_kernelIlLi16ELi32ELi8ELc78ELc67ELc76ELb0ELb0EdPKdPKS1_PKPdEviT_T9_T10_S7_lS9_S7_lS8_T11_S7_li.has_indirect_call, 0
	.section	.AMDGPU.csdata,"",@progbits
; Kernel info:
; codeLenInByte = 1660
; TotalNumSgprs: 41
; NumVgprs: 54
; ScratchSize: 0
; MemoryBound: 0
; FloatMode: 240
; IeeeMode: 1
; LDSByteSize: 4096 bytes/workgroup (compile time only)
; SGPRBlocks: 0
; VGPRBlocks: 3
; NumSGPRsForWavesPerEU: 41
; NumVGPRsForWavesPerEU: 54
; NamedBarCnt: 0
; Occupancy: 16
; WaveLimiterHint : 1
; COMPUTE_PGM_RSRC2:SCRATCH_EN: 0
; COMPUTE_PGM_RSRC2:USER_SGPR: 2
; COMPUTE_PGM_RSRC2:TRAP_HANDLER: 0
; COMPUTE_PGM_RSRC2:TGID_X_EN: 1
; COMPUTE_PGM_RSRC2:TGID_Y_EN: 1
; COMPUTE_PGM_RSRC2:TGID_Z_EN: 1
; COMPUTE_PGM_RSRC2:TIDIG_COMP_CNT: 1
	.section	.text._ZL29rocblas_internal_gemmt_kernelIlLi16ELi32ELi8ELc84ELc78ELc76ELb0ELb0EdPKdPKS1_PKPdEviT_T9_T10_S7_lS9_S7_lS8_T11_S7_li,"axG",@progbits,_ZL29rocblas_internal_gemmt_kernelIlLi16ELi32ELi8ELc84ELc78ELc76ELb0ELb0EdPKdPKS1_PKPdEviT_T9_T10_S7_lS9_S7_lS8_T11_S7_li,comdat
	.globl	_ZL29rocblas_internal_gemmt_kernelIlLi16ELi32ELi8ELc84ELc78ELc76ELb0ELb0EdPKdPKS1_PKPdEviT_T9_T10_S7_lS9_S7_lS8_T11_S7_li ; -- Begin function _ZL29rocblas_internal_gemmt_kernelIlLi16ELi32ELi8ELc84ELc78ELc76ELb0ELb0EdPKdPKS1_PKPdEviT_T9_T10_S7_lS9_S7_lS8_T11_S7_li
	.p2align	8
	.type	_ZL29rocblas_internal_gemmt_kernelIlLi16ELi32ELi8ELc84ELc78ELc76ELb0ELb0EdPKdPKS1_PKPdEviT_T9_T10_S7_lS9_S7_lS8_T11_S7_li,@function
_ZL29rocblas_internal_gemmt_kernelIlLi16ELi32ELi8ELc84ELc78ELc76ELb0ELb0EdPKdPKS1_PKPdEviT_T9_T10_S7_lS9_S7_lS8_T11_S7_li: ; @_ZL29rocblas_internal_gemmt_kernelIlLi16ELi32ELi8ELc84ELc78ELc76ELb0ELb0EdPKdPKS1_PKPdEviT_T9_T10_S7_lS9_S7_lS8_T11_S7_li
; %bb.0:
	s_load_b256 s[24:31], s[0:1], 0x48
	s_wait_kmcnt 0x0
	s_load_b64 s[6:7], s[24:25], 0x0
	s_load_b512 s[8:23], s[0:1], 0x8
	s_wait_kmcnt 0x0
	v_cmp_neq_f64_e64 s2, s[6:7], 1.0
	s_load_b64 s[10:11], s[10:11], 0x0
	s_and_b32 vcc_lo, exec_lo, s2
	s_cbranch_vccnz .LBB480_2
; %bb.1:
	s_wait_kmcnt 0x0
	v_cmp_neq_f64_e64 s2, s[10:11], 0
	s_cmp_lg_u64 s[8:9], 0
	s_cselect_b32 s3, -1, 0
	s_delay_alu instid0(SALU_CYCLE_1)
	s_and_b32 s2, s3, s2
.LBB480_2:
	s_delay_alu instid0(SALU_CYCLE_1)
	s_and_not1_b32 vcc_lo, exec_lo, s2
	s_cbranch_vccnz .LBB480_35
; %bb.3:
	s_load_b32 s33, s[0:1], 0x68
	s_bfe_u32 s2, ttmp6, 0x40014
	s_lshr_b32 s3, ttmp7, 16
	s_add_co_i32 s2, s2, 1
	s_bfe_u32 s5, ttmp6, 0x40008
	s_mul_i32 s4, s3, s2
	s_getreg_b32 s2, hwreg(HW_REG_IB_STS2, 6, 4)
	s_add_co_i32 s5, s5, s4
	s_cmp_eq_u32 s2, 0
	s_mov_b32 s25, 0
	s_cselect_b32 s24, s3, s5
	s_wait_kmcnt 0x0
	s_cmp_ge_u32 s24, s33
	s_cbranch_scc1 .LBB480_35
; %bb.4:
	v_and_b32_e32 v13, 0x3ff, v0
	v_bfe_u32 v22, v0, 10, 10
	s_bfe_u32 s3, ttmp6, 0x4000c
	s_bfe_u32 s5, ttmp6, 0x40010
	s_add_co_i32 s3, s3, 1
	s_and_b32 s34, ttmp7, 0xffff
	s_add_co_i32 s5, s5, 1
	v_lshl_add_u32 v1, v22, 4, v13
	s_and_b32 s4, ttmp6, 15
	s_mul_i32 s3, ttmp9, s3
	s_mul_i32 s5, s34, s5
	s_bfe_u32 s35, ttmp6, 0x40004
	s_add_co_i32 s4, s4, s3
	s_add_co_i32 s35, s35, s5
	s_cmp_eq_u32 s2, 0
	v_dual_lshrrev_b32 v12, 3, v1 :: v_dual_bitop2_b32 v11, 31, v1 bitop3:0x40
	s_cselect_b32 s2, ttmp9, s4
	s_cselect_b32 s3, s34, s35
	s_lshl_b32 s2, s2, 5
	s_lshl_b32 s3, s3, 5
	s_delay_alu instid0(SALU_CYCLE_1)
	v_dual_add_nc_u32 v16, s3, v22 :: v_dual_bitop2_b32 v14, s2, v11 bitop3:0x54
	v_add_nc_u32_e32 v18, s3, v12
	v_cmp_neq_f64_e64 s35, s[10:11], 0
	s_load_b32 s4, s[0:1], 0x0
	v_dual_ashrrev_i32 v15, 31, v14 :: v_dual_add_nc_u32 v20, 16, v16
	v_ashrrev_i32_e32 v17, 31, v16
	v_dual_ashrrev_i32 v19, 31, v18 :: v_dual_bitop2_b32 v0, 7, v0 bitop3:0x40
	s_delay_alu instid0(VALU_DEP_3) | instskip(NEXT) | instid1(VALU_DEP_4)
	v_mul_u64_e32 v[2:3], s[14:15], v[14:15]
	v_dual_ashrrev_i32 v21, 31, v20 :: v_dual_lshrrev_b32 v10, 5, v1
	s_delay_alu instid0(VALU_DEP_4) | instskip(NEXT) | instid1(VALU_DEP_4)
	v_mul_u64_e32 v[6:7], s[28:29], v[16:17]
	v_mul_u64_e32 v[4:5], s[20:21], v[18:19]
	v_cmp_neq_f64_e64 s20, s[6:7], 0
	s_delay_alu instid0(VALU_DEP_4) | instskip(SKIP_4) | instid1(VALU_DEP_4)
	v_mul_u64_e32 v[8:9], s[28:29], v[20:21]
	v_dual_lshlrev_b32 v15, 3, v0 :: v_dual_lshlrev_b32 v1, 3, v11
	v_lshlrev_b32_e32 v36, 3, v13
	v_cmp_gt_i64_e64 s14, s[8:9], 0
	v_lshl_add_u32 v37, v22, 6, 0x800
	v_lshl_or_b32 v11, v12, 6, v15
	v_add_nc_u32_e32 v12, s2, v13
	s_wait_kmcnt 0x0
	v_cmp_gt_i32_e64 s0, s4, v14
	v_cmp_gt_i32_e64 s1, s4, v18
	v_lshl_or_b32 v1, v10, 8, v1
	v_add_nc_u32_e32 v11, 0x800, v11
	v_dual_add_nc_u32 v14, 16, v12 :: v_dual_ashrrev_i32 v13, 31, v12
	v_cmp_le_i32_e32 vcc_lo, v16, v12
	v_cmp_gt_i32_e64 s2, s4, v12
	s_delay_alu instid0(VALU_DEP_3)
	v_dual_mov_b32 v17, 0 :: v_dual_ashrrev_i32 v15, 31, v14
	v_cmp_le_i32_e64 s3, v16, v14
	v_cmp_gt_i32_e64 s4, s4, v14
	s_and_b32 s21, vcc_lo, s2
	v_cmp_le_i32_e32 vcc_lo, v20, v12
	v_cmp_le_i32_e64 s5, v20, v14
	s_and_b32 s35, s35, s14
	s_and_b32 s28, s3, s4
	s_lshl_b64 s[14:15], s[30:31], 3
	s_and_b32 s29, vcc_lo, s2
	s_and_b32 s34, s5, s4
	s_lshl_b64 s[2:3], s[22:23], 3
	s_lshl_b64 s[4:5], s[16:17], 3
	s_branch .LBB480_6
.LBB480_5:                              ;   in Loop: Header=BB480_6 Depth=1
	s_wait_xcnt 0x0
	s_or_b32 exec_lo, exec_lo, s16
	s_add_co_i32 s24, s24, 0x10000
	s_delay_alu instid0(SALU_CYCLE_1)
	s_cmp_lt_u32 s24, s33
	s_cbranch_scc0 .LBB480_35
.LBB480_6:                              ; =>This Loop Header: Depth=1
                                        ;     Child Loop BB480_9 Depth 2
	v_mov_b32_e32 v16, s24
	v_mov_b64_e32 v[26:27], 0
	v_mov_b64_e32 v[22:23], 0
	;; [unrolled: 1-line block ×4, first 2 shown]
	global_load_b64 v[24:25], v16, s[26:27] scale_offset
	s_and_not1_b32 vcc_lo, exec_lo, s35
	s_cbranch_vccnz .LBB480_15
; %bb.7:                                ;   in Loop: Header=BB480_6 Depth=1
	s_lshl_b64 s[16:17], s[24:25], 3
	v_mov_b64_e32 v[22:23], 0
	s_add_nc_u64 s[22:23], s[12:13], s[16:17]
	s_add_nc_u64 s[16:17], s[18:19], s[16:17]
	s_clause 0x1
	global_load_b64 v[18:19], v17, s[22:23]
	global_load_b64 v[20:21], v17, s[16:17]
	v_mov_b64_e32 v[26:27], 0
	s_wait_xcnt 0x0
	s_mov_b64 s[16:17], 0
	s_wait_loadcnt 0x1
	v_add_nc_u64_e32 v[28:29], s[4:5], v[18:19]
	s_wait_loadcnt 0x0
	v_add_nc_u64_e32 v[30:31], s[2:3], v[20:21]
	v_mov_b64_e32 v[18:19], 0
	v_mov_b64_e32 v[20:21], 0
	s_delay_alu instid0(VALU_DEP_4) | instskip(NEXT) | instid1(VALU_DEP_4)
	v_lshl_add_u64 v[28:29], v[2:3], 3, v[28:29]
	v_lshl_add_u64 v[30:31], v[4:5], 3, v[30:31]
	s_branch .LBB480_9
.LBB480_8:                              ;   in Loop: Header=BB480_9 Depth=2
	s_wait_xcnt 0x0
	s_or_b32 exec_lo, exec_lo, s22
	s_wait_loadcnt_dscnt 0x0
	ds_store_b64 v11, v[34:35]
	s_wait_dscnt 0x0
	s_barrier_signal -1
	s_barrier_wait -1
	ds_load_b128 v[32:35], v37
	ds_load_2addr_b64 v[38:41], v36 offset1:16
	ds_load_b128 v[42:45], v37 offset:1024
	ds_load_b128 v[46:49], v37 offset:16
	;; [unrolled: 1-line block ×3, first 2 shown]
	s_add_nc_u64 s[16:17], s[16:17], 8
	s_delay_alu instid0(SALU_CYCLE_1)
	v_cmp_gt_i64_e64 s22, s[8:9], s[16:17]
	s_and_b32 vcc_lo, exec_lo, s22
	s_wait_dscnt 0x3
	v_fmac_f64_e32 v[26:27], v[38:39], v[32:33]
	v_fmac_f64_e32 v[22:23], v[40:41], v[32:33]
	s_wait_dscnt 0x2
	v_fmac_f64_e32 v[20:21], v[38:39], v[42:43]
	v_fmac_f64_e32 v[18:19], v[40:41], v[42:43]
	ds_load_2addr_b64 v[38:41], v36 offset0:32 offset1:48
	s_wait_dscnt 0x0
	v_fmac_f64_e32 v[26:27], v[38:39], v[34:35]
	v_fmac_f64_e32 v[22:23], v[40:41], v[34:35]
	v_fmac_f64_e32 v[20:21], v[38:39], v[44:45]
	v_fmac_f64_e32 v[18:19], v[40:41], v[44:45]
	ds_load_2addr_b64 v[32:35], v36 offset0:64 offset1:80
	s_wait_dscnt 0x0
	v_fmac_f64_e32 v[26:27], v[32:33], v[46:47]
	v_fmac_f64_e32 v[22:23], v[34:35], v[46:47]
	;; [unrolled: 6-line block ×3, first 2 shown]
	v_fmac_f64_e32 v[20:21], v[32:33], v[52:53]
	v_fmac_f64_e32 v[18:19], v[34:35], v[52:53]
	ds_load_b128 v[32:35], v37 offset:32
	ds_load_2addr_b64 v[38:41], v36 offset0:128 offset1:144
	ds_load_b128 v[42:45], v37 offset:1056
	ds_load_b128 v[46:49], v37 offset:48
	;; [unrolled: 1-line block ×3, first 2 shown]
	s_wait_dscnt 0x3
	v_fmac_f64_e32 v[26:27], v[38:39], v[32:33]
	v_fmac_f64_e32 v[22:23], v[40:41], v[32:33]
	s_wait_dscnt 0x2
	v_fmac_f64_e32 v[20:21], v[38:39], v[42:43]
	v_fmac_f64_e32 v[18:19], v[40:41], v[42:43]
	ds_load_2addr_b64 v[38:41], v36 offset0:160 offset1:176
	s_wait_dscnt 0x0
	v_fmac_f64_e32 v[26:27], v[38:39], v[34:35]
	v_fmac_f64_e32 v[22:23], v[40:41], v[34:35]
	;; [unrolled: 1-line block ×4, first 2 shown]
	ds_load_2addr_b64 v[32:35], v36 offset0:192 offset1:208
	s_wait_dscnt 0x0
	v_fmac_f64_e32 v[26:27], v[32:33], v[46:47]
	v_fmac_f64_e32 v[22:23], v[34:35], v[46:47]
	;; [unrolled: 1-line block ×4, first 2 shown]
	ds_load_2addr_b64 v[32:35], v36 offset0:224 offset1:240
	s_wait_dscnt 0x0
	s_barrier_signal -1
	s_barrier_wait -1
	v_fmac_f64_e32 v[26:27], v[32:33], v[48:49]
	v_fmac_f64_e32 v[22:23], v[34:35], v[48:49]
	;; [unrolled: 1-line block ×4, first 2 shown]
	s_cbranch_vccz .LBB480_15
.LBB480_9:                              ;   Parent Loop BB480_6 Depth=1
                                        ; =>  This Inner Loop Header: Depth=2
	v_mov_b64_e32 v[32:33], 0
	s_and_saveexec_b32 s22, s0
	s_cbranch_execz .LBB480_13
; %bb.10:                               ;   in Loop: Header=BB480_9 Depth=2
	v_mov_b64_e32 v[32:33], 0
	v_add_nc_u32_e32 v16, s16, v10
	s_mov_b32 s23, exec_lo
	s_delay_alu instid0(VALU_DEP_1)
	v_cmpx_gt_u64_e64 s[8:9], v[16:17]
	s_cbranch_execz .LBB480_12
; %bb.11:                               ;   in Loop: Header=BB480_9 Depth=2
	v_lshl_add_u64 v[32:33], v[16:17], 3, v[28:29]
	flat_load_b64 v[32:33], v[32:33]
.LBB480_12:                             ;   in Loop: Header=BB480_9 Depth=2
	s_wait_xcnt 0x0
	s_or_b32 exec_lo, exec_lo, s23
.LBB480_13:                             ;   in Loop: Header=BB480_9 Depth=2
	s_delay_alu instid0(SALU_CYCLE_1)
	s_or_b32 exec_lo, exec_lo, s22
	v_add_nc_u32_e32 v16, s16, v0
	v_mov_b64_e32 v[34:35], 0
	s_wait_loadcnt_dscnt 0x0
	ds_store_b64 v1, v[32:33]
	v_cmp_gt_u64_e32 vcc_lo, s[8:9], v[16:17]
	s_and_b32 s23, vcc_lo, s1
	s_delay_alu instid0(SALU_CYCLE_1)
	s_and_saveexec_b32 s22, s23
	s_cbranch_execz .LBB480_8
; %bb.14:                               ;   in Loop: Header=BB480_9 Depth=2
	v_lshl_add_u64 v[32:33], v[16:17], 3, v[30:31]
	flat_load_b64 v[34:35], v[32:33]
	s_branch .LBB480_8
.LBB480_15:                             ;   in Loop: Header=BB480_6 Depth=1
	s_wait_loadcnt 0x0
	v_add_nc_u64_e32 v[24:25], s[14:15], v[24:25]
	s_delay_alu instid0(VALU_DEP_1)
	v_lshl_add_u64 v[28:29], v[6:7], 3, v[24:25]
	s_wait_xcnt 0x0
	s_and_saveexec_b32 s16, s21
	s_cbranch_execz .LBB480_19
; %bb.16:                               ;   in Loop: Header=BB480_6 Depth=1
	v_mul_f64_e32 v[26:27], s[10:11], v[26:27]
	v_lshl_add_u64 v[30:31], v[12:13], 3, v[28:29]
	s_and_b32 vcc_lo, exec_lo, s20
	s_cbranch_vccz .LBB480_30
; %bb.17:                               ;   in Loop: Header=BB480_6 Depth=1
	flat_load_b64 v[32:33], v[30:31]
	s_wait_loadcnt_dscnt 0x0
	v_fma_f64 v[32:33], s[6:7], v[32:33], v[26:27]
	flat_store_b64 v[30:31], v[32:33]
	s_cbranch_execnz .LBB480_19
.LBB480_18:                             ;   in Loop: Header=BB480_6 Depth=1
	flat_store_b64 v[30:31], v[26:27]
.LBB480_19:                             ;   in Loop: Header=BB480_6 Depth=1
	s_wait_xcnt 0x0
	s_or_b32 exec_lo, exec_lo, s16
	s_and_saveexec_b32 s16, s28
	s_cbranch_execz .LBB480_23
; %bb.20:                               ;   in Loop: Header=BB480_6 Depth=1
	v_mul_f64_e32 v[22:23], s[10:11], v[22:23]
	v_lshl_add_u64 v[26:27], v[14:15], 3, v[28:29]
	s_and_not1_b32 vcc_lo, exec_lo, s20
	s_cbranch_vccnz .LBB480_31
; %bb.21:                               ;   in Loop: Header=BB480_6 Depth=1
	flat_load_b64 v[28:29], v[26:27]
	s_wait_loadcnt_dscnt 0x0
	v_fma_f64 v[28:29], s[6:7], v[28:29], v[22:23]
	flat_store_b64 v[26:27], v[28:29]
	s_cbranch_execnz .LBB480_23
.LBB480_22:                             ;   in Loop: Header=BB480_6 Depth=1
	flat_store_b64 v[26:27], v[22:23]
.LBB480_23:                             ;   in Loop: Header=BB480_6 Depth=1
	s_wait_xcnt 0x0
	s_or_b32 exec_lo, exec_lo, s16
	v_lshl_add_u64 v[22:23], v[8:9], 3, v[24:25]
	s_and_saveexec_b32 s16, s29
	s_cbranch_execz .LBB480_27
; %bb.24:                               ;   in Loop: Header=BB480_6 Depth=1
	v_mul_f64_e32 v[20:21], s[10:11], v[20:21]
	s_delay_alu instid0(VALU_DEP_2)
	v_lshl_add_u64 v[24:25], v[12:13], 3, v[22:23]
	s_and_not1_b32 vcc_lo, exec_lo, s20
	s_cbranch_vccnz .LBB480_32
; %bb.25:                               ;   in Loop: Header=BB480_6 Depth=1
	flat_load_b64 v[26:27], v[24:25]
	s_wait_loadcnt_dscnt 0x0
	v_fma_f64 v[26:27], s[6:7], v[26:27], v[20:21]
	flat_store_b64 v[24:25], v[26:27]
	s_cbranch_execnz .LBB480_27
.LBB480_26:                             ;   in Loop: Header=BB480_6 Depth=1
	flat_store_b64 v[24:25], v[20:21]
.LBB480_27:                             ;   in Loop: Header=BB480_6 Depth=1
	s_wait_xcnt 0x0
	s_or_b32 exec_lo, exec_lo, s16
	s_and_saveexec_b32 s16, s34
	s_cbranch_execz .LBB480_5
; %bb.28:                               ;   in Loop: Header=BB480_6 Depth=1
	s_delay_alu instid0(VALU_DEP_4)
	v_mul_f64_e32 v[18:19], s[10:11], v[18:19]
	v_lshl_add_u64 v[20:21], v[14:15], 3, v[22:23]
	s_and_not1_b32 vcc_lo, exec_lo, s20
	s_cbranch_vccnz .LBB480_33
; %bb.29:                               ;   in Loop: Header=BB480_6 Depth=1
	flat_load_b64 v[22:23], v[20:21]
	s_wait_loadcnt_dscnt 0x0
	v_fma_f64 v[22:23], s[6:7], v[22:23], v[18:19]
	flat_store_b64 v[20:21], v[22:23]
	s_cbranch_execnz .LBB480_5
	s_branch .LBB480_34
.LBB480_30:                             ;   in Loop: Header=BB480_6 Depth=1
	s_branch .LBB480_18
.LBB480_31:                             ;   in Loop: Header=BB480_6 Depth=1
	s_branch .LBB480_22
.LBB480_32:                             ;   in Loop: Header=BB480_6 Depth=1
	s_branch .LBB480_26
.LBB480_33:                             ;   in Loop: Header=BB480_6 Depth=1
.LBB480_34:                             ;   in Loop: Header=BB480_6 Depth=1
	flat_store_b64 v[20:21], v[18:19]
	s_branch .LBB480_5
.LBB480_35:
	s_endpgm
	.section	.rodata,"a",@progbits
	.p2align	6, 0x0
	.amdhsa_kernel _ZL29rocblas_internal_gemmt_kernelIlLi16ELi32ELi8ELc84ELc78ELc76ELb0ELb0EdPKdPKS1_PKPdEviT_T9_T10_S7_lS9_S7_lS8_T11_S7_li
		.amdhsa_group_segment_fixed_size 4096
		.amdhsa_private_segment_fixed_size 0
		.amdhsa_kernarg_size 108
		.amdhsa_user_sgpr_count 2
		.amdhsa_user_sgpr_dispatch_ptr 0
		.amdhsa_user_sgpr_queue_ptr 0
		.amdhsa_user_sgpr_kernarg_segment_ptr 1
		.amdhsa_user_sgpr_dispatch_id 0
		.amdhsa_user_sgpr_kernarg_preload_length 0
		.amdhsa_user_sgpr_kernarg_preload_offset 0
		.amdhsa_user_sgpr_private_segment_size 0
		.amdhsa_wavefront_size32 1
		.amdhsa_uses_dynamic_stack 0
		.amdhsa_enable_private_segment 0
		.amdhsa_system_sgpr_workgroup_id_x 1
		.amdhsa_system_sgpr_workgroup_id_y 1
		.amdhsa_system_sgpr_workgroup_id_z 1
		.amdhsa_system_sgpr_workgroup_info 0
		.amdhsa_system_vgpr_workitem_id 1
		.amdhsa_next_free_vgpr 54
		.amdhsa_next_free_sgpr 36
		.amdhsa_named_barrier_count 0
		.amdhsa_reserve_vcc 1
		.amdhsa_float_round_mode_32 0
		.amdhsa_float_round_mode_16_64 0
		.amdhsa_float_denorm_mode_32 3
		.amdhsa_float_denorm_mode_16_64 3
		.amdhsa_fp16_overflow 0
		.amdhsa_memory_ordered 1
		.amdhsa_forward_progress 1
		.amdhsa_inst_pref_size 13
		.amdhsa_round_robin_scheduling 0
		.amdhsa_exception_fp_ieee_invalid_op 0
		.amdhsa_exception_fp_denorm_src 0
		.amdhsa_exception_fp_ieee_div_zero 0
		.amdhsa_exception_fp_ieee_overflow 0
		.amdhsa_exception_fp_ieee_underflow 0
		.amdhsa_exception_fp_ieee_inexact 0
		.amdhsa_exception_int_div_zero 0
	.end_amdhsa_kernel
	.section	.text._ZL29rocblas_internal_gemmt_kernelIlLi16ELi32ELi8ELc84ELc78ELc76ELb0ELb0EdPKdPKS1_PKPdEviT_T9_T10_S7_lS9_S7_lS8_T11_S7_li,"axG",@progbits,_ZL29rocblas_internal_gemmt_kernelIlLi16ELi32ELi8ELc84ELc78ELc76ELb0ELb0EdPKdPKS1_PKPdEviT_T9_T10_S7_lS9_S7_lS8_T11_S7_li,comdat
.Lfunc_end480:
	.size	_ZL29rocblas_internal_gemmt_kernelIlLi16ELi32ELi8ELc84ELc78ELc76ELb0ELb0EdPKdPKS1_PKPdEviT_T9_T10_S7_lS9_S7_lS8_T11_S7_li, .Lfunc_end480-_ZL29rocblas_internal_gemmt_kernelIlLi16ELi32ELi8ELc84ELc78ELc76ELb0ELb0EdPKdPKS1_PKPdEviT_T9_T10_S7_lS9_S7_lS8_T11_S7_li
                                        ; -- End function
	.set _ZL29rocblas_internal_gemmt_kernelIlLi16ELi32ELi8ELc84ELc78ELc76ELb0ELb0EdPKdPKS1_PKPdEviT_T9_T10_S7_lS9_S7_lS8_T11_S7_li.num_vgpr, 54
	.set _ZL29rocblas_internal_gemmt_kernelIlLi16ELi32ELi8ELc84ELc78ELc76ELb0ELb0EdPKdPKS1_PKPdEviT_T9_T10_S7_lS9_S7_lS8_T11_S7_li.num_agpr, 0
	.set _ZL29rocblas_internal_gemmt_kernelIlLi16ELi32ELi8ELc84ELc78ELc76ELb0ELb0EdPKdPKS1_PKPdEviT_T9_T10_S7_lS9_S7_lS8_T11_S7_li.numbered_sgpr, 36
	.set _ZL29rocblas_internal_gemmt_kernelIlLi16ELi32ELi8ELc84ELc78ELc76ELb0ELb0EdPKdPKS1_PKPdEviT_T9_T10_S7_lS9_S7_lS8_T11_S7_li.num_named_barrier, 0
	.set _ZL29rocblas_internal_gemmt_kernelIlLi16ELi32ELi8ELc84ELc78ELc76ELb0ELb0EdPKdPKS1_PKPdEviT_T9_T10_S7_lS9_S7_lS8_T11_S7_li.private_seg_size, 0
	.set _ZL29rocblas_internal_gemmt_kernelIlLi16ELi32ELi8ELc84ELc78ELc76ELb0ELb0EdPKdPKS1_PKPdEviT_T9_T10_S7_lS9_S7_lS8_T11_S7_li.uses_vcc, 1
	.set _ZL29rocblas_internal_gemmt_kernelIlLi16ELi32ELi8ELc84ELc78ELc76ELb0ELb0EdPKdPKS1_PKPdEviT_T9_T10_S7_lS9_S7_lS8_T11_S7_li.uses_flat_scratch, 0
	.set _ZL29rocblas_internal_gemmt_kernelIlLi16ELi32ELi8ELc84ELc78ELc76ELb0ELb0EdPKdPKS1_PKPdEviT_T9_T10_S7_lS9_S7_lS8_T11_S7_li.has_dyn_sized_stack, 0
	.set _ZL29rocblas_internal_gemmt_kernelIlLi16ELi32ELi8ELc84ELc78ELc76ELb0ELb0EdPKdPKS1_PKPdEviT_T9_T10_S7_lS9_S7_lS8_T11_S7_li.has_recursion, 0
	.set _ZL29rocblas_internal_gemmt_kernelIlLi16ELi32ELi8ELc84ELc78ELc76ELb0ELb0EdPKdPKS1_PKPdEviT_T9_T10_S7_lS9_S7_lS8_T11_S7_li.has_indirect_call, 0
	.section	.AMDGPU.csdata,"",@progbits
; Kernel info:
; codeLenInByte = 1660
; TotalNumSgprs: 38
; NumVgprs: 54
; ScratchSize: 0
; MemoryBound: 0
; FloatMode: 240
; IeeeMode: 1
; LDSByteSize: 4096 bytes/workgroup (compile time only)
; SGPRBlocks: 0
; VGPRBlocks: 3
; NumSGPRsForWavesPerEU: 38
; NumVGPRsForWavesPerEU: 54
; NamedBarCnt: 0
; Occupancy: 16
; WaveLimiterHint : 1
; COMPUTE_PGM_RSRC2:SCRATCH_EN: 0
; COMPUTE_PGM_RSRC2:USER_SGPR: 2
; COMPUTE_PGM_RSRC2:TRAP_HANDLER: 0
; COMPUTE_PGM_RSRC2:TGID_X_EN: 1
; COMPUTE_PGM_RSRC2:TGID_Y_EN: 1
; COMPUTE_PGM_RSRC2:TGID_Z_EN: 1
; COMPUTE_PGM_RSRC2:TIDIG_COMP_CNT: 1
	.section	.text._ZL29rocblas_internal_gemmt_kernelIlLi16ELi32ELi8ELc84ELc84ELc76ELb0ELb0EdPKdPKS1_PKPdEviT_T9_T10_S7_lS9_S7_lS8_T11_S7_li,"axG",@progbits,_ZL29rocblas_internal_gemmt_kernelIlLi16ELi32ELi8ELc84ELc84ELc76ELb0ELb0EdPKdPKS1_PKPdEviT_T9_T10_S7_lS9_S7_lS8_T11_S7_li,comdat
	.globl	_ZL29rocblas_internal_gemmt_kernelIlLi16ELi32ELi8ELc84ELc84ELc76ELb0ELb0EdPKdPKS1_PKPdEviT_T9_T10_S7_lS9_S7_lS8_T11_S7_li ; -- Begin function _ZL29rocblas_internal_gemmt_kernelIlLi16ELi32ELi8ELc84ELc84ELc76ELb0ELb0EdPKdPKS1_PKPdEviT_T9_T10_S7_lS9_S7_lS8_T11_S7_li
	.p2align	8
	.type	_ZL29rocblas_internal_gemmt_kernelIlLi16ELi32ELi8ELc84ELc84ELc76ELb0ELb0EdPKdPKS1_PKPdEviT_T9_T10_S7_lS9_S7_lS8_T11_S7_li,@function
_ZL29rocblas_internal_gemmt_kernelIlLi16ELi32ELi8ELc84ELc84ELc76ELb0ELb0EdPKdPKS1_PKPdEviT_T9_T10_S7_lS9_S7_lS8_T11_S7_li: ; @_ZL29rocblas_internal_gemmt_kernelIlLi16ELi32ELi8ELc84ELc84ELc76ELb0ELb0EdPKdPKS1_PKPdEviT_T9_T10_S7_lS9_S7_lS8_T11_S7_li
; %bb.0:
	s_load_b256 s[24:31], s[0:1], 0x48
	s_wait_kmcnt 0x0
	s_load_b64 s[6:7], s[24:25], 0x0
	s_load_b512 s[8:23], s[0:1], 0x8
	s_wait_kmcnt 0x0
	v_cmp_neq_f64_e64 s2, s[6:7], 1.0
	s_load_b64 s[10:11], s[10:11], 0x0
	s_and_b32 vcc_lo, exec_lo, s2
	s_cbranch_vccnz .LBB481_2
; %bb.1:
	s_wait_kmcnt 0x0
	v_cmp_neq_f64_e64 s2, s[10:11], 0
	s_cmp_lg_u64 s[8:9], 0
	s_cselect_b32 s3, -1, 0
	s_delay_alu instid0(SALU_CYCLE_1)
	s_and_b32 s2, s3, s2
.LBB481_2:
	s_delay_alu instid0(SALU_CYCLE_1)
	s_and_not1_b32 vcc_lo, exec_lo, s2
	s_cbranch_vccnz .LBB481_35
; %bb.3:
	s_load_b32 s33, s[0:1], 0x68
	s_bfe_u32 s2, ttmp6, 0x40014
	s_lshr_b32 s3, ttmp7, 16
	s_add_co_i32 s2, s2, 1
	s_bfe_u32 s5, ttmp6, 0x40008
	s_mul_i32 s4, s3, s2
	s_getreg_b32 s2, hwreg(HW_REG_IB_STS2, 6, 4)
	s_add_co_i32 s5, s5, s4
	s_cmp_eq_u32 s2, 0
	s_mov_b32 s25, 0
	s_cselect_b32 s24, s3, s5
	s_wait_kmcnt 0x0
	s_cmp_ge_u32 s24, s33
	s_cbranch_scc1 .LBB481_35
; %bb.4:
	s_load_b32 s4, s[0:1], 0x0
	s_wait_xcnt 0x0
	s_bfe_u32 s1, ttmp6, 0x4000c
	s_bfe_u32 s3, ttmp6, 0x40010
	s_add_co_i32 s1, s1, 1
	s_and_b32 s5, ttmp7, 0xffff
	s_add_co_i32 s3, s3, 1
	v_and_b32_e32 v15, 0x3ff, v0
	v_bfe_u32 v20, v0, 10, 10
	s_and_b32 s0, ttmp6, 15
	s_mul_i32 s1, ttmp9, s1
	s_mul_i32 s3, s5, s3
	s_bfe_u32 s34, ttmp6, 0x40004
	s_add_co_i32 s0, s0, s1
	s_add_co_i32 s34, s34, s3
	s_cmp_eq_u32 s2, 0
	v_lshl_add_u32 v1, v20, 4, v15
	s_cselect_b32 s1, s5, s34
	s_cselect_b32 s0, ttmp9, s0
	s_lshl_b32 s1, s1, 5
	s_lshl_b32 s2, s0, 5
	v_dual_add_nc_u32 v16, s1, v20 :: v_dual_bitop2_b32 v3, 31, v1 bitop3:0x40
	v_lshrrev_b32_e32 v5, 3, v1
	v_cmp_neq_f64_e64 s37, s[10:11], 0
	v_cmp_neq_f64_e64 s34, s[6:7], 0
	s_delay_alu instid0(VALU_DEP_4) | instskip(NEXT) | instid1(VALU_DEP_4)
	v_dual_add_nc_u32 v18, 16, v16 :: v_dual_bitop2_b32 v12, s2, v3 bitop3:0x54
	v_dual_add_nc_u32 v4, s1, v5 :: v_dual_ashrrev_i32 v17, 31, v16
	s_delay_alu instid0(VALU_DEP_2) | instskip(NEXT) | instid1(VALU_DEP_3)
	v_dual_lshlrev_b32 v3, 3, v3 :: v_dual_ashrrev_i32 v13, 31, v12
	v_dual_ashrrev_i32 v19, 31, v18 :: v_dual_lshrrev_b32 v2, 5, v1
	v_and_b32_e32 v0, 7, v0
	s_delay_alu instid0(VALU_DEP_4) | instskip(NEXT) | instid1(VALU_DEP_4)
	v_mul_u64_e32 v[8:9], s[28:29], v[16:17]
	v_mul_u64_e32 v[6:7], s[14:15], v[12:13]
	s_delay_alu instid0(VALU_DEP_4)
	v_mul_u64_e32 v[10:11], s[28:29], v[18:19]
	s_wait_kmcnt 0x0
	v_cmp_gt_i32_e64 s0, s4, v12
	v_dual_lshlrev_b32 v1, 3, v0 :: v_dual_add_nc_u32 v12, s2, v15
	v_cmp_gt_i64_e64 s14, s[8:9], 0
	v_cmp_gt_i32_e64 s1, s4, v4
	v_lshlrev_b32_e32 v36, 3, v15
	s_delay_alu instid0(VALU_DEP_4) | instskip(SKIP_4) | instid1(VALU_DEP_4)
	v_lshl_or_b32 v5, v5, 6, v1
	v_dual_add_nc_u32 v14, 16, v12 :: v_dual_ashrrev_i32 v13, 31, v12
	v_cmp_le_i32_e32 vcc_lo, v16, v12
	v_cmp_gt_i32_e64 s2, s4, v12
	v_lshl_or_b32 v1, v2, 8, v3
	v_cmp_le_i32_e64 s3, v16, v14
	v_cmp_gt_i32_e64 s4, s4, v14
	v_cmp_le_i32_e64 s5, v18, v14
	s_and_b32 s28, vcc_lo, s2
	v_cmp_le_i32_e32 vcc_lo, v18, v12
	v_add_nc_u32_e32 v3, 0x800, v5
	v_ashrrev_i32_e32 v5, 31, v4
	v_lshl_add_u32 v37, v20, 6, 0x800
	v_dual_ashrrev_i32 v15, 31, v14 :: v_dual_mov_b32 v17, 0
	s_and_b32 s29, s3, s4
	s_and_b32 s35, vcc_lo, s2
	s_and_b32 s36, s5, s4
	s_and_b32 s37, s37, s14
	s_lshl_b64 s[2:3], s[22:23], 3
	s_lshl_b64 s[4:5], s[16:17], 3
	s_lshl_b64 s[14:15], s[30:31], 3
	s_branch .LBB481_6
.LBB481_5:                              ;   in Loop: Header=BB481_6 Depth=1
	s_wait_xcnt 0x0
	s_or_b32 exec_lo, exec_lo, s16
	s_add_co_i32 s24, s24, 0x10000
	s_delay_alu instid0(SALU_CYCLE_1)
	s_cmp_lt_u32 s24, s33
	s_cbranch_scc0 .LBB481_35
.LBB481_6:                              ; =>This Loop Header: Depth=1
                                        ;     Child Loop BB481_9 Depth 2
	v_mov_b32_e32 v16, s24
	v_mov_b64_e32 v[26:27], 0
	v_mov_b64_e32 v[22:23], 0
	;; [unrolled: 1-line block ×4, first 2 shown]
	global_load_b64 v[24:25], v16, s[26:27] scale_offset
	s_and_not1_b32 vcc_lo, exec_lo, s37
	s_cbranch_vccnz .LBB481_15
; %bb.7:                                ;   in Loop: Header=BB481_6 Depth=1
	s_lshl_b64 s[16:17], s[24:25], 3
	v_mov_b64_e32 v[22:23], 0
	s_add_nc_u64 s[22:23], s[12:13], s[16:17]
	s_add_nc_u64 s[16:17], s[18:19], s[16:17]
	s_clause 0x1
	global_load_b64 v[18:19], v17, s[22:23]
	global_load_b64 v[20:21], v17, s[16:17]
	v_mov_b64_e32 v[26:27], 0
	s_wait_xcnt 0x0
	s_mov_b64 s[16:17], 0
	s_wait_loadcnt 0x1
	v_add_nc_u64_e32 v[28:29], s[4:5], v[18:19]
	s_wait_loadcnt 0x0
	v_add_nc_u64_e32 v[30:31], s[2:3], v[20:21]
	v_mov_b64_e32 v[18:19], 0
	v_mov_b64_e32 v[20:21], 0
	s_delay_alu instid0(VALU_DEP_4) | instskip(NEXT) | instid1(VALU_DEP_4)
	v_lshl_add_u64 v[28:29], v[6:7], 3, v[28:29]
	v_lshl_add_u64 v[30:31], v[4:5], 3, v[30:31]
	s_branch .LBB481_9
.LBB481_8:                              ;   in Loop: Header=BB481_9 Depth=2
	s_wait_xcnt 0x0
	s_or_b32 exec_lo, exec_lo, s22
	s_wait_loadcnt_dscnt 0x0
	ds_store_b64 v3, v[34:35]
	s_wait_dscnt 0x0
	s_barrier_signal -1
	s_barrier_wait -1
	ds_load_b128 v[32:35], v37
	ds_load_2addr_b64 v[38:41], v36 offset1:16
	ds_load_b128 v[42:45], v37 offset:1024
	ds_load_b128 v[46:49], v37 offset:16
	;; [unrolled: 1-line block ×3, first 2 shown]
	s_add_nc_u64 s[16:17], s[16:17], 8
	s_delay_alu instid0(SALU_CYCLE_1)
	v_cmp_gt_i64_e64 s22, s[8:9], s[16:17]
	s_and_b32 vcc_lo, exec_lo, s22
	s_wait_dscnt 0x3
	v_fmac_f64_e32 v[26:27], v[38:39], v[32:33]
	v_fmac_f64_e32 v[22:23], v[40:41], v[32:33]
	s_wait_dscnt 0x2
	v_fmac_f64_e32 v[20:21], v[38:39], v[42:43]
	v_fmac_f64_e32 v[18:19], v[40:41], v[42:43]
	ds_load_2addr_b64 v[38:41], v36 offset0:32 offset1:48
	s_wait_dscnt 0x0
	v_fmac_f64_e32 v[26:27], v[38:39], v[34:35]
	v_fmac_f64_e32 v[22:23], v[40:41], v[34:35]
	v_fmac_f64_e32 v[20:21], v[38:39], v[44:45]
	v_fmac_f64_e32 v[18:19], v[40:41], v[44:45]
	ds_load_2addr_b64 v[32:35], v36 offset0:64 offset1:80
	s_wait_dscnt 0x0
	v_fmac_f64_e32 v[26:27], v[32:33], v[46:47]
	v_fmac_f64_e32 v[22:23], v[34:35], v[46:47]
	;; [unrolled: 6-line block ×3, first 2 shown]
	v_fmac_f64_e32 v[20:21], v[32:33], v[52:53]
	v_fmac_f64_e32 v[18:19], v[34:35], v[52:53]
	ds_load_b128 v[32:35], v37 offset:32
	ds_load_2addr_b64 v[38:41], v36 offset0:128 offset1:144
	ds_load_b128 v[42:45], v37 offset:1056
	ds_load_b128 v[46:49], v37 offset:48
	;; [unrolled: 1-line block ×3, first 2 shown]
	s_wait_dscnt 0x3
	v_fmac_f64_e32 v[26:27], v[38:39], v[32:33]
	v_fmac_f64_e32 v[22:23], v[40:41], v[32:33]
	s_wait_dscnt 0x2
	v_fmac_f64_e32 v[20:21], v[38:39], v[42:43]
	v_fmac_f64_e32 v[18:19], v[40:41], v[42:43]
	ds_load_2addr_b64 v[38:41], v36 offset0:160 offset1:176
	s_wait_dscnt 0x0
	v_fmac_f64_e32 v[26:27], v[38:39], v[34:35]
	v_fmac_f64_e32 v[22:23], v[40:41], v[34:35]
	;; [unrolled: 1-line block ×4, first 2 shown]
	ds_load_2addr_b64 v[32:35], v36 offset0:192 offset1:208
	s_wait_dscnt 0x0
	v_fmac_f64_e32 v[26:27], v[32:33], v[46:47]
	v_fmac_f64_e32 v[22:23], v[34:35], v[46:47]
	;; [unrolled: 1-line block ×4, first 2 shown]
	ds_load_2addr_b64 v[32:35], v36 offset0:224 offset1:240
	s_wait_dscnt 0x0
	s_barrier_signal -1
	s_barrier_wait -1
	v_fmac_f64_e32 v[26:27], v[32:33], v[48:49]
	v_fmac_f64_e32 v[22:23], v[34:35], v[48:49]
	;; [unrolled: 1-line block ×4, first 2 shown]
	s_cbranch_vccz .LBB481_15
.LBB481_9:                              ;   Parent Loop BB481_6 Depth=1
                                        ; =>  This Inner Loop Header: Depth=2
	v_mov_b64_e32 v[32:33], 0
	s_and_saveexec_b32 s22, s0
	s_cbranch_execz .LBB481_13
; %bb.10:                               ;   in Loop: Header=BB481_9 Depth=2
	v_mov_b64_e32 v[32:33], 0
	v_add_nc_u32_e32 v16, s16, v2
	s_mov_b32 s23, exec_lo
	s_delay_alu instid0(VALU_DEP_1)
	v_cmpx_gt_u64_e64 s[8:9], v[16:17]
	s_cbranch_execz .LBB481_12
; %bb.11:                               ;   in Loop: Header=BB481_9 Depth=2
	v_lshl_add_u64 v[32:33], v[16:17], 3, v[28:29]
	flat_load_b64 v[32:33], v[32:33]
.LBB481_12:                             ;   in Loop: Header=BB481_9 Depth=2
	s_wait_xcnt 0x0
	s_or_b32 exec_lo, exec_lo, s23
.LBB481_13:                             ;   in Loop: Header=BB481_9 Depth=2
	s_delay_alu instid0(SALU_CYCLE_1)
	s_or_b32 exec_lo, exec_lo, s22
	v_add_nc_u32_e32 v16, s16, v0
	v_mov_b64_e32 v[34:35], 0
	s_wait_loadcnt_dscnt 0x0
	ds_store_b64 v1, v[32:33]
	v_cmp_gt_u64_e32 vcc_lo, s[8:9], v[16:17]
	s_and_b32 s23, vcc_lo, s1
	s_delay_alu instid0(SALU_CYCLE_1)
	s_and_saveexec_b32 s22, s23
	s_cbranch_execz .LBB481_8
; %bb.14:                               ;   in Loop: Header=BB481_9 Depth=2
	v_mul_u64_e32 v[32:33], s[20:21], v[16:17]
	s_delay_alu instid0(VALU_DEP_1)
	v_lshl_add_u64 v[32:33], v[32:33], 3, v[30:31]
	flat_load_b64 v[34:35], v[32:33]
	s_branch .LBB481_8
.LBB481_15:                             ;   in Loop: Header=BB481_6 Depth=1
	s_wait_loadcnt 0x0
	v_add_nc_u64_e32 v[24:25], s[14:15], v[24:25]
	s_delay_alu instid0(VALU_DEP_1)
	v_lshl_add_u64 v[28:29], v[8:9], 3, v[24:25]
	s_wait_xcnt 0x0
	s_and_saveexec_b32 s16, s28
	s_cbranch_execz .LBB481_19
; %bb.16:                               ;   in Loop: Header=BB481_6 Depth=1
	v_mul_f64_e32 v[26:27], s[10:11], v[26:27]
	v_lshl_add_u64 v[30:31], v[12:13], 3, v[28:29]
	s_and_b32 vcc_lo, exec_lo, s34
	s_cbranch_vccz .LBB481_30
; %bb.17:                               ;   in Loop: Header=BB481_6 Depth=1
	flat_load_b64 v[32:33], v[30:31]
	s_wait_loadcnt_dscnt 0x0
	v_fma_f64 v[32:33], s[6:7], v[32:33], v[26:27]
	flat_store_b64 v[30:31], v[32:33]
	s_cbranch_execnz .LBB481_19
.LBB481_18:                             ;   in Loop: Header=BB481_6 Depth=1
	flat_store_b64 v[30:31], v[26:27]
.LBB481_19:                             ;   in Loop: Header=BB481_6 Depth=1
	s_wait_xcnt 0x0
	s_or_b32 exec_lo, exec_lo, s16
	s_and_saveexec_b32 s16, s29
	s_cbranch_execz .LBB481_23
; %bb.20:                               ;   in Loop: Header=BB481_6 Depth=1
	v_mul_f64_e32 v[22:23], s[10:11], v[22:23]
	v_lshl_add_u64 v[26:27], v[14:15], 3, v[28:29]
	s_and_not1_b32 vcc_lo, exec_lo, s34
	s_cbranch_vccnz .LBB481_31
; %bb.21:                               ;   in Loop: Header=BB481_6 Depth=1
	flat_load_b64 v[28:29], v[26:27]
	s_wait_loadcnt_dscnt 0x0
	v_fma_f64 v[28:29], s[6:7], v[28:29], v[22:23]
	flat_store_b64 v[26:27], v[28:29]
	s_cbranch_execnz .LBB481_23
.LBB481_22:                             ;   in Loop: Header=BB481_6 Depth=1
	flat_store_b64 v[26:27], v[22:23]
.LBB481_23:                             ;   in Loop: Header=BB481_6 Depth=1
	s_wait_xcnt 0x0
	s_or_b32 exec_lo, exec_lo, s16
	v_lshl_add_u64 v[22:23], v[10:11], 3, v[24:25]
	s_and_saveexec_b32 s16, s35
	s_cbranch_execz .LBB481_27
; %bb.24:                               ;   in Loop: Header=BB481_6 Depth=1
	v_mul_f64_e32 v[20:21], s[10:11], v[20:21]
	s_delay_alu instid0(VALU_DEP_2)
	v_lshl_add_u64 v[24:25], v[12:13], 3, v[22:23]
	s_and_not1_b32 vcc_lo, exec_lo, s34
	s_cbranch_vccnz .LBB481_32
; %bb.25:                               ;   in Loop: Header=BB481_6 Depth=1
	flat_load_b64 v[26:27], v[24:25]
	s_wait_loadcnt_dscnt 0x0
	v_fma_f64 v[26:27], s[6:7], v[26:27], v[20:21]
	flat_store_b64 v[24:25], v[26:27]
	s_cbranch_execnz .LBB481_27
.LBB481_26:                             ;   in Loop: Header=BB481_6 Depth=1
	flat_store_b64 v[24:25], v[20:21]
.LBB481_27:                             ;   in Loop: Header=BB481_6 Depth=1
	s_wait_xcnt 0x0
	s_or_b32 exec_lo, exec_lo, s16
	s_and_saveexec_b32 s16, s36
	s_cbranch_execz .LBB481_5
; %bb.28:                               ;   in Loop: Header=BB481_6 Depth=1
	s_delay_alu instid0(VALU_DEP_4)
	v_mul_f64_e32 v[18:19], s[10:11], v[18:19]
	v_lshl_add_u64 v[20:21], v[14:15], 3, v[22:23]
	s_and_not1_b32 vcc_lo, exec_lo, s34
	s_cbranch_vccnz .LBB481_33
; %bb.29:                               ;   in Loop: Header=BB481_6 Depth=1
	flat_load_b64 v[22:23], v[20:21]
	s_wait_loadcnt_dscnt 0x0
	v_fma_f64 v[22:23], s[6:7], v[22:23], v[18:19]
	flat_store_b64 v[20:21], v[22:23]
	s_cbranch_execnz .LBB481_5
	s_branch .LBB481_34
.LBB481_30:                             ;   in Loop: Header=BB481_6 Depth=1
	s_branch .LBB481_18
.LBB481_31:                             ;   in Loop: Header=BB481_6 Depth=1
	s_branch .LBB481_22
.LBB481_32:                             ;   in Loop: Header=BB481_6 Depth=1
	s_branch .LBB481_26
.LBB481_33:                             ;   in Loop: Header=BB481_6 Depth=1
.LBB481_34:                             ;   in Loop: Header=BB481_6 Depth=1
	flat_store_b64 v[20:21], v[18:19]
	s_branch .LBB481_5
.LBB481_35:
	s_endpgm
	.section	.rodata,"a",@progbits
	.p2align	6, 0x0
	.amdhsa_kernel _ZL29rocblas_internal_gemmt_kernelIlLi16ELi32ELi8ELc84ELc84ELc76ELb0ELb0EdPKdPKS1_PKPdEviT_T9_T10_S7_lS9_S7_lS8_T11_S7_li
		.amdhsa_group_segment_fixed_size 4096
		.amdhsa_private_segment_fixed_size 0
		.amdhsa_kernarg_size 108
		.amdhsa_user_sgpr_count 2
		.amdhsa_user_sgpr_dispatch_ptr 0
		.amdhsa_user_sgpr_queue_ptr 0
		.amdhsa_user_sgpr_kernarg_segment_ptr 1
		.amdhsa_user_sgpr_dispatch_id 0
		.amdhsa_user_sgpr_kernarg_preload_length 0
		.amdhsa_user_sgpr_kernarg_preload_offset 0
		.amdhsa_user_sgpr_private_segment_size 0
		.amdhsa_wavefront_size32 1
		.amdhsa_uses_dynamic_stack 0
		.amdhsa_enable_private_segment 0
		.amdhsa_system_sgpr_workgroup_id_x 1
		.amdhsa_system_sgpr_workgroup_id_y 1
		.amdhsa_system_sgpr_workgroup_id_z 1
		.amdhsa_system_sgpr_workgroup_info 0
		.amdhsa_system_vgpr_workitem_id 1
		.amdhsa_next_free_vgpr 54
		.amdhsa_next_free_sgpr 38
		.amdhsa_named_barrier_count 0
		.amdhsa_reserve_vcc 1
		.amdhsa_float_round_mode_32 0
		.amdhsa_float_round_mode_16_64 0
		.amdhsa_float_denorm_mode_32 3
		.amdhsa_float_denorm_mode_16_64 3
		.amdhsa_fp16_overflow 0
		.amdhsa_memory_ordered 1
		.amdhsa_forward_progress 1
		.amdhsa_inst_pref_size 14
		.amdhsa_round_robin_scheduling 0
		.amdhsa_exception_fp_ieee_invalid_op 0
		.amdhsa_exception_fp_denorm_src 0
		.amdhsa_exception_fp_ieee_div_zero 0
		.amdhsa_exception_fp_ieee_overflow 0
		.amdhsa_exception_fp_ieee_underflow 0
		.amdhsa_exception_fp_ieee_inexact 0
		.amdhsa_exception_int_div_zero 0
	.end_amdhsa_kernel
	.section	.text._ZL29rocblas_internal_gemmt_kernelIlLi16ELi32ELi8ELc84ELc84ELc76ELb0ELb0EdPKdPKS1_PKPdEviT_T9_T10_S7_lS9_S7_lS8_T11_S7_li,"axG",@progbits,_ZL29rocblas_internal_gemmt_kernelIlLi16ELi32ELi8ELc84ELc84ELc76ELb0ELb0EdPKdPKS1_PKPdEviT_T9_T10_S7_lS9_S7_lS8_T11_S7_li,comdat
.Lfunc_end481:
	.size	_ZL29rocblas_internal_gemmt_kernelIlLi16ELi32ELi8ELc84ELc84ELc76ELb0ELb0EdPKdPKS1_PKPdEviT_T9_T10_S7_lS9_S7_lS8_T11_S7_li, .Lfunc_end481-_ZL29rocblas_internal_gemmt_kernelIlLi16ELi32ELi8ELc84ELc84ELc76ELb0ELb0EdPKdPKS1_PKPdEviT_T9_T10_S7_lS9_S7_lS8_T11_S7_li
                                        ; -- End function
	.set _ZL29rocblas_internal_gemmt_kernelIlLi16ELi32ELi8ELc84ELc84ELc76ELb0ELb0EdPKdPKS1_PKPdEviT_T9_T10_S7_lS9_S7_lS8_T11_S7_li.num_vgpr, 54
	.set _ZL29rocblas_internal_gemmt_kernelIlLi16ELi32ELi8ELc84ELc84ELc76ELb0ELb0EdPKdPKS1_PKPdEviT_T9_T10_S7_lS9_S7_lS8_T11_S7_li.num_agpr, 0
	.set _ZL29rocblas_internal_gemmt_kernelIlLi16ELi32ELi8ELc84ELc84ELc76ELb0ELb0EdPKdPKS1_PKPdEviT_T9_T10_S7_lS9_S7_lS8_T11_S7_li.numbered_sgpr, 38
	.set _ZL29rocblas_internal_gemmt_kernelIlLi16ELi32ELi8ELc84ELc84ELc76ELb0ELb0EdPKdPKS1_PKPdEviT_T9_T10_S7_lS9_S7_lS8_T11_S7_li.num_named_barrier, 0
	.set _ZL29rocblas_internal_gemmt_kernelIlLi16ELi32ELi8ELc84ELc84ELc76ELb0ELb0EdPKdPKS1_PKPdEviT_T9_T10_S7_lS9_S7_lS8_T11_S7_li.private_seg_size, 0
	.set _ZL29rocblas_internal_gemmt_kernelIlLi16ELi32ELi8ELc84ELc84ELc76ELb0ELb0EdPKdPKS1_PKPdEviT_T9_T10_S7_lS9_S7_lS8_T11_S7_li.uses_vcc, 1
	.set _ZL29rocblas_internal_gemmt_kernelIlLi16ELi32ELi8ELc84ELc84ELc76ELb0ELb0EdPKdPKS1_PKPdEviT_T9_T10_S7_lS9_S7_lS8_T11_S7_li.uses_flat_scratch, 0
	.set _ZL29rocblas_internal_gemmt_kernelIlLi16ELi32ELi8ELc84ELc84ELc76ELb0ELb0EdPKdPKS1_PKPdEviT_T9_T10_S7_lS9_S7_lS8_T11_S7_li.has_dyn_sized_stack, 0
	.set _ZL29rocblas_internal_gemmt_kernelIlLi16ELi32ELi8ELc84ELc84ELc76ELb0ELb0EdPKdPKS1_PKPdEviT_T9_T10_S7_lS9_S7_lS8_T11_S7_li.has_recursion, 0
	.set _ZL29rocblas_internal_gemmt_kernelIlLi16ELi32ELi8ELc84ELc84ELc76ELb0ELb0EdPKdPKS1_PKPdEviT_T9_T10_S7_lS9_S7_lS8_T11_S7_li.has_indirect_call, 0
	.section	.AMDGPU.csdata,"",@progbits
; Kernel info:
; codeLenInByte = 1668
; TotalNumSgprs: 40
; NumVgprs: 54
; ScratchSize: 0
; MemoryBound: 0
; FloatMode: 240
; IeeeMode: 1
; LDSByteSize: 4096 bytes/workgroup (compile time only)
; SGPRBlocks: 0
; VGPRBlocks: 3
; NumSGPRsForWavesPerEU: 40
; NumVGPRsForWavesPerEU: 54
; NamedBarCnt: 0
; Occupancy: 16
; WaveLimiterHint : 1
; COMPUTE_PGM_RSRC2:SCRATCH_EN: 0
; COMPUTE_PGM_RSRC2:USER_SGPR: 2
; COMPUTE_PGM_RSRC2:TRAP_HANDLER: 0
; COMPUTE_PGM_RSRC2:TGID_X_EN: 1
; COMPUTE_PGM_RSRC2:TGID_Y_EN: 1
; COMPUTE_PGM_RSRC2:TGID_Z_EN: 1
; COMPUTE_PGM_RSRC2:TIDIG_COMP_CNT: 1
	.section	.text._ZL29rocblas_internal_gemmt_kernelIlLi16ELi32ELi8ELc84ELc67ELc76ELb0ELb0EdPKdPKS1_PKPdEviT_T9_T10_S7_lS9_S7_lS8_T11_S7_li,"axG",@progbits,_ZL29rocblas_internal_gemmt_kernelIlLi16ELi32ELi8ELc84ELc67ELc76ELb0ELb0EdPKdPKS1_PKPdEviT_T9_T10_S7_lS9_S7_lS8_T11_S7_li,comdat
	.globl	_ZL29rocblas_internal_gemmt_kernelIlLi16ELi32ELi8ELc84ELc67ELc76ELb0ELb0EdPKdPKS1_PKPdEviT_T9_T10_S7_lS9_S7_lS8_T11_S7_li ; -- Begin function _ZL29rocblas_internal_gemmt_kernelIlLi16ELi32ELi8ELc84ELc67ELc76ELb0ELb0EdPKdPKS1_PKPdEviT_T9_T10_S7_lS9_S7_lS8_T11_S7_li
	.p2align	8
	.type	_ZL29rocblas_internal_gemmt_kernelIlLi16ELi32ELi8ELc84ELc67ELc76ELb0ELb0EdPKdPKS1_PKPdEviT_T9_T10_S7_lS9_S7_lS8_T11_S7_li,@function
_ZL29rocblas_internal_gemmt_kernelIlLi16ELi32ELi8ELc84ELc67ELc76ELb0ELb0EdPKdPKS1_PKPdEviT_T9_T10_S7_lS9_S7_lS8_T11_S7_li: ; @_ZL29rocblas_internal_gemmt_kernelIlLi16ELi32ELi8ELc84ELc67ELc76ELb0ELb0EdPKdPKS1_PKPdEviT_T9_T10_S7_lS9_S7_lS8_T11_S7_li
; %bb.0:
	s_load_b256 s[24:31], s[0:1], 0x48
	s_wait_kmcnt 0x0
	s_load_b64 s[6:7], s[24:25], 0x0
	s_load_b512 s[8:23], s[0:1], 0x8
	s_wait_kmcnt 0x0
	v_cmp_neq_f64_e64 s2, s[6:7], 1.0
	s_load_b64 s[10:11], s[10:11], 0x0
	s_and_b32 vcc_lo, exec_lo, s2
	s_cbranch_vccnz .LBB482_2
; %bb.1:
	s_wait_kmcnt 0x0
	v_cmp_neq_f64_e64 s2, s[10:11], 0
	s_cmp_lg_u64 s[8:9], 0
	s_cselect_b32 s3, -1, 0
	s_delay_alu instid0(SALU_CYCLE_1)
	s_and_b32 s2, s3, s2
.LBB482_2:
	s_delay_alu instid0(SALU_CYCLE_1)
	s_and_not1_b32 vcc_lo, exec_lo, s2
	s_cbranch_vccnz .LBB482_35
; %bb.3:
	s_load_b32 s33, s[0:1], 0x68
	s_bfe_u32 s2, ttmp6, 0x40014
	s_lshr_b32 s3, ttmp7, 16
	s_add_co_i32 s2, s2, 1
	s_bfe_u32 s5, ttmp6, 0x40008
	s_mul_i32 s4, s3, s2
	s_getreg_b32 s2, hwreg(HW_REG_IB_STS2, 6, 4)
	s_add_co_i32 s5, s5, s4
	s_cmp_eq_u32 s2, 0
	s_mov_b32 s25, 0
	s_cselect_b32 s24, s3, s5
	s_wait_kmcnt 0x0
	s_cmp_ge_u32 s24, s33
	s_cbranch_scc1 .LBB482_35
; %bb.4:
	s_load_b32 s4, s[0:1], 0x0
	s_wait_xcnt 0x0
	s_bfe_u32 s1, ttmp6, 0x4000c
	s_bfe_u32 s3, ttmp6, 0x40010
	s_add_co_i32 s1, s1, 1
	s_and_b32 s5, ttmp7, 0xffff
	s_add_co_i32 s3, s3, 1
	v_and_b32_e32 v15, 0x3ff, v0
	v_bfe_u32 v20, v0, 10, 10
	s_and_b32 s0, ttmp6, 15
	s_mul_i32 s1, ttmp9, s1
	s_mul_i32 s3, s5, s3
	s_bfe_u32 s34, ttmp6, 0x40004
	s_add_co_i32 s0, s0, s1
	s_add_co_i32 s34, s34, s3
	s_cmp_eq_u32 s2, 0
	v_lshl_add_u32 v1, v20, 4, v15
	s_cselect_b32 s1, s5, s34
	s_cselect_b32 s0, ttmp9, s0
	s_lshl_b32 s1, s1, 5
	s_lshl_b32 s2, s0, 5
	v_dual_add_nc_u32 v16, s1, v20 :: v_dual_bitop2_b32 v3, 31, v1 bitop3:0x40
	v_lshrrev_b32_e32 v5, 3, v1
	v_cmp_neq_f64_e64 s37, s[10:11], 0
	v_cmp_neq_f64_e64 s34, s[6:7], 0
	s_delay_alu instid0(VALU_DEP_4) | instskip(NEXT) | instid1(VALU_DEP_4)
	v_dual_add_nc_u32 v18, 16, v16 :: v_dual_bitop2_b32 v12, s2, v3 bitop3:0x54
	v_dual_add_nc_u32 v4, s1, v5 :: v_dual_ashrrev_i32 v17, 31, v16
	s_delay_alu instid0(VALU_DEP_2) | instskip(NEXT) | instid1(VALU_DEP_3)
	v_dual_lshlrev_b32 v3, 3, v3 :: v_dual_ashrrev_i32 v13, 31, v12
	v_dual_ashrrev_i32 v19, 31, v18 :: v_dual_lshrrev_b32 v2, 5, v1
	v_and_b32_e32 v0, 7, v0
	s_delay_alu instid0(VALU_DEP_4) | instskip(NEXT) | instid1(VALU_DEP_4)
	v_mul_u64_e32 v[8:9], s[28:29], v[16:17]
	v_mul_u64_e32 v[6:7], s[14:15], v[12:13]
	s_delay_alu instid0(VALU_DEP_4)
	v_mul_u64_e32 v[10:11], s[28:29], v[18:19]
	s_wait_kmcnt 0x0
	v_cmp_gt_i32_e64 s0, s4, v12
	v_dual_lshlrev_b32 v1, 3, v0 :: v_dual_add_nc_u32 v12, s2, v15
	v_cmp_gt_i64_e64 s14, s[8:9], 0
	v_cmp_gt_i32_e64 s1, s4, v4
	v_lshlrev_b32_e32 v36, 3, v15
	s_delay_alu instid0(VALU_DEP_4) | instskip(SKIP_4) | instid1(VALU_DEP_4)
	v_lshl_or_b32 v5, v5, 6, v1
	v_dual_add_nc_u32 v14, 16, v12 :: v_dual_ashrrev_i32 v13, 31, v12
	v_cmp_le_i32_e32 vcc_lo, v16, v12
	v_cmp_gt_i32_e64 s2, s4, v12
	v_lshl_or_b32 v1, v2, 8, v3
	v_cmp_le_i32_e64 s3, v16, v14
	v_cmp_gt_i32_e64 s4, s4, v14
	v_cmp_le_i32_e64 s5, v18, v14
	s_and_b32 s28, vcc_lo, s2
	v_cmp_le_i32_e32 vcc_lo, v18, v12
	v_add_nc_u32_e32 v3, 0x800, v5
	v_ashrrev_i32_e32 v5, 31, v4
	v_lshl_add_u32 v37, v20, 6, 0x800
	v_dual_ashrrev_i32 v15, 31, v14 :: v_dual_mov_b32 v17, 0
	s_and_b32 s29, s3, s4
	s_and_b32 s35, vcc_lo, s2
	s_and_b32 s36, s5, s4
	s_and_b32 s37, s37, s14
	s_lshl_b64 s[2:3], s[22:23], 3
	s_lshl_b64 s[4:5], s[16:17], 3
	;; [unrolled: 1-line block ×3, first 2 shown]
	s_branch .LBB482_6
.LBB482_5:                              ;   in Loop: Header=BB482_6 Depth=1
	s_wait_xcnt 0x0
	s_or_b32 exec_lo, exec_lo, s16
	s_add_co_i32 s24, s24, 0x10000
	s_delay_alu instid0(SALU_CYCLE_1)
	s_cmp_lt_u32 s24, s33
	s_cbranch_scc0 .LBB482_35
.LBB482_6:                              ; =>This Loop Header: Depth=1
                                        ;     Child Loop BB482_9 Depth 2
	v_mov_b32_e32 v16, s24
	v_mov_b64_e32 v[26:27], 0
	v_mov_b64_e32 v[22:23], 0
	v_mov_b64_e32 v[20:21], 0
	v_mov_b64_e32 v[18:19], 0
	global_load_b64 v[24:25], v16, s[26:27] scale_offset
	s_and_not1_b32 vcc_lo, exec_lo, s37
	s_cbranch_vccnz .LBB482_15
; %bb.7:                                ;   in Loop: Header=BB482_6 Depth=1
	s_lshl_b64 s[16:17], s[24:25], 3
	v_mov_b64_e32 v[22:23], 0
	s_add_nc_u64 s[22:23], s[12:13], s[16:17]
	s_add_nc_u64 s[16:17], s[18:19], s[16:17]
	s_clause 0x1
	global_load_b64 v[18:19], v17, s[22:23]
	global_load_b64 v[20:21], v17, s[16:17]
	v_mov_b64_e32 v[26:27], 0
	s_wait_xcnt 0x0
	s_mov_b64 s[16:17], 0
	s_wait_loadcnt 0x1
	v_add_nc_u64_e32 v[28:29], s[4:5], v[18:19]
	s_wait_loadcnt 0x0
	v_add_nc_u64_e32 v[30:31], s[2:3], v[20:21]
	v_mov_b64_e32 v[18:19], 0
	v_mov_b64_e32 v[20:21], 0
	s_delay_alu instid0(VALU_DEP_4) | instskip(NEXT) | instid1(VALU_DEP_4)
	v_lshl_add_u64 v[28:29], v[6:7], 3, v[28:29]
	v_lshl_add_u64 v[30:31], v[4:5], 3, v[30:31]
	s_branch .LBB482_9
.LBB482_8:                              ;   in Loop: Header=BB482_9 Depth=2
	s_wait_xcnt 0x0
	s_or_b32 exec_lo, exec_lo, s22
	s_wait_loadcnt_dscnt 0x0
	ds_store_b64 v3, v[34:35]
	s_wait_dscnt 0x0
	s_barrier_signal -1
	s_barrier_wait -1
	ds_load_b128 v[32:35], v37
	ds_load_2addr_b64 v[38:41], v36 offset1:16
	ds_load_b128 v[42:45], v37 offset:1024
	ds_load_b128 v[46:49], v37 offset:16
	;; [unrolled: 1-line block ×3, first 2 shown]
	s_add_nc_u64 s[16:17], s[16:17], 8
	s_delay_alu instid0(SALU_CYCLE_1)
	v_cmp_gt_i64_e64 s22, s[8:9], s[16:17]
	s_and_b32 vcc_lo, exec_lo, s22
	s_wait_dscnt 0x3
	v_fmac_f64_e32 v[26:27], v[38:39], v[32:33]
	v_fmac_f64_e32 v[22:23], v[40:41], v[32:33]
	s_wait_dscnt 0x2
	v_fmac_f64_e32 v[20:21], v[38:39], v[42:43]
	v_fmac_f64_e32 v[18:19], v[40:41], v[42:43]
	ds_load_2addr_b64 v[38:41], v36 offset0:32 offset1:48
	s_wait_dscnt 0x0
	v_fmac_f64_e32 v[26:27], v[38:39], v[34:35]
	v_fmac_f64_e32 v[22:23], v[40:41], v[34:35]
	v_fmac_f64_e32 v[20:21], v[38:39], v[44:45]
	v_fmac_f64_e32 v[18:19], v[40:41], v[44:45]
	ds_load_2addr_b64 v[32:35], v36 offset0:64 offset1:80
	s_wait_dscnt 0x0
	v_fmac_f64_e32 v[26:27], v[32:33], v[46:47]
	v_fmac_f64_e32 v[22:23], v[34:35], v[46:47]
	;; [unrolled: 6-line block ×3, first 2 shown]
	v_fmac_f64_e32 v[20:21], v[32:33], v[52:53]
	v_fmac_f64_e32 v[18:19], v[34:35], v[52:53]
	ds_load_b128 v[32:35], v37 offset:32
	ds_load_2addr_b64 v[38:41], v36 offset0:128 offset1:144
	ds_load_b128 v[42:45], v37 offset:1056
	ds_load_b128 v[46:49], v37 offset:48
	;; [unrolled: 1-line block ×3, first 2 shown]
	s_wait_dscnt 0x3
	v_fmac_f64_e32 v[26:27], v[38:39], v[32:33]
	v_fmac_f64_e32 v[22:23], v[40:41], v[32:33]
	s_wait_dscnt 0x2
	v_fmac_f64_e32 v[20:21], v[38:39], v[42:43]
	v_fmac_f64_e32 v[18:19], v[40:41], v[42:43]
	ds_load_2addr_b64 v[38:41], v36 offset0:160 offset1:176
	s_wait_dscnt 0x0
	v_fmac_f64_e32 v[26:27], v[38:39], v[34:35]
	v_fmac_f64_e32 v[22:23], v[40:41], v[34:35]
	;; [unrolled: 1-line block ×4, first 2 shown]
	ds_load_2addr_b64 v[32:35], v36 offset0:192 offset1:208
	s_wait_dscnt 0x0
	v_fmac_f64_e32 v[26:27], v[32:33], v[46:47]
	v_fmac_f64_e32 v[22:23], v[34:35], v[46:47]
	;; [unrolled: 1-line block ×4, first 2 shown]
	ds_load_2addr_b64 v[32:35], v36 offset0:224 offset1:240
	s_wait_dscnt 0x0
	s_barrier_signal -1
	s_barrier_wait -1
	v_fmac_f64_e32 v[26:27], v[32:33], v[48:49]
	v_fmac_f64_e32 v[22:23], v[34:35], v[48:49]
	;; [unrolled: 1-line block ×4, first 2 shown]
	s_cbranch_vccz .LBB482_15
.LBB482_9:                              ;   Parent Loop BB482_6 Depth=1
                                        ; =>  This Inner Loop Header: Depth=2
	v_mov_b64_e32 v[32:33], 0
	s_and_saveexec_b32 s22, s0
	s_cbranch_execz .LBB482_13
; %bb.10:                               ;   in Loop: Header=BB482_9 Depth=2
	v_mov_b64_e32 v[32:33], 0
	v_add_nc_u32_e32 v16, s16, v2
	s_mov_b32 s23, exec_lo
	s_delay_alu instid0(VALU_DEP_1)
	v_cmpx_gt_u64_e64 s[8:9], v[16:17]
	s_cbranch_execz .LBB482_12
; %bb.11:                               ;   in Loop: Header=BB482_9 Depth=2
	v_lshl_add_u64 v[32:33], v[16:17], 3, v[28:29]
	flat_load_b64 v[32:33], v[32:33]
.LBB482_12:                             ;   in Loop: Header=BB482_9 Depth=2
	s_wait_xcnt 0x0
	s_or_b32 exec_lo, exec_lo, s23
.LBB482_13:                             ;   in Loop: Header=BB482_9 Depth=2
	s_delay_alu instid0(SALU_CYCLE_1)
	s_or_b32 exec_lo, exec_lo, s22
	v_add_nc_u32_e32 v16, s16, v0
	v_mov_b64_e32 v[34:35], 0
	s_wait_loadcnt_dscnt 0x0
	ds_store_b64 v1, v[32:33]
	v_cmp_gt_u64_e32 vcc_lo, s[8:9], v[16:17]
	s_and_b32 s23, vcc_lo, s1
	s_delay_alu instid0(SALU_CYCLE_1)
	s_and_saveexec_b32 s22, s23
	s_cbranch_execz .LBB482_8
; %bb.14:                               ;   in Loop: Header=BB482_9 Depth=2
	v_mul_u64_e32 v[32:33], s[20:21], v[16:17]
	s_delay_alu instid0(VALU_DEP_1)
	v_lshl_add_u64 v[32:33], v[32:33], 3, v[30:31]
	flat_load_b64 v[34:35], v[32:33]
	s_branch .LBB482_8
.LBB482_15:                             ;   in Loop: Header=BB482_6 Depth=1
	s_wait_loadcnt 0x0
	v_add_nc_u64_e32 v[24:25], s[14:15], v[24:25]
	s_delay_alu instid0(VALU_DEP_1)
	v_lshl_add_u64 v[28:29], v[8:9], 3, v[24:25]
	s_wait_xcnt 0x0
	s_and_saveexec_b32 s16, s28
	s_cbranch_execz .LBB482_19
; %bb.16:                               ;   in Loop: Header=BB482_6 Depth=1
	v_mul_f64_e32 v[26:27], s[10:11], v[26:27]
	v_lshl_add_u64 v[30:31], v[12:13], 3, v[28:29]
	s_and_b32 vcc_lo, exec_lo, s34
	s_cbranch_vccz .LBB482_30
; %bb.17:                               ;   in Loop: Header=BB482_6 Depth=1
	flat_load_b64 v[32:33], v[30:31]
	s_wait_loadcnt_dscnt 0x0
	v_fma_f64 v[32:33], s[6:7], v[32:33], v[26:27]
	flat_store_b64 v[30:31], v[32:33]
	s_cbranch_execnz .LBB482_19
.LBB482_18:                             ;   in Loop: Header=BB482_6 Depth=1
	flat_store_b64 v[30:31], v[26:27]
.LBB482_19:                             ;   in Loop: Header=BB482_6 Depth=1
	s_wait_xcnt 0x0
	s_or_b32 exec_lo, exec_lo, s16
	s_and_saveexec_b32 s16, s29
	s_cbranch_execz .LBB482_23
; %bb.20:                               ;   in Loop: Header=BB482_6 Depth=1
	v_mul_f64_e32 v[22:23], s[10:11], v[22:23]
	v_lshl_add_u64 v[26:27], v[14:15], 3, v[28:29]
	s_and_not1_b32 vcc_lo, exec_lo, s34
	s_cbranch_vccnz .LBB482_31
; %bb.21:                               ;   in Loop: Header=BB482_6 Depth=1
	flat_load_b64 v[28:29], v[26:27]
	s_wait_loadcnt_dscnt 0x0
	v_fma_f64 v[28:29], s[6:7], v[28:29], v[22:23]
	flat_store_b64 v[26:27], v[28:29]
	s_cbranch_execnz .LBB482_23
.LBB482_22:                             ;   in Loop: Header=BB482_6 Depth=1
	flat_store_b64 v[26:27], v[22:23]
.LBB482_23:                             ;   in Loop: Header=BB482_6 Depth=1
	s_wait_xcnt 0x0
	s_or_b32 exec_lo, exec_lo, s16
	v_lshl_add_u64 v[22:23], v[10:11], 3, v[24:25]
	s_and_saveexec_b32 s16, s35
	s_cbranch_execz .LBB482_27
; %bb.24:                               ;   in Loop: Header=BB482_6 Depth=1
	v_mul_f64_e32 v[20:21], s[10:11], v[20:21]
	s_delay_alu instid0(VALU_DEP_2)
	v_lshl_add_u64 v[24:25], v[12:13], 3, v[22:23]
	s_and_not1_b32 vcc_lo, exec_lo, s34
	s_cbranch_vccnz .LBB482_32
; %bb.25:                               ;   in Loop: Header=BB482_6 Depth=1
	flat_load_b64 v[26:27], v[24:25]
	s_wait_loadcnt_dscnt 0x0
	v_fma_f64 v[26:27], s[6:7], v[26:27], v[20:21]
	flat_store_b64 v[24:25], v[26:27]
	s_cbranch_execnz .LBB482_27
.LBB482_26:                             ;   in Loop: Header=BB482_6 Depth=1
	flat_store_b64 v[24:25], v[20:21]
.LBB482_27:                             ;   in Loop: Header=BB482_6 Depth=1
	s_wait_xcnt 0x0
	s_or_b32 exec_lo, exec_lo, s16
	s_and_saveexec_b32 s16, s36
	s_cbranch_execz .LBB482_5
; %bb.28:                               ;   in Loop: Header=BB482_6 Depth=1
	s_delay_alu instid0(VALU_DEP_4)
	v_mul_f64_e32 v[18:19], s[10:11], v[18:19]
	v_lshl_add_u64 v[20:21], v[14:15], 3, v[22:23]
	s_and_not1_b32 vcc_lo, exec_lo, s34
	s_cbranch_vccnz .LBB482_33
; %bb.29:                               ;   in Loop: Header=BB482_6 Depth=1
	flat_load_b64 v[22:23], v[20:21]
	s_wait_loadcnt_dscnt 0x0
	v_fma_f64 v[22:23], s[6:7], v[22:23], v[18:19]
	flat_store_b64 v[20:21], v[22:23]
	s_cbranch_execnz .LBB482_5
	s_branch .LBB482_34
.LBB482_30:                             ;   in Loop: Header=BB482_6 Depth=1
	s_branch .LBB482_18
.LBB482_31:                             ;   in Loop: Header=BB482_6 Depth=1
	s_branch .LBB482_22
.LBB482_32:                             ;   in Loop: Header=BB482_6 Depth=1
	s_branch .LBB482_26
.LBB482_33:                             ;   in Loop: Header=BB482_6 Depth=1
.LBB482_34:                             ;   in Loop: Header=BB482_6 Depth=1
	flat_store_b64 v[20:21], v[18:19]
	s_branch .LBB482_5
.LBB482_35:
	s_endpgm
	.section	.rodata,"a",@progbits
	.p2align	6, 0x0
	.amdhsa_kernel _ZL29rocblas_internal_gemmt_kernelIlLi16ELi32ELi8ELc84ELc67ELc76ELb0ELb0EdPKdPKS1_PKPdEviT_T9_T10_S7_lS9_S7_lS8_T11_S7_li
		.amdhsa_group_segment_fixed_size 4096
		.amdhsa_private_segment_fixed_size 0
		.amdhsa_kernarg_size 108
		.amdhsa_user_sgpr_count 2
		.amdhsa_user_sgpr_dispatch_ptr 0
		.amdhsa_user_sgpr_queue_ptr 0
		.amdhsa_user_sgpr_kernarg_segment_ptr 1
		.amdhsa_user_sgpr_dispatch_id 0
		.amdhsa_user_sgpr_kernarg_preload_length 0
		.amdhsa_user_sgpr_kernarg_preload_offset 0
		.amdhsa_user_sgpr_private_segment_size 0
		.amdhsa_wavefront_size32 1
		.amdhsa_uses_dynamic_stack 0
		.amdhsa_enable_private_segment 0
		.amdhsa_system_sgpr_workgroup_id_x 1
		.amdhsa_system_sgpr_workgroup_id_y 1
		.amdhsa_system_sgpr_workgroup_id_z 1
		.amdhsa_system_sgpr_workgroup_info 0
		.amdhsa_system_vgpr_workitem_id 1
		.amdhsa_next_free_vgpr 54
		.amdhsa_next_free_sgpr 38
		.amdhsa_named_barrier_count 0
		.amdhsa_reserve_vcc 1
		.amdhsa_float_round_mode_32 0
		.amdhsa_float_round_mode_16_64 0
		.amdhsa_float_denorm_mode_32 3
		.amdhsa_float_denorm_mode_16_64 3
		.amdhsa_fp16_overflow 0
		.amdhsa_memory_ordered 1
		.amdhsa_forward_progress 1
		.amdhsa_inst_pref_size 14
		.amdhsa_round_robin_scheduling 0
		.amdhsa_exception_fp_ieee_invalid_op 0
		.amdhsa_exception_fp_denorm_src 0
		.amdhsa_exception_fp_ieee_div_zero 0
		.amdhsa_exception_fp_ieee_overflow 0
		.amdhsa_exception_fp_ieee_underflow 0
		.amdhsa_exception_fp_ieee_inexact 0
		.amdhsa_exception_int_div_zero 0
	.end_amdhsa_kernel
	.section	.text._ZL29rocblas_internal_gemmt_kernelIlLi16ELi32ELi8ELc84ELc67ELc76ELb0ELb0EdPKdPKS1_PKPdEviT_T9_T10_S7_lS9_S7_lS8_T11_S7_li,"axG",@progbits,_ZL29rocblas_internal_gemmt_kernelIlLi16ELi32ELi8ELc84ELc67ELc76ELb0ELb0EdPKdPKS1_PKPdEviT_T9_T10_S7_lS9_S7_lS8_T11_S7_li,comdat
.Lfunc_end482:
	.size	_ZL29rocblas_internal_gemmt_kernelIlLi16ELi32ELi8ELc84ELc67ELc76ELb0ELb0EdPKdPKS1_PKPdEviT_T9_T10_S7_lS9_S7_lS8_T11_S7_li, .Lfunc_end482-_ZL29rocblas_internal_gemmt_kernelIlLi16ELi32ELi8ELc84ELc67ELc76ELb0ELb0EdPKdPKS1_PKPdEviT_T9_T10_S7_lS9_S7_lS8_T11_S7_li
                                        ; -- End function
	.set _ZL29rocblas_internal_gemmt_kernelIlLi16ELi32ELi8ELc84ELc67ELc76ELb0ELb0EdPKdPKS1_PKPdEviT_T9_T10_S7_lS9_S7_lS8_T11_S7_li.num_vgpr, 54
	.set _ZL29rocblas_internal_gemmt_kernelIlLi16ELi32ELi8ELc84ELc67ELc76ELb0ELb0EdPKdPKS1_PKPdEviT_T9_T10_S7_lS9_S7_lS8_T11_S7_li.num_agpr, 0
	.set _ZL29rocblas_internal_gemmt_kernelIlLi16ELi32ELi8ELc84ELc67ELc76ELb0ELb0EdPKdPKS1_PKPdEviT_T9_T10_S7_lS9_S7_lS8_T11_S7_li.numbered_sgpr, 38
	.set _ZL29rocblas_internal_gemmt_kernelIlLi16ELi32ELi8ELc84ELc67ELc76ELb0ELb0EdPKdPKS1_PKPdEviT_T9_T10_S7_lS9_S7_lS8_T11_S7_li.num_named_barrier, 0
	.set _ZL29rocblas_internal_gemmt_kernelIlLi16ELi32ELi8ELc84ELc67ELc76ELb0ELb0EdPKdPKS1_PKPdEviT_T9_T10_S7_lS9_S7_lS8_T11_S7_li.private_seg_size, 0
	.set _ZL29rocblas_internal_gemmt_kernelIlLi16ELi32ELi8ELc84ELc67ELc76ELb0ELb0EdPKdPKS1_PKPdEviT_T9_T10_S7_lS9_S7_lS8_T11_S7_li.uses_vcc, 1
	.set _ZL29rocblas_internal_gemmt_kernelIlLi16ELi32ELi8ELc84ELc67ELc76ELb0ELb0EdPKdPKS1_PKPdEviT_T9_T10_S7_lS9_S7_lS8_T11_S7_li.uses_flat_scratch, 0
	.set _ZL29rocblas_internal_gemmt_kernelIlLi16ELi32ELi8ELc84ELc67ELc76ELb0ELb0EdPKdPKS1_PKPdEviT_T9_T10_S7_lS9_S7_lS8_T11_S7_li.has_dyn_sized_stack, 0
	.set _ZL29rocblas_internal_gemmt_kernelIlLi16ELi32ELi8ELc84ELc67ELc76ELb0ELb0EdPKdPKS1_PKPdEviT_T9_T10_S7_lS9_S7_lS8_T11_S7_li.has_recursion, 0
	.set _ZL29rocblas_internal_gemmt_kernelIlLi16ELi32ELi8ELc84ELc67ELc76ELb0ELb0EdPKdPKS1_PKPdEviT_T9_T10_S7_lS9_S7_lS8_T11_S7_li.has_indirect_call, 0
	.section	.AMDGPU.csdata,"",@progbits
; Kernel info:
; codeLenInByte = 1668
; TotalNumSgprs: 40
; NumVgprs: 54
; ScratchSize: 0
; MemoryBound: 0
; FloatMode: 240
; IeeeMode: 1
; LDSByteSize: 4096 bytes/workgroup (compile time only)
; SGPRBlocks: 0
; VGPRBlocks: 3
; NumSGPRsForWavesPerEU: 40
; NumVGPRsForWavesPerEU: 54
; NamedBarCnt: 0
; Occupancy: 16
; WaveLimiterHint : 1
; COMPUTE_PGM_RSRC2:SCRATCH_EN: 0
; COMPUTE_PGM_RSRC2:USER_SGPR: 2
; COMPUTE_PGM_RSRC2:TRAP_HANDLER: 0
; COMPUTE_PGM_RSRC2:TGID_X_EN: 1
; COMPUTE_PGM_RSRC2:TGID_Y_EN: 1
; COMPUTE_PGM_RSRC2:TGID_Z_EN: 1
; COMPUTE_PGM_RSRC2:TIDIG_COMP_CNT: 1
	.section	.text._ZL29rocblas_internal_gemmt_kernelIlLi16ELi32ELi8ELc67ELc78ELc76ELb0ELb0EdPKdPKS1_PKPdEviT_T9_T10_S7_lS9_S7_lS8_T11_S7_li,"axG",@progbits,_ZL29rocblas_internal_gemmt_kernelIlLi16ELi32ELi8ELc67ELc78ELc76ELb0ELb0EdPKdPKS1_PKPdEviT_T9_T10_S7_lS9_S7_lS8_T11_S7_li,comdat
	.globl	_ZL29rocblas_internal_gemmt_kernelIlLi16ELi32ELi8ELc67ELc78ELc76ELb0ELb0EdPKdPKS1_PKPdEviT_T9_T10_S7_lS9_S7_lS8_T11_S7_li ; -- Begin function _ZL29rocblas_internal_gemmt_kernelIlLi16ELi32ELi8ELc67ELc78ELc76ELb0ELb0EdPKdPKS1_PKPdEviT_T9_T10_S7_lS9_S7_lS8_T11_S7_li
	.p2align	8
	.type	_ZL29rocblas_internal_gemmt_kernelIlLi16ELi32ELi8ELc67ELc78ELc76ELb0ELb0EdPKdPKS1_PKPdEviT_T9_T10_S7_lS9_S7_lS8_T11_S7_li,@function
_ZL29rocblas_internal_gemmt_kernelIlLi16ELi32ELi8ELc67ELc78ELc76ELb0ELb0EdPKdPKS1_PKPdEviT_T9_T10_S7_lS9_S7_lS8_T11_S7_li: ; @_ZL29rocblas_internal_gemmt_kernelIlLi16ELi32ELi8ELc67ELc78ELc76ELb0ELb0EdPKdPKS1_PKPdEviT_T9_T10_S7_lS9_S7_lS8_T11_S7_li
; %bb.0:
	s_load_b256 s[24:31], s[0:1], 0x48
	s_wait_kmcnt 0x0
	s_load_b64 s[6:7], s[24:25], 0x0
	s_load_b512 s[8:23], s[0:1], 0x8
	s_wait_kmcnt 0x0
	v_cmp_neq_f64_e64 s2, s[6:7], 1.0
	s_load_b64 s[10:11], s[10:11], 0x0
	s_and_b32 vcc_lo, exec_lo, s2
	s_cbranch_vccnz .LBB483_2
; %bb.1:
	s_wait_kmcnt 0x0
	v_cmp_neq_f64_e64 s2, s[10:11], 0
	s_cmp_lg_u64 s[8:9], 0
	s_cselect_b32 s3, -1, 0
	s_delay_alu instid0(SALU_CYCLE_1)
	s_and_b32 s2, s3, s2
.LBB483_2:
	s_delay_alu instid0(SALU_CYCLE_1)
	s_and_not1_b32 vcc_lo, exec_lo, s2
	s_cbranch_vccnz .LBB483_35
; %bb.3:
	s_load_b32 s33, s[0:1], 0x68
	s_bfe_u32 s2, ttmp6, 0x40014
	s_lshr_b32 s3, ttmp7, 16
	s_add_co_i32 s2, s2, 1
	s_bfe_u32 s5, ttmp6, 0x40008
	s_mul_i32 s4, s3, s2
	s_getreg_b32 s2, hwreg(HW_REG_IB_STS2, 6, 4)
	s_add_co_i32 s5, s5, s4
	s_cmp_eq_u32 s2, 0
	s_mov_b32 s25, 0
	s_cselect_b32 s24, s3, s5
	s_wait_kmcnt 0x0
	s_cmp_ge_u32 s24, s33
	s_cbranch_scc1 .LBB483_35
; %bb.4:
	v_and_b32_e32 v13, 0x3ff, v0
	v_bfe_u32 v22, v0, 10, 10
	s_bfe_u32 s3, ttmp6, 0x4000c
	s_bfe_u32 s5, ttmp6, 0x40010
	s_add_co_i32 s3, s3, 1
	s_and_b32 s34, ttmp7, 0xffff
	s_add_co_i32 s5, s5, 1
	v_lshl_add_u32 v1, v22, 4, v13
	s_and_b32 s4, ttmp6, 15
	s_mul_i32 s3, ttmp9, s3
	s_mul_i32 s5, s34, s5
	s_bfe_u32 s35, ttmp6, 0x40004
	s_add_co_i32 s4, s4, s3
	s_add_co_i32 s35, s35, s5
	s_cmp_eq_u32 s2, 0
	v_dual_lshrrev_b32 v12, 3, v1 :: v_dual_bitop2_b32 v11, 31, v1 bitop3:0x40
	s_cselect_b32 s2, ttmp9, s4
	s_cselect_b32 s3, s34, s35
	s_lshl_b32 s2, s2, 5
	s_lshl_b32 s3, s3, 5
	s_delay_alu instid0(SALU_CYCLE_1)
	v_dual_add_nc_u32 v16, s3, v22 :: v_dual_bitop2_b32 v14, s2, v11 bitop3:0x54
	v_add_nc_u32_e32 v18, s3, v12
	v_cmp_neq_f64_e64 s35, s[10:11], 0
	s_load_b32 s4, s[0:1], 0x0
	v_dual_ashrrev_i32 v15, 31, v14 :: v_dual_add_nc_u32 v20, 16, v16
	v_ashrrev_i32_e32 v17, 31, v16
	v_dual_ashrrev_i32 v19, 31, v18 :: v_dual_bitop2_b32 v0, 7, v0 bitop3:0x40
	s_delay_alu instid0(VALU_DEP_3) | instskip(NEXT) | instid1(VALU_DEP_4)
	v_mul_u64_e32 v[2:3], s[14:15], v[14:15]
	v_dual_ashrrev_i32 v21, 31, v20 :: v_dual_lshrrev_b32 v10, 5, v1
	s_delay_alu instid0(VALU_DEP_4) | instskip(NEXT) | instid1(VALU_DEP_4)
	v_mul_u64_e32 v[6:7], s[28:29], v[16:17]
	v_mul_u64_e32 v[4:5], s[20:21], v[18:19]
	v_cmp_neq_f64_e64 s20, s[6:7], 0
	s_delay_alu instid0(VALU_DEP_4) | instskip(SKIP_4) | instid1(VALU_DEP_4)
	v_mul_u64_e32 v[8:9], s[28:29], v[20:21]
	v_dual_lshlrev_b32 v15, 3, v0 :: v_dual_lshlrev_b32 v1, 3, v11
	v_lshlrev_b32_e32 v36, 3, v13
	v_cmp_gt_i64_e64 s14, s[8:9], 0
	v_lshl_add_u32 v37, v22, 6, 0x800
	v_lshl_or_b32 v11, v12, 6, v15
	v_add_nc_u32_e32 v12, s2, v13
	s_wait_kmcnt 0x0
	v_cmp_gt_i32_e64 s0, s4, v14
	v_cmp_gt_i32_e64 s1, s4, v18
	v_lshl_or_b32 v1, v10, 8, v1
	v_add_nc_u32_e32 v11, 0x800, v11
	v_dual_add_nc_u32 v14, 16, v12 :: v_dual_ashrrev_i32 v13, 31, v12
	v_cmp_le_i32_e32 vcc_lo, v16, v12
	v_cmp_gt_i32_e64 s2, s4, v12
	s_delay_alu instid0(VALU_DEP_3)
	v_dual_mov_b32 v17, 0 :: v_dual_ashrrev_i32 v15, 31, v14
	v_cmp_le_i32_e64 s3, v16, v14
	v_cmp_gt_i32_e64 s4, s4, v14
	s_and_b32 s21, vcc_lo, s2
	v_cmp_le_i32_e32 vcc_lo, v20, v12
	v_cmp_le_i32_e64 s5, v20, v14
	s_and_b32 s35, s35, s14
	s_and_b32 s28, s3, s4
	s_lshl_b64 s[14:15], s[30:31], 3
	s_and_b32 s29, vcc_lo, s2
	s_and_b32 s34, s5, s4
	s_lshl_b64 s[2:3], s[22:23], 3
	s_lshl_b64 s[4:5], s[16:17], 3
	s_branch .LBB483_6
.LBB483_5:                              ;   in Loop: Header=BB483_6 Depth=1
	s_wait_xcnt 0x0
	s_or_b32 exec_lo, exec_lo, s16
	s_add_co_i32 s24, s24, 0x10000
	s_delay_alu instid0(SALU_CYCLE_1)
	s_cmp_lt_u32 s24, s33
	s_cbranch_scc0 .LBB483_35
.LBB483_6:                              ; =>This Loop Header: Depth=1
                                        ;     Child Loop BB483_9 Depth 2
	v_mov_b32_e32 v16, s24
	v_mov_b64_e32 v[26:27], 0
	v_mov_b64_e32 v[22:23], 0
	;; [unrolled: 1-line block ×4, first 2 shown]
	global_load_b64 v[24:25], v16, s[26:27] scale_offset
	s_and_not1_b32 vcc_lo, exec_lo, s35
	s_cbranch_vccnz .LBB483_15
; %bb.7:                                ;   in Loop: Header=BB483_6 Depth=1
	s_lshl_b64 s[16:17], s[24:25], 3
	v_mov_b64_e32 v[22:23], 0
	s_add_nc_u64 s[22:23], s[12:13], s[16:17]
	s_add_nc_u64 s[16:17], s[18:19], s[16:17]
	s_clause 0x1
	global_load_b64 v[18:19], v17, s[22:23]
	global_load_b64 v[20:21], v17, s[16:17]
	v_mov_b64_e32 v[26:27], 0
	s_wait_xcnt 0x0
	s_mov_b64 s[16:17], 0
	s_wait_loadcnt 0x1
	v_add_nc_u64_e32 v[28:29], s[4:5], v[18:19]
	s_wait_loadcnt 0x0
	v_add_nc_u64_e32 v[30:31], s[2:3], v[20:21]
	v_mov_b64_e32 v[18:19], 0
	v_mov_b64_e32 v[20:21], 0
	s_delay_alu instid0(VALU_DEP_4) | instskip(NEXT) | instid1(VALU_DEP_4)
	v_lshl_add_u64 v[28:29], v[2:3], 3, v[28:29]
	v_lshl_add_u64 v[30:31], v[4:5], 3, v[30:31]
	s_branch .LBB483_9
.LBB483_8:                              ;   in Loop: Header=BB483_9 Depth=2
	s_wait_xcnt 0x0
	s_or_b32 exec_lo, exec_lo, s22
	s_wait_loadcnt_dscnt 0x0
	ds_store_b64 v11, v[34:35]
	s_wait_dscnt 0x0
	s_barrier_signal -1
	s_barrier_wait -1
	ds_load_b128 v[32:35], v37
	ds_load_2addr_b64 v[38:41], v36 offset1:16
	ds_load_b128 v[42:45], v37 offset:1024
	ds_load_b128 v[46:49], v37 offset:16
	;; [unrolled: 1-line block ×3, first 2 shown]
	s_add_nc_u64 s[16:17], s[16:17], 8
	s_delay_alu instid0(SALU_CYCLE_1)
	v_cmp_gt_i64_e64 s22, s[8:9], s[16:17]
	s_and_b32 vcc_lo, exec_lo, s22
	s_wait_dscnt 0x3
	v_fmac_f64_e32 v[26:27], v[38:39], v[32:33]
	v_fmac_f64_e32 v[22:23], v[40:41], v[32:33]
	s_wait_dscnt 0x2
	v_fmac_f64_e32 v[20:21], v[38:39], v[42:43]
	v_fmac_f64_e32 v[18:19], v[40:41], v[42:43]
	ds_load_2addr_b64 v[38:41], v36 offset0:32 offset1:48
	s_wait_dscnt 0x0
	v_fmac_f64_e32 v[26:27], v[38:39], v[34:35]
	v_fmac_f64_e32 v[22:23], v[40:41], v[34:35]
	v_fmac_f64_e32 v[20:21], v[38:39], v[44:45]
	v_fmac_f64_e32 v[18:19], v[40:41], v[44:45]
	ds_load_2addr_b64 v[32:35], v36 offset0:64 offset1:80
	s_wait_dscnt 0x0
	v_fmac_f64_e32 v[26:27], v[32:33], v[46:47]
	v_fmac_f64_e32 v[22:23], v[34:35], v[46:47]
	;; [unrolled: 6-line block ×3, first 2 shown]
	v_fmac_f64_e32 v[20:21], v[32:33], v[52:53]
	v_fmac_f64_e32 v[18:19], v[34:35], v[52:53]
	ds_load_b128 v[32:35], v37 offset:32
	ds_load_2addr_b64 v[38:41], v36 offset0:128 offset1:144
	ds_load_b128 v[42:45], v37 offset:1056
	ds_load_b128 v[46:49], v37 offset:48
	;; [unrolled: 1-line block ×3, first 2 shown]
	s_wait_dscnt 0x3
	v_fmac_f64_e32 v[26:27], v[38:39], v[32:33]
	v_fmac_f64_e32 v[22:23], v[40:41], v[32:33]
	s_wait_dscnt 0x2
	v_fmac_f64_e32 v[20:21], v[38:39], v[42:43]
	v_fmac_f64_e32 v[18:19], v[40:41], v[42:43]
	ds_load_2addr_b64 v[38:41], v36 offset0:160 offset1:176
	s_wait_dscnt 0x0
	v_fmac_f64_e32 v[26:27], v[38:39], v[34:35]
	v_fmac_f64_e32 v[22:23], v[40:41], v[34:35]
	v_fmac_f64_e32 v[20:21], v[38:39], v[44:45]
	v_fmac_f64_e32 v[18:19], v[40:41], v[44:45]
	ds_load_2addr_b64 v[32:35], v36 offset0:192 offset1:208
	s_wait_dscnt 0x0
	v_fmac_f64_e32 v[26:27], v[32:33], v[46:47]
	v_fmac_f64_e32 v[22:23], v[34:35], v[46:47]
	;; [unrolled: 1-line block ×4, first 2 shown]
	ds_load_2addr_b64 v[32:35], v36 offset0:224 offset1:240
	s_wait_dscnt 0x0
	s_barrier_signal -1
	s_barrier_wait -1
	v_fmac_f64_e32 v[26:27], v[32:33], v[48:49]
	v_fmac_f64_e32 v[22:23], v[34:35], v[48:49]
	;; [unrolled: 1-line block ×4, first 2 shown]
	s_cbranch_vccz .LBB483_15
.LBB483_9:                              ;   Parent Loop BB483_6 Depth=1
                                        ; =>  This Inner Loop Header: Depth=2
	v_mov_b64_e32 v[32:33], 0
	s_and_saveexec_b32 s22, s0
	s_cbranch_execz .LBB483_13
; %bb.10:                               ;   in Loop: Header=BB483_9 Depth=2
	v_mov_b64_e32 v[32:33], 0
	v_add_nc_u32_e32 v16, s16, v10
	s_mov_b32 s23, exec_lo
	s_delay_alu instid0(VALU_DEP_1)
	v_cmpx_gt_u64_e64 s[8:9], v[16:17]
	s_cbranch_execz .LBB483_12
; %bb.11:                               ;   in Loop: Header=BB483_9 Depth=2
	v_lshl_add_u64 v[32:33], v[16:17], 3, v[28:29]
	flat_load_b64 v[32:33], v[32:33]
.LBB483_12:                             ;   in Loop: Header=BB483_9 Depth=2
	s_wait_xcnt 0x0
	s_or_b32 exec_lo, exec_lo, s23
.LBB483_13:                             ;   in Loop: Header=BB483_9 Depth=2
	s_delay_alu instid0(SALU_CYCLE_1)
	s_or_b32 exec_lo, exec_lo, s22
	v_add_nc_u32_e32 v16, s16, v0
	v_mov_b64_e32 v[34:35], 0
	s_wait_loadcnt_dscnt 0x0
	ds_store_b64 v1, v[32:33]
	v_cmp_gt_u64_e32 vcc_lo, s[8:9], v[16:17]
	s_and_b32 s23, vcc_lo, s1
	s_delay_alu instid0(SALU_CYCLE_1)
	s_and_saveexec_b32 s22, s23
	s_cbranch_execz .LBB483_8
; %bb.14:                               ;   in Loop: Header=BB483_9 Depth=2
	v_lshl_add_u64 v[32:33], v[16:17], 3, v[30:31]
	flat_load_b64 v[34:35], v[32:33]
	s_branch .LBB483_8
.LBB483_15:                             ;   in Loop: Header=BB483_6 Depth=1
	s_wait_loadcnt 0x0
	v_add_nc_u64_e32 v[24:25], s[14:15], v[24:25]
	s_delay_alu instid0(VALU_DEP_1)
	v_lshl_add_u64 v[28:29], v[6:7], 3, v[24:25]
	s_wait_xcnt 0x0
	s_and_saveexec_b32 s16, s21
	s_cbranch_execz .LBB483_19
; %bb.16:                               ;   in Loop: Header=BB483_6 Depth=1
	v_mul_f64_e32 v[26:27], s[10:11], v[26:27]
	v_lshl_add_u64 v[30:31], v[12:13], 3, v[28:29]
	s_and_b32 vcc_lo, exec_lo, s20
	s_cbranch_vccz .LBB483_30
; %bb.17:                               ;   in Loop: Header=BB483_6 Depth=1
	flat_load_b64 v[32:33], v[30:31]
	s_wait_loadcnt_dscnt 0x0
	v_fma_f64 v[32:33], s[6:7], v[32:33], v[26:27]
	flat_store_b64 v[30:31], v[32:33]
	s_cbranch_execnz .LBB483_19
.LBB483_18:                             ;   in Loop: Header=BB483_6 Depth=1
	flat_store_b64 v[30:31], v[26:27]
.LBB483_19:                             ;   in Loop: Header=BB483_6 Depth=1
	s_wait_xcnt 0x0
	s_or_b32 exec_lo, exec_lo, s16
	s_and_saveexec_b32 s16, s28
	s_cbranch_execz .LBB483_23
; %bb.20:                               ;   in Loop: Header=BB483_6 Depth=1
	v_mul_f64_e32 v[22:23], s[10:11], v[22:23]
	v_lshl_add_u64 v[26:27], v[14:15], 3, v[28:29]
	s_and_not1_b32 vcc_lo, exec_lo, s20
	s_cbranch_vccnz .LBB483_31
; %bb.21:                               ;   in Loop: Header=BB483_6 Depth=1
	flat_load_b64 v[28:29], v[26:27]
	s_wait_loadcnt_dscnt 0x0
	v_fma_f64 v[28:29], s[6:7], v[28:29], v[22:23]
	flat_store_b64 v[26:27], v[28:29]
	s_cbranch_execnz .LBB483_23
.LBB483_22:                             ;   in Loop: Header=BB483_6 Depth=1
	flat_store_b64 v[26:27], v[22:23]
.LBB483_23:                             ;   in Loop: Header=BB483_6 Depth=1
	s_wait_xcnt 0x0
	s_or_b32 exec_lo, exec_lo, s16
	v_lshl_add_u64 v[22:23], v[8:9], 3, v[24:25]
	s_and_saveexec_b32 s16, s29
	s_cbranch_execz .LBB483_27
; %bb.24:                               ;   in Loop: Header=BB483_6 Depth=1
	v_mul_f64_e32 v[20:21], s[10:11], v[20:21]
	s_delay_alu instid0(VALU_DEP_2)
	v_lshl_add_u64 v[24:25], v[12:13], 3, v[22:23]
	s_and_not1_b32 vcc_lo, exec_lo, s20
	s_cbranch_vccnz .LBB483_32
; %bb.25:                               ;   in Loop: Header=BB483_6 Depth=1
	flat_load_b64 v[26:27], v[24:25]
	s_wait_loadcnt_dscnt 0x0
	v_fma_f64 v[26:27], s[6:7], v[26:27], v[20:21]
	flat_store_b64 v[24:25], v[26:27]
	s_cbranch_execnz .LBB483_27
.LBB483_26:                             ;   in Loop: Header=BB483_6 Depth=1
	flat_store_b64 v[24:25], v[20:21]
.LBB483_27:                             ;   in Loop: Header=BB483_6 Depth=1
	s_wait_xcnt 0x0
	s_or_b32 exec_lo, exec_lo, s16
	s_and_saveexec_b32 s16, s34
	s_cbranch_execz .LBB483_5
; %bb.28:                               ;   in Loop: Header=BB483_6 Depth=1
	s_delay_alu instid0(VALU_DEP_4)
	v_mul_f64_e32 v[18:19], s[10:11], v[18:19]
	v_lshl_add_u64 v[20:21], v[14:15], 3, v[22:23]
	s_and_not1_b32 vcc_lo, exec_lo, s20
	s_cbranch_vccnz .LBB483_33
; %bb.29:                               ;   in Loop: Header=BB483_6 Depth=1
	flat_load_b64 v[22:23], v[20:21]
	s_wait_loadcnt_dscnt 0x0
	v_fma_f64 v[22:23], s[6:7], v[22:23], v[18:19]
	flat_store_b64 v[20:21], v[22:23]
	s_cbranch_execnz .LBB483_5
	s_branch .LBB483_34
.LBB483_30:                             ;   in Loop: Header=BB483_6 Depth=1
	s_branch .LBB483_18
.LBB483_31:                             ;   in Loop: Header=BB483_6 Depth=1
	s_branch .LBB483_22
.LBB483_32:                             ;   in Loop: Header=BB483_6 Depth=1
	s_branch .LBB483_26
.LBB483_33:                             ;   in Loop: Header=BB483_6 Depth=1
.LBB483_34:                             ;   in Loop: Header=BB483_6 Depth=1
	flat_store_b64 v[20:21], v[18:19]
	s_branch .LBB483_5
.LBB483_35:
	s_endpgm
	.section	.rodata,"a",@progbits
	.p2align	6, 0x0
	.amdhsa_kernel _ZL29rocblas_internal_gemmt_kernelIlLi16ELi32ELi8ELc67ELc78ELc76ELb0ELb0EdPKdPKS1_PKPdEviT_T9_T10_S7_lS9_S7_lS8_T11_S7_li
		.amdhsa_group_segment_fixed_size 4096
		.amdhsa_private_segment_fixed_size 0
		.amdhsa_kernarg_size 108
		.amdhsa_user_sgpr_count 2
		.amdhsa_user_sgpr_dispatch_ptr 0
		.amdhsa_user_sgpr_queue_ptr 0
		.amdhsa_user_sgpr_kernarg_segment_ptr 1
		.amdhsa_user_sgpr_dispatch_id 0
		.amdhsa_user_sgpr_kernarg_preload_length 0
		.amdhsa_user_sgpr_kernarg_preload_offset 0
		.amdhsa_user_sgpr_private_segment_size 0
		.amdhsa_wavefront_size32 1
		.amdhsa_uses_dynamic_stack 0
		.amdhsa_enable_private_segment 0
		.amdhsa_system_sgpr_workgroup_id_x 1
		.amdhsa_system_sgpr_workgroup_id_y 1
		.amdhsa_system_sgpr_workgroup_id_z 1
		.amdhsa_system_sgpr_workgroup_info 0
		.amdhsa_system_vgpr_workitem_id 1
		.amdhsa_next_free_vgpr 54
		.amdhsa_next_free_sgpr 36
		.amdhsa_named_barrier_count 0
		.amdhsa_reserve_vcc 1
		.amdhsa_float_round_mode_32 0
		.amdhsa_float_round_mode_16_64 0
		.amdhsa_float_denorm_mode_32 3
		.amdhsa_float_denorm_mode_16_64 3
		.amdhsa_fp16_overflow 0
		.amdhsa_memory_ordered 1
		.amdhsa_forward_progress 1
		.amdhsa_inst_pref_size 13
		.amdhsa_round_robin_scheduling 0
		.amdhsa_exception_fp_ieee_invalid_op 0
		.amdhsa_exception_fp_denorm_src 0
		.amdhsa_exception_fp_ieee_div_zero 0
		.amdhsa_exception_fp_ieee_overflow 0
		.amdhsa_exception_fp_ieee_underflow 0
		.amdhsa_exception_fp_ieee_inexact 0
		.amdhsa_exception_int_div_zero 0
	.end_amdhsa_kernel
	.section	.text._ZL29rocblas_internal_gemmt_kernelIlLi16ELi32ELi8ELc67ELc78ELc76ELb0ELb0EdPKdPKS1_PKPdEviT_T9_T10_S7_lS9_S7_lS8_T11_S7_li,"axG",@progbits,_ZL29rocblas_internal_gemmt_kernelIlLi16ELi32ELi8ELc67ELc78ELc76ELb0ELb0EdPKdPKS1_PKPdEviT_T9_T10_S7_lS9_S7_lS8_T11_S7_li,comdat
.Lfunc_end483:
	.size	_ZL29rocblas_internal_gemmt_kernelIlLi16ELi32ELi8ELc67ELc78ELc76ELb0ELb0EdPKdPKS1_PKPdEviT_T9_T10_S7_lS9_S7_lS8_T11_S7_li, .Lfunc_end483-_ZL29rocblas_internal_gemmt_kernelIlLi16ELi32ELi8ELc67ELc78ELc76ELb0ELb0EdPKdPKS1_PKPdEviT_T9_T10_S7_lS9_S7_lS8_T11_S7_li
                                        ; -- End function
	.set _ZL29rocblas_internal_gemmt_kernelIlLi16ELi32ELi8ELc67ELc78ELc76ELb0ELb0EdPKdPKS1_PKPdEviT_T9_T10_S7_lS9_S7_lS8_T11_S7_li.num_vgpr, 54
	.set _ZL29rocblas_internal_gemmt_kernelIlLi16ELi32ELi8ELc67ELc78ELc76ELb0ELb0EdPKdPKS1_PKPdEviT_T9_T10_S7_lS9_S7_lS8_T11_S7_li.num_agpr, 0
	.set _ZL29rocblas_internal_gemmt_kernelIlLi16ELi32ELi8ELc67ELc78ELc76ELb0ELb0EdPKdPKS1_PKPdEviT_T9_T10_S7_lS9_S7_lS8_T11_S7_li.numbered_sgpr, 36
	.set _ZL29rocblas_internal_gemmt_kernelIlLi16ELi32ELi8ELc67ELc78ELc76ELb0ELb0EdPKdPKS1_PKPdEviT_T9_T10_S7_lS9_S7_lS8_T11_S7_li.num_named_barrier, 0
	.set _ZL29rocblas_internal_gemmt_kernelIlLi16ELi32ELi8ELc67ELc78ELc76ELb0ELb0EdPKdPKS1_PKPdEviT_T9_T10_S7_lS9_S7_lS8_T11_S7_li.private_seg_size, 0
	.set _ZL29rocblas_internal_gemmt_kernelIlLi16ELi32ELi8ELc67ELc78ELc76ELb0ELb0EdPKdPKS1_PKPdEviT_T9_T10_S7_lS9_S7_lS8_T11_S7_li.uses_vcc, 1
	.set _ZL29rocblas_internal_gemmt_kernelIlLi16ELi32ELi8ELc67ELc78ELc76ELb0ELb0EdPKdPKS1_PKPdEviT_T9_T10_S7_lS9_S7_lS8_T11_S7_li.uses_flat_scratch, 0
	.set _ZL29rocblas_internal_gemmt_kernelIlLi16ELi32ELi8ELc67ELc78ELc76ELb0ELb0EdPKdPKS1_PKPdEviT_T9_T10_S7_lS9_S7_lS8_T11_S7_li.has_dyn_sized_stack, 0
	.set _ZL29rocblas_internal_gemmt_kernelIlLi16ELi32ELi8ELc67ELc78ELc76ELb0ELb0EdPKdPKS1_PKPdEviT_T9_T10_S7_lS9_S7_lS8_T11_S7_li.has_recursion, 0
	.set _ZL29rocblas_internal_gemmt_kernelIlLi16ELi32ELi8ELc67ELc78ELc76ELb0ELb0EdPKdPKS1_PKPdEviT_T9_T10_S7_lS9_S7_lS8_T11_S7_li.has_indirect_call, 0
	.section	.AMDGPU.csdata,"",@progbits
; Kernel info:
; codeLenInByte = 1660
; TotalNumSgprs: 38
; NumVgprs: 54
; ScratchSize: 0
; MemoryBound: 0
; FloatMode: 240
; IeeeMode: 1
; LDSByteSize: 4096 bytes/workgroup (compile time only)
; SGPRBlocks: 0
; VGPRBlocks: 3
; NumSGPRsForWavesPerEU: 38
; NumVGPRsForWavesPerEU: 54
; NamedBarCnt: 0
; Occupancy: 16
; WaveLimiterHint : 1
; COMPUTE_PGM_RSRC2:SCRATCH_EN: 0
; COMPUTE_PGM_RSRC2:USER_SGPR: 2
; COMPUTE_PGM_RSRC2:TRAP_HANDLER: 0
; COMPUTE_PGM_RSRC2:TGID_X_EN: 1
; COMPUTE_PGM_RSRC2:TGID_Y_EN: 1
; COMPUTE_PGM_RSRC2:TGID_Z_EN: 1
; COMPUTE_PGM_RSRC2:TIDIG_COMP_CNT: 1
	.section	.text._ZL29rocblas_internal_gemmt_kernelIlLi16ELi32ELi8ELc67ELc84ELc76ELb0ELb0EdPKdPKS1_PKPdEviT_T9_T10_S7_lS9_S7_lS8_T11_S7_li,"axG",@progbits,_ZL29rocblas_internal_gemmt_kernelIlLi16ELi32ELi8ELc67ELc84ELc76ELb0ELb0EdPKdPKS1_PKPdEviT_T9_T10_S7_lS9_S7_lS8_T11_S7_li,comdat
	.globl	_ZL29rocblas_internal_gemmt_kernelIlLi16ELi32ELi8ELc67ELc84ELc76ELb0ELb0EdPKdPKS1_PKPdEviT_T9_T10_S7_lS9_S7_lS8_T11_S7_li ; -- Begin function _ZL29rocblas_internal_gemmt_kernelIlLi16ELi32ELi8ELc67ELc84ELc76ELb0ELb0EdPKdPKS1_PKPdEviT_T9_T10_S7_lS9_S7_lS8_T11_S7_li
	.p2align	8
	.type	_ZL29rocblas_internal_gemmt_kernelIlLi16ELi32ELi8ELc67ELc84ELc76ELb0ELb0EdPKdPKS1_PKPdEviT_T9_T10_S7_lS9_S7_lS8_T11_S7_li,@function
_ZL29rocblas_internal_gemmt_kernelIlLi16ELi32ELi8ELc67ELc84ELc76ELb0ELb0EdPKdPKS1_PKPdEviT_T9_T10_S7_lS9_S7_lS8_T11_S7_li: ; @_ZL29rocblas_internal_gemmt_kernelIlLi16ELi32ELi8ELc67ELc84ELc76ELb0ELb0EdPKdPKS1_PKPdEviT_T9_T10_S7_lS9_S7_lS8_T11_S7_li
; %bb.0:
	s_load_b256 s[24:31], s[0:1], 0x48
	s_wait_kmcnt 0x0
	s_load_b64 s[6:7], s[24:25], 0x0
	s_load_b512 s[8:23], s[0:1], 0x8
	s_wait_kmcnt 0x0
	v_cmp_neq_f64_e64 s2, s[6:7], 1.0
	s_load_b64 s[10:11], s[10:11], 0x0
	s_and_b32 vcc_lo, exec_lo, s2
	s_cbranch_vccnz .LBB484_2
; %bb.1:
	s_wait_kmcnt 0x0
	v_cmp_neq_f64_e64 s2, s[10:11], 0
	s_cmp_lg_u64 s[8:9], 0
	s_cselect_b32 s3, -1, 0
	s_delay_alu instid0(SALU_CYCLE_1)
	s_and_b32 s2, s3, s2
.LBB484_2:
	s_delay_alu instid0(SALU_CYCLE_1)
	s_and_not1_b32 vcc_lo, exec_lo, s2
	s_cbranch_vccnz .LBB484_35
; %bb.3:
	s_load_b32 s33, s[0:1], 0x68
	s_bfe_u32 s2, ttmp6, 0x40014
	s_lshr_b32 s3, ttmp7, 16
	s_add_co_i32 s2, s2, 1
	s_bfe_u32 s5, ttmp6, 0x40008
	s_mul_i32 s4, s3, s2
	s_getreg_b32 s2, hwreg(HW_REG_IB_STS2, 6, 4)
	s_add_co_i32 s5, s5, s4
	s_cmp_eq_u32 s2, 0
	s_mov_b32 s25, 0
	s_cselect_b32 s24, s3, s5
	s_wait_kmcnt 0x0
	s_cmp_ge_u32 s24, s33
	s_cbranch_scc1 .LBB484_35
; %bb.4:
	s_load_b32 s4, s[0:1], 0x0
	s_wait_xcnt 0x0
	s_bfe_u32 s1, ttmp6, 0x4000c
	s_bfe_u32 s3, ttmp6, 0x40010
	s_add_co_i32 s1, s1, 1
	s_and_b32 s5, ttmp7, 0xffff
	s_add_co_i32 s3, s3, 1
	v_and_b32_e32 v15, 0x3ff, v0
	v_bfe_u32 v20, v0, 10, 10
	s_and_b32 s0, ttmp6, 15
	s_mul_i32 s1, ttmp9, s1
	s_mul_i32 s3, s5, s3
	s_bfe_u32 s34, ttmp6, 0x40004
	s_add_co_i32 s0, s0, s1
	s_add_co_i32 s34, s34, s3
	s_cmp_eq_u32 s2, 0
	v_lshl_add_u32 v1, v20, 4, v15
	s_cselect_b32 s1, s5, s34
	s_cselect_b32 s0, ttmp9, s0
	s_lshl_b32 s1, s1, 5
	s_lshl_b32 s2, s0, 5
	v_dual_add_nc_u32 v16, s1, v20 :: v_dual_bitop2_b32 v3, 31, v1 bitop3:0x40
	v_lshrrev_b32_e32 v5, 3, v1
	v_cmp_neq_f64_e64 s37, s[10:11], 0
	v_cmp_neq_f64_e64 s34, s[6:7], 0
	s_delay_alu instid0(VALU_DEP_4) | instskip(NEXT) | instid1(VALU_DEP_4)
	v_dual_add_nc_u32 v18, 16, v16 :: v_dual_bitop2_b32 v12, s2, v3 bitop3:0x54
	v_dual_add_nc_u32 v4, s1, v5 :: v_dual_ashrrev_i32 v17, 31, v16
	s_delay_alu instid0(VALU_DEP_2) | instskip(NEXT) | instid1(VALU_DEP_3)
	v_dual_lshlrev_b32 v3, 3, v3 :: v_dual_ashrrev_i32 v13, 31, v12
	v_dual_ashrrev_i32 v19, 31, v18 :: v_dual_lshrrev_b32 v2, 5, v1
	v_and_b32_e32 v0, 7, v0
	s_delay_alu instid0(VALU_DEP_4) | instskip(NEXT) | instid1(VALU_DEP_4)
	v_mul_u64_e32 v[8:9], s[28:29], v[16:17]
	v_mul_u64_e32 v[6:7], s[14:15], v[12:13]
	s_delay_alu instid0(VALU_DEP_4)
	v_mul_u64_e32 v[10:11], s[28:29], v[18:19]
	s_wait_kmcnt 0x0
	v_cmp_gt_i32_e64 s0, s4, v12
	v_dual_lshlrev_b32 v1, 3, v0 :: v_dual_add_nc_u32 v12, s2, v15
	v_cmp_gt_i64_e64 s14, s[8:9], 0
	v_cmp_gt_i32_e64 s1, s4, v4
	v_lshlrev_b32_e32 v36, 3, v15
	s_delay_alu instid0(VALU_DEP_4) | instskip(SKIP_4) | instid1(VALU_DEP_4)
	v_lshl_or_b32 v5, v5, 6, v1
	v_dual_add_nc_u32 v14, 16, v12 :: v_dual_ashrrev_i32 v13, 31, v12
	v_cmp_le_i32_e32 vcc_lo, v16, v12
	v_cmp_gt_i32_e64 s2, s4, v12
	v_lshl_or_b32 v1, v2, 8, v3
	v_cmp_le_i32_e64 s3, v16, v14
	v_cmp_gt_i32_e64 s4, s4, v14
	v_cmp_le_i32_e64 s5, v18, v14
	s_and_b32 s28, vcc_lo, s2
	v_cmp_le_i32_e32 vcc_lo, v18, v12
	v_add_nc_u32_e32 v3, 0x800, v5
	v_ashrrev_i32_e32 v5, 31, v4
	v_lshl_add_u32 v37, v20, 6, 0x800
	v_dual_ashrrev_i32 v15, 31, v14 :: v_dual_mov_b32 v17, 0
	s_and_b32 s29, s3, s4
	s_and_b32 s35, vcc_lo, s2
	s_and_b32 s36, s5, s4
	s_and_b32 s37, s37, s14
	s_lshl_b64 s[2:3], s[22:23], 3
	s_lshl_b64 s[4:5], s[16:17], 3
	;; [unrolled: 1-line block ×3, first 2 shown]
	s_branch .LBB484_6
.LBB484_5:                              ;   in Loop: Header=BB484_6 Depth=1
	s_wait_xcnt 0x0
	s_or_b32 exec_lo, exec_lo, s16
	s_add_co_i32 s24, s24, 0x10000
	s_delay_alu instid0(SALU_CYCLE_1)
	s_cmp_lt_u32 s24, s33
	s_cbranch_scc0 .LBB484_35
.LBB484_6:                              ; =>This Loop Header: Depth=1
                                        ;     Child Loop BB484_9 Depth 2
	v_mov_b32_e32 v16, s24
	v_mov_b64_e32 v[26:27], 0
	v_mov_b64_e32 v[22:23], 0
	;; [unrolled: 1-line block ×4, first 2 shown]
	global_load_b64 v[24:25], v16, s[26:27] scale_offset
	s_and_not1_b32 vcc_lo, exec_lo, s37
	s_cbranch_vccnz .LBB484_15
; %bb.7:                                ;   in Loop: Header=BB484_6 Depth=1
	s_lshl_b64 s[16:17], s[24:25], 3
	v_mov_b64_e32 v[22:23], 0
	s_add_nc_u64 s[22:23], s[12:13], s[16:17]
	s_add_nc_u64 s[16:17], s[18:19], s[16:17]
	s_clause 0x1
	global_load_b64 v[18:19], v17, s[22:23]
	global_load_b64 v[20:21], v17, s[16:17]
	v_mov_b64_e32 v[26:27], 0
	s_wait_xcnt 0x0
	s_mov_b64 s[16:17], 0
	s_wait_loadcnt 0x1
	v_add_nc_u64_e32 v[28:29], s[4:5], v[18:19]
	s_wait_loadcnt 0x0
	v_add_nc_u64_e32 v[30:31], s[2:3], v[20:21]
	v_mov_b64_e32 v[18:19], 0
	v_mov_b64_e32 v[20:21], 0
	s_delay_alu instid0(VALU_DEP_4) | instskip(NEXT) | instid1(VALU_DEP_4)
	v_lshl_add_u64 v[28:29], v[6:7], 3, v[28:29]
	v_lshl_add_u64 v[30:31], v[4:5], 3, v[30:31]
	s_branch .LBB484_9
.LBB484_8:                              ;   in Loop: Header=BB484_9 Depth=2
	s_wait_xcnt 0x0
	s_or_b32 exec_lo, exec_lo, s22
	s_wait_loadcnt_dscnt 0x0
	ds_store_b64 v3, v[34:35]
	s_wait_dscnt 0x0
	s_barrier_signal -1
	s_barrier_wait -1
	ds_load_b128 v[32:35], v37
	ds_load_2addr_b64 v[38:41], v36 offset1:16
	ds_load_b128 v[42:45], v37 offset:1024
	ds_load_b128 v[46:49], v37 offset:16
	;; [unrolled: 1-line block ×3, first 2 shown]
	s_add_nc_u64 s[16:17], s[16:17], 8
	s_delay_alu instid0(SALU_CYCLE_1)
	v_cmp_gt_i64_e64 s22, s[8:9], s[16:17]
	s_and_b32 vcc_lo, exec_lo, s22
	s_wait_dscnt 0x3
	v_fmac_f64_e32 v[26:27], v[38:39], v[32:33]
	v_fmac_f64_e32 v[22:23], v[40:41], v[32:33]
	s_wait_dscnt 0x2
	v_fmac_f64_e32 v[20:21], v[38:39], v[42:43]
	v_fmac_f64_e32 v[18:19], v[40:41], v[42:43]
	ds_load_2addr_b64 v[38:41], v36 offset0:32 offset1:48
	s_wait_dscnt 0x0
	v_fmac_f64_e32 v[26:27], v[38:39], v[34:35]
	v_fmac_f64_e32 v[22:23], v[40:41], v[34:35]
	v_fmac_f64_e32 v[20:21], v[38:39], v[44:45]
	v_fmac_f64_e32 v[18:19], v[40:41], v[44:45]
	ds_load_2addr_b64 v[32:35], v36 offset0:64 offset1:80
	s_wait_dscnt 0x0
	v_fmac_f64_e32 v[26:27], v[32:33], v[46:47]
	v_fmac_f64_e32 v[22:23], v[34:35], v[46:47]
	;; [unrolled: 6-line block ×3, first 2 shown]
	v_fmac_f64_e32 v[20:21], v[32:33], v[52:53]
	v_fmac_f64_e32 v[18:19], v[34:35], v[52:53]
	ds_load_b128 v[32:35], v37 offset:32
	ds_load_2addr_b64 v[38:41], v36 offset0:128 offset1:144
	ds_load_b128 v[42:45], v37 offset:1056
	ds_load_b128 v[46:49], v37 offset:48
	;; [unrolled: 1-line block ×3, first 2 shown]
	s_wait_dscnt 0x3
	v_fmac_f64_e32 v[26:27], v[38:39], v[32:33]
	v_fmac_f64_e32 v[22:23], v[40:41], v[32:33]
	s_wait_dscnt 0x2
	v_fmac_f64_e32 v[20:21], v[38:39], v[42:43]
	v_fmac_f64_e32 v[18:19], v[40:41], v[42:43]
	ds_load_2addr_b64 v[38:41], v36 offset0:160 offset1:176
	s_wait_dscnt 0x0
	v_fmac_f64_e32 v[26:27], v[38:39], v[34:35]
	v_fmac_f64_e32 v[22:23], v[40:41], v[34:35]
	;; [unrolled: 1-line block ×4, first 2 shown]
	ds_load_2addr_b64 v[32:35], v36 offset0:192 offset1:208
	s_wait_dscnt 0x0
	v_fmac_f64_e32 v[26:27], v[32:33], v[46:47]
	v_fmac_f64_e32 v[22:23], v[34:35], v[46:47]
	v_fmac_f64_e32 v[20:21], v[32:33], v[50:51]
	v_fmac_f64_e32 v[18:19], v[34:35], v[50:51]
	ds_load_2addr_b64 v[32:35], v36 offset0:224 offset1:240
	s_wait_dscnt 0x0
	s_barrier_signal -1
	s_barrier_wait -1
	v_fmac_f64_e32 v[26:27], v[32:33], v[48:49]
	v_fmac_f64_e32 v[22:23], v[34:35], v[48:49]
	;; [unrolled: 1-line block ×4, first 2 shown]
	s_cbranch_vccz .LBB484_15
.LBB484_9:                              ;   Parent Loop BB484_6 Depth=1
                                        ; =>  This Inner Loop Header: Depth=2
	v_mov_b64_e32 v[32:33], 0
	s_and_saveexec_b32 s22, s0
	s_cbranch_execz .LBB484_13
; %bb.10:                               ;   in Loop: Header=BB484_9 Depth=2
	v_mov_b64_e32 v[32:33], 0
	v_add_nc_u32_e32 v16, s16, v2
	s_mov_b32 s23, exec_lo
	s_delay_alu instid0(VALU_DEP_1)
	v_cmpx_gt_u64_e64 s[8:9], v[16:17]
	s_cbranch_execz .LBB484_12
; %bb.11:                               ;   in Loop: Header=BB484_9 Depth=2
	v_lshl_add_u64 v[32:33], v[16:17], 3, v[28:29]
	flat_load_b64 v[32:33], v[32:33]
.LBB484_12:                             ;   in Loop: Header=BB484_9 Depth=2
	s_wait_xcnt 0x0
	s_or_b32 exec_lo, exec_lo, s23
.LBB484_13:                             ;   in Loop: Header=BB484_9 Depth=2
	s_delay_alu instid0(SALU_CYCLE_1)
	s_or_b32 exec_lo, exec_lo, s22
	v_add_nc_u32_e32 v16, s16, v0
	v_mov_b64_e32 v[34:35], 0
	s_wait_loadcnt_dscnt 0x0
	ds_store_b64 v1, v[32:33]
	v_cmp_gt_u64_e32 vcc_lo, s[8:9], v[16:17]
	s_and_b32 s23, vcc_lo, s1
	s_delay_alu instid0(SALU_CYCLE_1)
	s_and_saveexec_b32 s22, s23
	s_cbranch_execz .LBB484_8
; %bb.14:                               ;   in Loop: Header=BB484_9 Depth=2
	v_mul_u64_e32 v[32:33], s[20:21], v[16:17]
	s_delay_alu instid0(VALU_DEP_1)
	v_lshl_add_u64 v[32:33], v[32:33], 3, v[30:31]
	flat_load_b64 v[34:35], v[32:33]
	s_branch .LBB484_8
.LBB484_15:                             ;   in Loop: Header=BB484_6 Depth=1
	s_wait_loadcnt 0x0
	v_add_nc_u64_e32 v[24:25], s[14:15], v[24:25]
	s_delay_alu instid0(VALU_DEP_1)
	v_lshl_add_u64 v[28:29], v[8:9], 3, v[24:25]
	s_wait_xcnt 0x0
	s_and_saveexec_b32 s16, s28
	s_cbranch_execz .LBB484_19
; %bb.16:                               ;   in Loop: Header=BB484_6 Depth=1
	v_mul_f64_e32 v[26:27], s[10:11], v[26:27]
	v_lshl_add_u64 v[30:31], v[12:13], 3, v[28:29]
	s_and_b32 vcc_lo, exec_lo, s34
	s_cbranch_vccz .LBB484_30
; %bb.17:                               ;   in Loop: Header=BB484_6 Depth=1
	flat_load_b64 v[32:33], v[30:31]
	s_wait_loadcnt_dscnt 0x0
	v_fma_f64 v[32:33], s[6:7], v[32:33], v[26:27]
	flat_store_b64 v[30:31], v[32:33]
	s_cbranch_execnz .LBB484_19
.LBB484_18:                             ;   in Loop: Header=BB484_6 Depth=1
	flat_store_b64 v[30:31], v[26:27]
.LBB484_19:                             ;   in Loop: Header=BB484_6 Depth=1
	s_wait_xcnt 0x0
	s_or_b32 exec_lo, exec_lo, s16
	s_and_saveexec_b32 s16, s29
	s_cbranch_execz .LBB484_23
; %bb.20:                               ;   in Loop: Header=BB484_6 Depth=1
	v_mul_f64_e32 v[22:23], s[10:11], v[22:23]
	v_lshl_add_u64 v[26:27], v[14:15], 3, v[28:29]
	s_and_not1_b32 vcc_lo, exec_lo, s34
	s_cbranch_vccnz .LBB484_31
; %bb.21:                               ;   in Loop: Header=BB484_6 Depth=1
	flat_load_b64 v[28:29], v[26:27]
	s_wait_loadcnt_dscnt 0x0
	v_fma_f64 v[28:29], s[6:7], v[28:29], v[22:23]
	flat_store_b64 v[26:27], v[28:29]
	s_cbranch_execnz .LBB484_23
.LBB484_22:                             ;   in Loop: Header=BB484_6 Depth=1
	flat_store_b64 v[26:27], v[22:23]
.LBB484_23:                             ;   in Loop: Header=BB484_6 Depth=1
	s_wait_xcnt 0x0
	s_or_b32 exec_lo, exec_lo, s16
	v_lshl_add_u64 v[22:23], v[10:11], 3, v[24:25]
	s_and_saveexec_b32 s16, s35
	s_cbranch_execz .LBB484_27
; %bb.24:                               ;   in Loop: Header=BB484_6 Depth=1
	v_mul_f64_e32 v[20:21], s[10:11], v[20:21]
	s_delay_alu instid0(VALU_DEP_2)
	v_lshl_add_u64 v[24:25], v[12:13], 3, v[22:23]
	s_and_not1_b32 vcc_lo, exec_lo, s34
	s_cbranch_vccnz .LBB484_32
; %bb.25:                               ;   in Loop: Header=BB484_6 Depth=1
	flat_load_b64 v[26:27], v[24:25]
	s_wait_loadcnt_dscnt 0x0
	v_fma_f64 v[26:27], s[6:7], v[26:27], v[20:21]
	flat_store_b64 v[24:25], v[26:27]
	s_cbranch_execnz .LBB484_27
.LBB484_26:                             ;   in Loop: Header=BB484_6 Depth=1
	flat_store_b64 v[24:25], v[20:21]
.LBB484_27:                             ;   in Loop: Header=BB484_6 Depth=1
	s_wait_xcnt 0x0
	s_or_b32 exec_lo, exec_lo, s16
	s_and_saveexec_b32 s16, s36
	s_cbranch_execz .LBB484_5
; %bb.28:                               ;   in Loop: Header=BB484_6 Depth=1
	s_delay_alu instid0(VALU_DEP_4)
	v_mul_f64_e32 v[18:19], s[10:11], v[18:19]
	v_lshl_add_u64 v[20:21], v[14:15], 3, v[22:23]
	s_and_not1_b32 vcc_lo, exec_lo, s34
	s_cbranch_vccnz .LBB484_33
; %bb.29:                               ;   in Loop: Header=BB484_6 Depth=1
	flat_load_b64 v[22:23], v[20:21]
	s_wait_loadcnt_dscnt 0x0
	v_fma_f64 v[22:23], s[6:7], v[22:23], v[18:19]
	flat_store_b64 v[20:21], v[22:23]
	s_cbranch_execnz .LBB484_5
	s_branch .LBB484_34
.LBB484_30:                             ;   in Loop: Header=BB484_6 Depth=1
	s_branch .LBB484_18
.LBB484_31:                             ;   in Loop: Header=BB484_6 Depth=1
	s_branch .LBB484_22
.LBB484_32:                             ;   in Loop: Header=BB484_6 Depth=1
	s_branch .LBB484_26
.LBB484_33:                             ;   in Loop: Header=BB484_6 Depth=1
.LBB484_34:                             ;   in Loop: Header=BB484_6 Depth=1
	flat_store_b64 v[20:21], v[18:19]
	s_branch .LBB484_5
.LBB484_35:
	s_endpgm
	.section	.rodata,"a",@progbits
	.p2align	6, 0x0
	.amdhsa_kernel _ZL29rocblas_internal_gemmt_kernelIlLi16ELi32ELi8ELc67ELc84ELc76ELb0ELb0EdPKdPKS1_PKPdEviT_T9_T10_S7_lS9_S7_lS8_T11_S7_li
		.amdhsa_group_segment_fixed_size 4096
		.amdhsa_private_segment_fixed_size 0
		.amdhsa_kernarg_size 108
		.amdhsa_user_sgpr_count 2
		.amdhsa_user_sgpr_dispatch_ptr 0
		.amdhsa_user_sgpr_queue_ptr 0
		.amdhsa_user_sgpr_kernarg_segment_ptr 1
		.amdhsa_user_sgpr_dispatch_id 0
		.amdhsa_user_sgpr_kernarg_preload_length 0
		.amdhsa_user_sgpr_kernarg_preload_offset 0
		.amdhsa_user_sgpr_private_segment_size 0
		.amdhsa_wavefront_size32 1
		.amdhsa_uses_dynamic_stack 0
		.amdhsa_enable_private_segment 0
		.amdhsa_system_sgpr_workgroup_id_x 1
		.amdhsa_system_sgpr_workgroup_id_y 1
		.amdhsa_system_sgpr_workgroup_id_z 1
		.amdhsa_system_sgpr_workgroup_info 0
		.amdhsa_system_vgpr_workitem_id 1
		.amdhsa_next_free_vgpr 54
		.amdhsa_next_free_sgpr 38
		.amdhsa_named_barrier_count 0
		.amdhsa_reserve_vcc 1
		.amdhsa_float_round_mode_32 0
		.amdhsa_float_round_mode_16_64 0
		.amdhsa_float_denorm_mode_32 3
		.amdhsa_float_denorm_mode_16_64 3
		.amdhsa_fp16_overflow 0
		.amdhsa_memory_ordered 1
		.amdhsa_forward_progress 1
		.amdhsa_inst_pref_size 14
		.amdhsa_round_robin_scheduling 0
		.amdhsa_exception_fp_ieee_invalid_op 0
		.amdhsa_exception_fp_denorm_src 0
		.amdhsa_exception_fp_ieee_div_zero 0
		.amdhsa_exception_fp_ieee_overflow 0
		.amdhsa_exception_fp_ieee_underflow 0
		.amdhsa_exception_fp_ieee_inexact 0
		.amdhsa_exception_int_div_zero 0
	.end_amdhsa_kernel
	.section	.text._ZL29rocblas_internal_gemmt_kernelIlLi16ELi32ELi8ELc67ELc84ELc76ELb0ELb0EdPKdPKS1_PKPdEviT_T9_T10_S7_lS9_S7_lS8_T11_S7_li,"axG",@progbits,_ZL29rocblas_internal_gemmt_kernelIlLi16ELi32ELi8ELc67ELc84ELc76ELb0ELb0EdPKdPKS1_PKPdEviT_T9_T10_S7_lS9_S7_lS8_T11_S7_li,comdat
.Lfunc_end484:
	.size	_ZL29rocblas_internal_gemmt_kernelIlLi16ELi32ELi8ELc67ELc84ELc76ELb0ELb0EdPKdPKS1_PKPdEviT_T9_T10_S7_lS9_S7_lS8_T11_S7_li, .Lfunc_end484-_ZL29rocblas_internal_gemmt_kernelIlLi16ELi32ELi8ELc67ELc84ELc76ELb0ELb0EdPKdPKS1_PKPdEviT_T9_T10_S7_lS9_S7_lS8_T11_S7_li
                                        ; -- End function
	.set _ZL29rocblas_internal_gemmt_kernelIlLi16ELi32ELi8ELc67ELc84ELc76ELb0ELb0EdPKdPKS1_PKPdEviT_T9_T10_S7_lS9_S7_lS8_T11_S7_li.num_vgpr, 54
	.set _ZL29rocblas_internal_gemmt_kernelIlLi16ELi32ELi8ELc67ELc84ELc76ELb0ELb0EdPKdPKS1_PKPdEviT_T9_T10_S7_lS9_S7_lS8_T11_S7_li.num_agpr, 0
	.set _ZL29rocblas_internal_gemmt_kernelIlLi16ELi32ELi8ELc67ELc84ELc76ELb0ELb0EdPKdPKS1_PKPdEviT_T9_T10_S7_lS9_S7_lS8_T11_S7_li.numbered_sgpr, 38
	.set _ZL29rocblas_internal_gemmt_kernelIlLi16ELi32ELi8ELc67ELc84ELc76ELb0ELb0EdPKdPKS1_PKPdEviT_T9_T10_S7_lS9_S7_lS8_T11_S7_li.num_named_barrier, 0
	.set _ZL29rocblas_internal_gemmt_kernelIlLi16ELi32ELi8ELc67ELc84ELc76ELb0ELb0EdPKdPKS1_PKPdEviT_T9_T10_S7_lS9_S7_lS8_T11_S7_li.private_seg_size, 0
	.set _ZL29rocblas_internal_gemmt_kernelIlLi16ELi32ELi8ELc67ELc84ELc76ELb0ELb0EdPKdPKS1_PKPdEviT_T9_T10_S7_lS9_S7_lS8_T11_S7_li.uses_vcc, 1
	.set _ZL29rocblas_internal_gemmt_kernelIlLi16ELi32ELi8ELc67ELc84ELc76ELb0ELb0EdPKdPKS1_PKPdEviT_T9_T10_S7_lS9_S7_lS8_T11_S7_li.uses_flat_scratch, 0
	.set _ZL29rocblas_internal_gemmt_kernelIlLi16ELi32ELi8ELc67ELc84ELc76ELb0ELb0EdPKdPKS1_PKPdEviT_T9_T10_S7_lS9_S7_lS8_T11_S7_li.has_dyn_sized_stack, 0
	.set _ZL29rocblas_internal_gemmt_kernelIlLi16ELi32ELi8ELc67ELc84ELc76ELb0ELb0EdPKdPKS1_PKPdEviT_T9_T10_S7_lS9_S7_lS8_T11_S7_li.has_recursion, 0
	.set _ZL29rocblas_internal_gemmt_kernelIlLi16ELi32ELi8ELc67ELc84ELc76ELb0ELb0EdPKdPKS1_PKPdEviT_T9_T10_S7_lS9_S7_lS8_T11_S7_li.has_indirect_call, 0
	.section	.AMDGPU.csdata,"",@progbits
; Kernel info:
; codeLenInByte = 1668
; TotalNumSgprs: 40
; NumVgprs: 54
; ScratchSize: 0
; MemoryBound: 0
; FloatMode: 240
; IeeeMode: 1
; LDSByteSize: 4096 bytes/workgroup (compile time only)
; SGPRBlocks: 0
; VGPRBlocks: 3
; NumSGPRsForWavesPerEU: 40
; NumVGPRsForWavesPerEU: 54
; NamedBarCnt: 0
; Occupancy: 16
; WaveLimiterHint : 1
; COMPUTE_PGM_RSRC2:SCRATCH_EN: 0
; COMPUTE_PGM_RSRC2:USER_SGPR: 2
; COMPUTE_PGM_RSRC2:TRAP_HANDLER: 0
; COMPUTE_PGM_RSRC2:TGID_X_EN: 1
; COMPUTE_PGM_RSRC2:TGID_Y_EN: 1
; COMPUTE_PGM_RSRC2:TGID_Z_EN: 1
; COMPUTE_PGM_RSRC2:TIDIG_COMP_CNT: 1
	.section	.text._ZL29rocblas_internal_gemmt_kernelIlLi16ELi32ELi8ELc67ELc67ELc76ELb0ELb0EdPKdPKS1_PKPdEviT_T9_T10_S7_lS9_S7_lS8_T11_S7_li,"axG",@progbits,_ZL29rocblas_internal_gemmt_kernelIlLi16ELi32ELi8ELc67ELc67ELc76ELb0ELb0EdPKdPKS1_PKPdEviT_T9_T10_S7_lS9_S7_lS8_T11_S7_li,comdat
	.globl	_ZL29rocblas_internal_gemmt_kernelIlLi16ELi32ELi8ELc67ELc67ELc76ELb0ELb0EdPKdPKS1_PKPdEviT_T9_T10_S7_lS9_S7_lS8_T11_S7_li ; -- Begin function _ZL29rocblas_internal_gemmt_kernelIlLi16ELi32ELi8ELc67ELc67ELc76ELb0ELb0EdPKdPKS1_PKPdEviT_T9_T10_S7_lS9_S7_lS8_T11_S7_li
	.p2align	8
	.type	_ZL29rocblas_internal_gemmt_kernelIlLi16ELi32ELi8ELc67ELc67ELc76ELb0ELb0EdPKdPKS1_PKPdEviT_T9_T10_S7_lS9_S7_lS8_T11_S7_li,@function
_ZL29rocblas_internal_gemmt_kernelIlLi16ELi32ELi8ELc67ELc67ELc76ELb0ELb0EdPKdPKS1_PKPdEviT_T9_T10_S7_lS9_S7_lS8_T11_S7_li: ; @_ZL29rocblas_internal_gemmt_kernelIlLi16ELi32ELi8ELc67ELc67ELc76ELb0ELb0EdPKdPKS1_PKPdEviT_T9_T10_S7_lS9_S7_lS8_T11_S7_li
; %bb.0:
	s_load_b256 s[24:31], s[0:1], 0x48
	s_wait_kmcnt 0x0
	s_load_b64 s[6:7], s[24:25], 0x0
	s_load_b512 s[8:23], s[0:1], 0x8
	s_wait_kmcnt 0x0
	v_cmp_neq_f64_e64 s2, s[6:7], 1.0
	s_load_b64 s[10:11], s[10:11], 0x0
	s_and_b32 vcc_lo, exec_lo, s2
	s_cbranch_vccnz .LBB485_2
; %bb.1:
	s_wait_kmcnt 0x0
	v_cmp_neq_f64_e64 s2, s[10:11], 0
	s_cmp_lg_u64 s[8:9], 0
	s_cselect_b32 s3, -1, 0
	s_delay_alu instid0(SALU_CYCLE_1)
	s_and_b32 s2, s3, s2
.LBB485_2:
	s_delay_alu instid0(SALU_CYCLE_1)
	s_and_not1_b32 vcc_lo, exec_lo, s2
	s_cbranch_vccnz .LBB485_35
; %bb.3:
	s_load_b32 s33, s[0:1], 0x68
	s_bfe_u32 s2, ttmp6, 0x40014
	s_lshr_b32 s3, ttmp7, 16
	s_add_co_i32 s2, s2, 1
	s_bfe_u32 s5, ttmp6, 0x40008
	s_mul_i32 s4, s3, s2
	s_getreg_b32 s2, hwreg(HW_REG_IB_STS2, 6, 4)
	s_add_co_i32 s5, s5, s4
	s_cmp_eq_u32 s2, 0
	s_mov_b32 s25, 0
	s_cselect_b32 s24, s3, s5
	s_wait_kmcnt 0x0
	s_cmp_ge_u32 s24, s33
	s_cbranch_scc1 .LBB485_35
; %bb.4:
	s_load_b32 s4, s[0:1], 0x0
	s_wait_xcnt 0x0
	s_bfe_u32 s1, ttmp6, 0x4000c
	s_bfe_u32 s3, ttmp6, 0x40010
	s_add_co_i32 s1, s1, 1
	s_and_b32 s5, ttmp7, 0xffff
	s_add_co_i32 s3, s3, 1
	v_and_b32_e32 v15, 0x3ff, v0
	v_bfe_u32 v20, v0, 10, 10
	s_and_b32 s0, ttmp6, 15
	s_mul_i32 s1, ttmp9, s1
	s_mul_i32 s3, s5, s3
	s_bfe_u32 s34, ttmp6, 0x40004
	s_add_co_i32 s0, s0, s1
	s_add_co_i32 s34, s34, s3
	s_cmp_eq_u32 s2, 0
	v_lshl_add_u32 v1, v20, 4, v15
	s_cselect_b32 s1, s5, s34
	s_cselect_b32 s0, ttmp9, s0
	s_lshl_b32 s1, s1, 5
	s_lshl_b32 s2, s0, 5
	v_dual_add_nc_u32 v16, s1, v20 :: v_dual_bitop2_b32 v3, 31, v1 bitop3:0x40
	v_lshrrev_b32_e32 v5, 3, v1
	v_cmp_neq_f64_e64 s37, s[10:11], 0
	v_cmp_neq_f64_e64 s34, s[6:7], 0
	s_delay_alu instid0(VALU_DEP_4) | instskip(NEXT) | instid1(VALU_DEP_4)
	v_dual_add_nc_u32 v18, 16, v16 :: v_dual_bitop2_b32 v12, s2, v3 bitop3:0x54
	v_dual_add_nc_u32 v4, s1, v5 :: v_dual_ashrrev_i32 v17, 31, v16
	s_delay_alu instid0(VALU_DEP_2) | instskip(NEXT) | instid1(VALU_DEP_3)
	v_dual_lshlrev_b32 v3, 3, v3 :: v_dual_ashrrev_i32 v13, 31, v12
	v_dual_ashrrev_i32 v19, 31, v18 :: v_dual_lshrrev_b32 v2, 5, v1
	v_and_b32_e32 v0, 7, v0
	s_delay_alu instid0(VALU_DEP_4) | instskip(NEXT) | instid1(VALU_DEP_4)
	v_mul_u64_e32 v[8:9], s[28:29], v[16:17]
	v_mul_u64_e32 v[6:7], s[14:15], v[12:13]
	s_delay_alu instid0(VALU_DEP_4)
	v_mul_u64_e32 v[10:11], s[28:29], v[18:19]
	s_wait_kmcnt 0x0
	v_cmp_gt_i32_e64 s0, s4, v12
	v_dual_lshlrev_b32 v1, 3, v0 :: v_dual_add_nc_u32 v12, s2, v15
	v_cmp_gt_i64_e64 s14, s[8:9], 0
	v_cmp_gt_i32_e64 s1, s4, v4
	v_lshlrev_b32_e32 v36, 3, v15
	s_delay_alu instid0(VALU_DEP_4) | instskip(SKIP_4) | instid1(VALU_DEP_4)
	v_lshl_or_b32 v5, v5, 6, v1
	v_dual_add_nc_u32 v14, 16, v12 :: v_dual_ashrrev_i32 v13, 31, v12
	v_cmp_le_i32_e32 vcc_lo, v16, v12
	v_cmp_gt_i32_e64 s2, s4, v12
	v_lshl_or_b32 v1, v2, 8, v3
	v_cmp_le_i32_e64 s3, v16, v14
	v_cmp_gt_i32_e64 s4, s4, v14
	v_cmp_le_i32_e64 s5, v18, v14
	s_and_b32 s28, vcc_lo, s2
	v_cmp_le_i32_e32 vcc_lo, v18, v12
	v_add_nc_u32_e32 v3, 0x800, v5
	v_ashrrev_i32_e32 v5, 31, v4
	v_lshl_add_u32 v37, v20, 6, 0x800
	v_dual_ashrrev_i32 v15, 31, v14 :: v_dual_mov_b32 v17, 0
	s_and_b32 s29, s3, s4
	s_and_b32 s35, vcc_lo, s2
	s_and_b32 s36, s5, s4
	s_and_b32 s37, s37, s14
	s_lshl_b64 s[2:3], s[22:23], 3
	s_lshl_b64 s[4:5], s[16:17], 3
	;; [unrolled: 1-line block ×3, first 2 shown]
	s_branch .LBB485_6
.LBB485_5:                              ;   in Loop: Header=BB485_6 Depth=1
	s_wait_xcnt 0x0
	s_or_b32 exec_lo, exec_lo, s16
	s_add_co_i32 s24, s24, 0x10000
	s_delay_alu instid0(SALU_CYCLE_1)
	s_cmp_lt_u32 s24, s33
	s_cbranch_scc0 .LBB485_35
.LBB485_6:                              ; =>This Loop Header: Depth=1
                                        ;     Child Loop BB485_9 Depth 2
	v_mov_b32_e32 v16, s24
	v_mov_b64_e32 v[26:27], 0
	v_mov_b64_e32 v[22:23], 0
	v_mov_b64_e32 v[20:21], 0
	v_mov_b64_e32 v[18:19], 0
	global_load_b64 v[24:25], v16, s[26:27] scale_offset
	s_and_not1_b32 vcc_lo, exec_lo, s37
	s_cbranch_vccnz .LBB485_15
; %bb.7:                                ;   in Loop: Header=BB485_6 Depth=1
	s_lshl_b64 s[16:17], s[24:25], 3
	v_mov_b64_e32 v[22:23], 0
	s_add_nc_u64 s[22:23], s[12:13], s[16:17]
	s_add_nc_u64 s[16:17], s[18:19], s[16:17]
	s_clause 0x1
	global_load_b64 v[18:19], v17, s[22:23]
	global_load_b64 v[20:21], v17, s[16:17]
	v_mov_b64_e32 v[26:27], 0
	s_wait_xcnt 0x0
	s_mov_b64 s[16:17], 0
	s_wait_loadcnt 0x1
	v_add_nc_u64_e32 v[28:29], s[4:5], v[18:19]
	s_wait_loadcnt 0x0
	v_add_nc_u64_e32 v[30:31], s[2:3], v[20:21]
	v_mov_b64_e32 v[18:19], 0
	v_mov_b64_e32 v[20:21], 0
	s_delay_alu instid0(VALU_DEP_4) | instskip(NEXT) | instid1(VALU_DEP_4)
	v_lshl_add_u64 v[28:29], v[6:7], 3, v[28:29]
	v_lshl_add_u64 v[30:31], v[4:5], 3, v[30:31]
	s_branch .LBB485_9
.LBB485_8:                              ;   in Loop: Header=BB485_9 Depth=2
	s_wait_xcnt 0x0
	s_or_b32 exec_lo, exec_lo, s22
	s_wait_loadcnt_dscnt 0x0
	ds_store_b64 v3, v[34:35]
	s_wait_dscnt 0x0
	s_barrier_signal -1
	s_barrier_wait -1
	ds_load_b128 v[32:35], v37
	ds_load_2addr_b64 v[38:41], v36 offset1:16
	ds_load_b128 v[42:45], v37 offset:1024
	ds_load_b128 v[46:49], v37 offset:16
	;; [unrolled: 1-line block ×3, first 2 shown]
	s_add_nc_u64 s[16:17], s[16:17], 8
	s_delay_alu instid0(SALU_CYCLE_1)
	v_cmp_gt_i64_e64 s22, s[8:9], s[16:17]
	s_and_b32 vcc_lo, exec_lo, s22
	s_wait_dscnt 0x3
	v_fmac_f64_e32 v[26:27], v[38:39], v[32:33]
	v_fmac_f64_e32 v[22:23], v[40:41], v[32:33]
	s_wait_dscnt 0x2
	v_fmac_f64_e32 v[20:21], v[38:39], v[42:43]
	v_fmac_f64_e32 v[18:19], v[40:41], v[42:43]
	ds_load_2addr_b64 v[38:41], v36 offset0:32 offset1:48
	s_wait_dscnt 0x0
	v_fmac_f64_e32 v[26:27], v[38:39], v[34:35]
	v_fmac_f64_e32 v[22:23], v[40:41], v[34:35]
	v_fmac_f64_e32 v[20:21], v[38:39], v[44:45]
	v_fmac_f64_e32 v[18:19], v[40:41], v[44:45]
	ds_load_2addr_b64 v[32:35], v36 offset0:64 offset1:80
	s_wait_dscnt 0x0
	v_fmac_f64_e32 v[26:27], v[32:33], v[46:47]
	v_fmac_f64_e32 v[22:23], v[34:35], v[46:47]
	;; [unrolled: 6-line block ×3, first 2 shown]
	v_fmac_f64_e32 v[20:21], v[32:33], v[52:53]
	v_fmac_f64_e32 v[18:19], v[34:35], v[52:53]
	ds_load_b128 v[32:35], v37 offset:32
	ds_load_2addr_b64 v[38:41], v36 offset0:128 offset1:144
	ds_load_b128 v[42:45], v37 offset:1056
	ds_load_b128 v[46:49], v37 offset:48
	;; [unrolled: 1-line block ×3, first 2 shown]
	s_wait_dscnt 0x3
	v_fmac_f64_e32 v[26:27], v[38:39], v[32:33]
	v_fmac_f64_e32 v[22:23], v[40:41], v[32:33]
	s_wait_dscnt 0x2
	v_fmac_f64_e32 v[20:21], v[38:39], v[42:43]
	v_fmac_f64_e32 v[18:19], v[40:41], v[42:43]
	ds_load_2addr_b64 v[38:41], v36 offset0:160 offset1:176
	s_wait_dscnt 0x0
	v_fmac_f64_e32 v[26:27], v[38:39], v[34:35]
	v_fmac_f64_e32 v[22:23], v[40:41], v[34:35]
	v_fmac_f64_e32 v[20:21], v[38:39], v[44:45]
	v_fmac_f64_e32 v[18:19], v[40:41], v[44:45]
	ds_load_2addr_b64 v[32:35], v36 offset0:192 offset1:208
	s_wait_dscnt 0x0
	v_fmac_f64_e32 v[26:27], v[32:33], v[46:47]
	v_fmac_f64_e32 v[22:23], v[34:35], v[46:47]
	;; [unrolled: 1-line block ×4, first 2 shown]
	ds_load_2addr_b64 v[32:35], v36 offset0:224 offset1:240
	s_wait_dscnt 0x0
	s_barrier_signal -1
	s_barrier_wait -1
	v_fmac_f64_e32 v[26:27], v[32:33], v[48:49]
	v_fmac_f64_e32 v[22:23], v[34:35], v[48:49]
	;; [unrolled: 1-line block ×4, first 2 shown]
	s_cbranch_vccz .LBB485_15
.LBB485_9:                              ;   Parent Loop BB485_6 Depth=1
                                        ; =>  This Inner Loop Header: Depth=2
	v_mov_b64_e32 v[32:33], 0
	s_and_saveexec_b32 s22, s0
	s_cbranch_execz .LBB485_13
; %bb.10:                               ;   in Loop: Header=BB485_9 Depth=2
	v_mov_b64_e32 v[32:33], 0
	v_add_nc_u32_e32 v16, s16, v2
	s_mov_b32 s23, exec_lo
	s_delay_alu instid0(VALU_DEP_1)
	v_cmpx_gt_u64_e64 s[8:9], v[16:17]
	s_cbranch_execz .LBB485_12
; %bb.11:                               ;   in Loop: Header=BB485_9 Depth=2
	v_lshl_add_u64 v[32:33], v[16:17], 3, v[28:29]
	flat_load_b64 v[32:33], v[32:33]
.LBB485_12:                             ;   in Loop: Header=BB485_9 Depth=2
	s_wait_xcnt 0x0
	s_or_b32 exec_lo, exec_lo, s23
.LBB485_13:                             ;   in Loop: Header=BB485_9 Depth=2
	s_delay_alu instid0(SALU_CYCLE_1)
	s_or_b32 exec_lo, exec_lo, s22
	v_add_nc_u32_e32 v16, s16, v0
	v_mov_b64_e32 v[34:35], 0
	s_wait_loadcnt_dscnt 0x0
	ds_store_b64 v1, v[32:33]
	v_cmp_gt_u64_e32 vcc_lo, s[8:9], v[16:17]
	s_and_b32 s23, vcc_lo, s1
	s_delay_alu instid0(SALU_CYCLE_1)
	s_and_saveexec_b32 s22, s23
	s_cbranch_execz .LBB485_8
; %bb.14:                               ;   in Loop: Header=BB485_9 Depth=2
	v_mul_u64_e32 v[32:33], s[20:21], v[16:17]
	s_delay_alu instid0(VALU_DEP_1)
	v_lshl_add_u64 v[32:33], v[32:33], 3, v[30:31]
	flat_load_b64 v[34:35], v[32:33]
	s_branch .LBB485_8
.LBB485_15:                             ;   in Loop: Header=BB485_6 Depth=1
	s_wait_loadcnt 0x0
	v_add_nc_u64_e32 v[24:25], s[14:15], v[24:25]
	s_delay_alu instid0(VALU_DEP_1)
	v_lshl_add_u64 v[28:29], v[8:9], 3, v[24:25]
	s_wait_xcnt 0x0
	s_and_saveexec_b32 s16, s28
	s_cbranch_execz .LBB485_19
; %bb.16:                               ;   in Loop: Header=BB485_6 Depth=1
	v_mul_f64_e32 v[26:27], s[10:11], v[26:27]
	v_lshl_add_u64 v[30:31], v[12:13], 3, v[28:29]
	s_and_b32 vcc_lo, exec_lo, s34
	s_cbranch_vccz .LBB485_30
; %bb.17:                               ;   in Loop: Header=BB485_6 Depth=1
	flat_load_b64 v[32:33], v[30:31]
	s_wait_loadcnt_dscnt 0x0
	v_fma_f64 v[32:33], s[6:7], v[32:33], v[26:27]
	flat_store_b64 v[30:31], v[32:33]
	s_cbranch_execnz .LBB485_19
.LBB485_18:                             ;   in Loop: Header=BB485_6 Depth=1
	flat_store_b64 v[30:31], v[26:27]
.LBB485_19:                             ;   in Loop: Header=BB485_6 Depth=1
	s_wait_xcnt 0x0
	s_or_b32 exec_lo, exec_lo, s16
	s_and_saveexec_b32 s16, s29
	s_cbranch_execz .LBB485_23
; %bb.20:                               ;   in Loop: Header=BB485_6 Depth=1
	v_mul_f64_e32 v[22:23], s[10:11], v[22:23]
	v_lshl_add_u64 v[26:27], v[14:15], 3, v[28:29]
	s_and_not1_b32 vcc_lo, exec_lo, s34
	s_cbranch_vccnz .LBB485_31
; %bb.21:                               ;   in Loop: Header=BB485_6 Depth=1
	flat_load_b64 v[28:29], v[26:27]
	s_wait_loadcnt_dscnt 0x0
	v_fma_f64 v[28:29], s[6:7], v[28:29], v[22:23]
	flat_store_b64 v[26:27], v[28:29]
	s_cbranch_execnz .LBB485_23
.LBB485_22:                             ;   in Loop: Header=BB485_6 Depth=1
	flat_store_b64 v[26:27], v[22:23]
.LBB485_23:                             ;   in Loop: Header=BB485_6 Depth=1
	s_wait_xcnt 0x0
	s_or_b32 exec_lo, exec_lo, s16
	v_lshl_add_u64 v[22:23], v[10:11], 3, v[24:25]
	s_and_saveexec_b32 s16, s35
	s_cbranch_execz .LBB485_27
; %bb.24:                               ;   in Loop: Header=BB485_6 Depth=1
	v_mul_f64_e32 v[20:21], s[10:11], v[20:21]
	s_delay_alu instid0(VALU_DEP_2)
	v_lshl_add_u64 v[24:25], v[12:13], 3, v[22:23]
	s_and_not1_b32 vcc_lo, exec_lo, s34
	s_cbranch_vccnz .LBB485_32
; %bb.25:                               ;   in Loop: Header=BB485_6 Depth=1
	flat_load_b64 v[26:27], v[24:25]
	s_wait_loadcnt_dscnt 0x0
	v_fma_f64 v[26:27], s[6:7], v[26:27], v[20:21]
	flat_store_b64 v[24:25], v[26:27]
	s_cbranch_execnz .LBB485_27
.LBB485_26:                             ;   in Loop: Header=BB485_6 Depth=1
	flat_store_b64 v[24:25], v[20:21]
.LBB485_27:                             ;   in Loop: Header=BB485_6 Depth=1
	s_wait_xcnt 0x0
	s_or_b32 exec_lo, exec_lo, s16
	s_and_saveexec_b32 s16, s36
	s_cbranch_execz .LBB485_5
; %bb.28:                               ;   in Loop: Header=BB485_6 Depth=1
	s_delay_alu instid0(VALU_DEP_4)
	v_mul_f64_e32 v[18:19], s[10:11], v[18:19]
	v_lshl_add_u64 v[20:21], v[14:15], 3, v[22:23]
	s_and_not1_b32 vcc_lo, exec_lo, s34
	s_cbranch_vccnz .LBB485_33
; %bb.29:                               ;   in Loop: Header=BB485_6 Depth=1
	flat_load_b64 v[22:23], v[20:21]
	s_wait_loadcnt_dscnt 0x0
	v_fma_f64 v[22:23], s[6:7], v[22:23], v[18:19]
	flat_store_b64 v[20:21], v[22:23]
	s_cbranch_execnz .LBB485_5
	s_branch .LBB485_34
.LBB485_30:                             ;   in Loop: Header=BB485_6 Depth=1
	s_branch .LBB485_18
.LBB485_31:                             ;   in Loop: Header=BB485_6 Depth=1
	s_branch .LBB485_22
.LBB485_32:                             ;   in Loop: Header=BB485_6 Depth=1
	s_branch .LBB485_26
.LBB485_33:                             ;   in Loop: Header=BB485_6 Depth=1
.LBB485_34:                             ;   in Loop: Header=BB485_6 Depth=1
	flat_store_b64 v[20:21], v[18:19]
	s_branch .LBB485_5
.LBB485_35:
	s_endpgm
	.section	.rodata,"a",@progbits
	.p2align	6, 0x0
	.amdhsa_kernel _ZL29rocblas_internal_gemmt_kernelIlLi16ELi32ELi8ELc67ELc67ELc76ELb0ELb0EdPKdPKS1_PKPdEviT_T9_T10_S7_lS9_S7_lS8_T11_S7_li
		.amdhsa_group_segment_fixed_size 4096
		.amdhsa_private_segment_fixed_size 0
		.amdhsa_kernarg_size 108
		.amdhsa_user_sgpr_count 2
		.amdhsa_user_sgpr_dispatch_ptr 0
		.amdhsa_user_sgpr_queue_ptr 0
		.amdhsa_user_sgpr_kernarg_segment_ptr 1
		.amdhsa_user_sgpr_dispatch_id 0
		.amdhsa_user_sgpr_kernarg_preload_length 0
		.amdhsa_user_sgpr_kernarg_preload_offset 0
		.amdhsa_user_sgpr_private_segment_size 0
		.amdhsa_wavefront_size32 1
		.amdhsa_uses_dynamic_stack 0
		.amdhsa_enable_private_segment 0
		.amdhsa_system_sgpr_workgroup_id_x 1
		.amdhsa_system_sgpr_workgroup_id_y 1
		.amdhsa_system_sgpr_workgroup_id_z 1
		.amdhsa_system_sgpr_workgroup_info 0
		.amdhsa_system_vgpr_workitem_id 1
		.amdhsa_next_free_vgpr 54
		.amdhsa_next_free_sgpr 38
		.amdhsa_named_barrier_count 0
		.amdhsa_reserve_vcc 1
		.amdhsa_float_round_mode_32 0
		.amdhsa_float_round_mode_16_64 0
		.amdhsa_float_denorm_mode_32 3
		.amdhsa_float_denorm_mode_16_64 3
		.amdhsa_fp16_overflow 0
		.amdhsa_memory_ordered 1
		.amdhsa_forward_progress 1
		.amdhsa_inst_pref_size 14
		.amdhsa_round_robin_scheduling 0
		.amdhsa_exception_fp_ieee_invalid_op 0
		.amdhsa_exception_fp_denorm_src 0
		.amdhsa_exception_fp_ieee_div_zero 0
		.amdhsa_exception_fp_ieee_overflow 0
		.amdhsa_exception_fp_ieee_underflow 0
		.amdhsa_exception_fp_ieee_inexact 0
		.amdhsa_exception_int_div_zero 0
	.end_amdhsa_kernel
	.section	.text._ZL29rocblas_internal_gemmt_kernelIlLi16ELi32ELi8ELc67ELc67ELc76ELb0ELb0EdPKdPKS1_PKPdEviT_T9_T10_S7_lS9_S7_lS8_T11_S7_li,"axG",@progbits,_ZL29rocblas_internal_gemmt_kernelIlLi16ELi32ELi8ELc67ELc67ELc76ELb0ELb0EdPKdPKS1_PKPdEviT_T9_T10_S7_lS9_S7_lS8_T11_S7_li,comdat
.Lfunc_end485:
	.size	_ZL29rocblas_internal_gemmt_kernelIlLi16ELi32ELi8ELc67ELc67ELc76ELb0ELb0EdPKdPKS1_PKPdEviT_T9_T10_S7_lS9_S7_lS8_T11_S7_li, .Lfunc_end485-_ZL29rocblas_internal_gemmt_kernelIlLi16ELi32ELi8ELc67ELc67ELc76ELb0ELb0EdPKdPKS1_PKPdEviT_T9_T10_S7_lS9_S7_lS8_T11_S7_li
                                        ; -- End function
	.set _ZL29rocblas_internal_gemmt_kernelIlLi16ELi32ELi8ELc67ELc67ELc76ELb0ELb0EdPKdPKS1_PKPdEviT_T9_T10_S7_lS9_S7_lS8_T11_S7_li.num_vgpr, 54
	.set _ZL29rocblas_internal_gemmt_kernelIlLi16ELi32ELi8ELc67ELc67ELc76ELb0ELb0EdPKdPKS1_PKPdEviT_T9_T10_S7_lS9_S7_lS8_T11_S7_li.num_agpr, 0
	.set _ZL29rocblas_internal_gemmt_kernelIlLi16ELi32ELi8ELc67ELc67ELc76ELb0ELb0EdPKdPKS1_PKPdEviT_T9_T10_S7_lS9_S7_lS8_T11_S7_li.numbered_sgpr, 38
	.set _ZL29rocblas_internal_gemmt_kernelIlLi16ELi32ELi8ELc67ELc67ELc76ELb0ELb0EdPKdPKS1_PKPdEviT_T9_T10_S7_lS9_S7_lS8_T11_S7_li.num_named_barrier, 0
	.set _ZL29rocblas_internal_gemmt_kernelIlLi16ELi32ELi8ELc67ELc67ELc76ELb0ELb0EdPKdPKS1_PKPdEviT_T9_T10_S7_lS9_S7_lS8_T11_S7_li.private_seg_size, 0
	.set _ZL29rocblas_internal_gemmt_kernelIlLi16ELi32ELi8ELc67ELc67ELc76ELb0ELb0EdPKdPKS1_PKPdEviT_T9_T10_S7_lS9_S7_lS8_T11_S7_li.uses_vcc, 1
	.set _ZL29rocblas_internal_gemmt_kernelIlLi16ELi32ELi8ELc67ELc67ELc76ELb0ELb0EdPKdPKS1_PKPdEviT_T9_T10_S7_lS9_S7_lS8_T11_S7_li.uses_flat_scratch, 0
	.set _ZL29rocblas_internal_gemmt_kernelIlLi16ELi32ELi8ELc67ELc67ELc76ELb0ELb0EdPKdPKS1_PKPdEviT_T9_T10_S7_lS9_S7_lS8_T11_S7_li.has_dyn_sized_stack, 0
	.set _ZL29rocblas_internal_gemmt_kernelIlLi16ELi32ELi8ELc67ELc67ELc76ELb0ELb0EdPKdPKS1_PKPdEviT_T9_T10_S7_lS9_S7_lS8_T11_S7_li.has_recursion, 0
	.set _ZL29rocblas_internal_gemmt_kernelIlLi16ELi32ELi8ELc67ELc67ELc76ELb0ELb0EdPKdPKS1_PKPdEviT_T9_T10_S7_lS9_S7_lS8_T11_S7_li.has_indirect_call, 0
	.section	.AMDGPU.csdata,"",@progbits
; Kernel info:
; codeLenInByte = 1668
; TotalNumSgprs: 40
; NumVgprs: 54
; ScratchSize: 0
; MemoryBound: 0
; FloatMode: 240
; IeeeMode: 1
; LDSByteSize: 4096 bytes/workgroup (compile time only)
; SGPRBlocks: 0
; VGPRBlocks: 3
; NumSGPRsForWavesPerEU: 40
; NumVGPRsForWavesPerEU: 54
; NamedBarCnt: 0
; Occupancy: 16
; WaveLimiterHint : 1
; COMPUTE_PGM_RSRC2:SCRATCH_EN: 0
; COMPUTE_PGM_RSRC2:USER_SGPR: 2
; COMPUTE_PGM_RSRC2:TRAP_HANDLER: 0
; COMPUTE_PGM_RSRC2:TGID_X_EN: 1
; COMPUTE_PGM_RSRC2:TGID_Y_EN: 1
; COMPUTE_PGM_RSRC2:TGID_Z_EN: 1
; COMPUTE_PGM_RSRC2:TIDIG_COMP_CNT: 1
	.section	.text._ZL29rocblas_internal_gemmt_kernelIlLi16ELi32ELi8ELc78ELc78ELc85ELb0ELb0EddPKPKdPKPdEviT_T9_T10_S7_lS9_S7_lS8_T11_S7_li,"axG",@progbits,_ZL29rocblas_internal_gemmt_kernelIlLi16ELi32ELi8ELc78ELc78ELc85ELb0ELb0EddPKPKdPKPdEviT_T9_T10_S7_lS9_S7_lS8_T11_S7_li,comdat
	.globl	_ZL29rocblas_internal_gemmt_kernelIlLi16ELi32ELi8ELc78ELc78ELc85ELb0ELb0EddPKPKdPKPdEviT_T9_T10_S7_lS9_S7_lS8_T11_S7_li ; -- Begin function _ZL29rocblas_internal_gemmt_kernelIlLi16ELi32ELi8ELc78ELc78ELc85ELb0ELb0EddPKPKdPKPdEviT_T9_T10_S7_lS9_S7_lS8_T11_S7_li
	.p2align	8
	.type	_ZL29rocblas_internal_gemmt_kernelIlLi16ELi32ELi8ELc78ELc78ELc85ELb0ELb0EddPKPKdPKPdEviT_T9_T10_S7_lS9_S7_lS8_T11_S7_li,@function
_ZL29rocblas_internal_gemmt_kernelIlLi16ELi32ELi8ELc78ELc78ELc85ELb0ELb0EddPKPKdPKPdEviT_T9_T10_S7_lS9_S7_lS8_T11_S7_li: ; @_ZL29rocblas_internal_gemmt_kernelIlLi16ELi32ELi8ELc78ELc78ELc85ELb0ELb0EddPKPKdPKPdEviT_T9_T10_S7_lS9_S7_lS8_T11_S7_li
; %bb.0:
	s_clause 0x1
	s_load_b256 s[24:31], s[0:1], 0x48
	s_load_b512 s[8:23], s[0:1], 0x8
	s_wait_kmcnt 0x0
	v_cmp_neq_f64_e64 s2, s[24:25], 1.0
	s_and_b32 vcc_lo, exec_lo, s2
	s_cbranch_vccnz .LBB486_2
; %bb.1:
	v_cmp_neq_f64_e64 s2, s[10:11], 0
	s_cmp_lg_u64 s[8:9], 0
	s_cselect_b32 s3, -1, 0
	s_delay_alu instid0(SALU_CYCLE_1)
	s_and_b32 s2, s3, s2
.LBB486_2:
	s_delay_alu instid0(SALU_CYCLE_1)
	s_and_not1_b32 vcc_lo, exec_lo, s2
	s_cbranch_vccnz .LBB486_35
; %bb.3:
	s_load_b32 s33, s[0:1], 0x68
	s_bfe_u32 s2, ttmp6, 0x40014
	s_lshr_b32 s3, ttmp7, 16
	s_add_co_i32 s2, s2, 1
	s_bfe_u32 s5, ttmp6, 0x40008
	s_mul_i32 s4, s3, s2
	s_getreg_b32 s2, hwreg(HW_REG_IB_STS2, 6, 4)
	s_add_co_i32 s5, s5, s4
	s_cmp_eq_u32 s2, 0
	s_mov_b32 s7, 0
	s_cselect_b32 s6, s3, s5
	s_wait_kmcnt 0x0
	s_cmp_ge_u32 s6, s33
	s_cbranch_scc1 .LBB486_35
; %bb.4:
	s_load_b32 s3, s[0:1], 0x0
	s_wait_xcnt 0x0
	s_bfe_u32 s1, ttmp6, 0x4000c
	s_bfe_u32 s4, ttmp6, 0x40010
	s_add_co_i32 s1, s1, 1
	s_and_b32 s5, ttmp7, 0xffff
	s_add_co_i32 s4, s4, 1
	v_and_b32_e32 v13, 0x3ff, v0
	v_bfe_u32 v20, v0, 10, 10
	s_and_b32 s0, ttmp6, 15
	s_mul_i32 s1, ttmp9, s1
	s_mul_i32 s4, s5, s4
	s_bfe_u32 s34, ttmp6, 0x40004
	s_add_co_i32 s0, s0, s1
	s_add_co_i32 s34, s34, s4
	s_cmp_eq_u32 s2, 0
	v_lshl_add_u32 v1, v20, 4, v13
	s_cselect_b32 s1, s5, s34
	s_cselect_b32 s0, ttmp9, s0
	s_lshl_b32 s1, s1, 5
	s_delay_alu instid0(VALU_DEP_1) | instskip(SKIP_3) | instid1(VALU_DEP_4)
	v_dual_lshrrev_b32 v3, 3, v1 :: v_dual_bitop2_b32 v0, 7, v0 bitop3:0x40
	v_dual_lshrrev_b32 v2, 5, v1 :: v_dual_add_nc_u32 v16, s1, v20
	v_and_b32_e32 v1, 31, v1
	v_cmp_neq_f64_e64 s37, s[10:11], 0
	v_add_nc_u32_e32 v14, s1, v3
	s_lshl_b32 s1, s0, 5
	s_delay_alu instid0(SALU_CYCLE_1) | instskip(NEXT) | instid1(VALU_DEP_2)
	v_dual_add_nc_u32 v18, 16, v16 :: v_dual_bitop2_b32 v4, s1, v1 bitop3:0x54
	v_dual_ashrrev_i32 v17, 31, v16 :: v_dual_ashrrev_i32 v15, 31, v14
	s_delay_alu instid0(VALU_DEP_2) | instskip(SKIP_1) | instid1(VALU_DEP_3)
	v_dual_lshlrev_b32 v1, 3, v1 :: v_dual_ashrrev_i32 v19, 31, v18
	v_cmp_neq_f64_e64 s34, s[24:25], 0
	v_mul_u64_e32 v[8:9], s[28:29], v[16:17]
	s_delay_alu instid0(VALU_DEP_4)
	v_mul_u64_e32 v[6:7], s[20:21], v[14:15]
	v_dual_lshlrev_b32 v15, 3, v0 :: v_dual_add_nc_u32 v12, s1, v13
	v_mul_u64_e32 v[10:11], s[28:29], v[18:19]
	s_wait_kmcnt 0x0
	v_cmp_gt_i32_e64 s1, s3, v14
	v_cmp_gt_i32_e32 vcc_lo, s3, v16
	v_lshl_or_b32 v3, v3, 6, v15
	v_cmp_le_i32_e64 s2, v12, v16
	v_add_nc_u32_e32 v14, 16, v12
	v_cmp_gt_i64_e64 s20, s[8:9], 0
	v_cmp_gt_i32_e64 s0, s3, v4
	v_dual_ashrrev_i32 v5, 31, v4 :: v_dual_lshlrev_b32 v36, 3, v13
	s_and_b32 s28, vcc_lo, s2
	v_cmp_gt_i32_e64 s3, s3, v18
	v_cmp_le_i32_e64 s4, v12, v18
	v_ashrrev_i32_e32 v13, 31, v12
	v_cmp_le_i32_e64 s2, v14, v16
	v_cmp_le_i32_e64 s5, v14, v18
	v_lshl_or_b32 v1, v2, 8, v1
	v_add_nc_u32_e32 v3, 0x800, v3
	v_lshl_add_u32 v37, v20, 6, 0x800
	v_dual_ashrrev_i32 v15, 31, v14 :: v_dual_mov_b32 v17, 0
	s_and_b32 s29, vcc_lo, s2
	s_and_b32 s35, s3, s4
	s_and_b32 s36, s3, s5
	;; [unrolled: 1-line block ×3, first 2 shown]
	s_lshl_b64 s[2:3], s[22:23], 3
	s_lshl_b64 s[4:5], s[16:17], 3
	;; [unrolled: 1-line block ×3, first 2 shown]
	s_branch .LBB486_6
.LBB486_5:                              ;   in Loop: Header=BB486_6 Depth=1
	s_wait_xcnt 0x0
	s_or_b32 exec_lo, exec_lo, s20
	s_add_co_i32 s6, s6, 0x10000
	s_delay_alu instid0(SALU_CYCLE_1)
	s_cmp_lt_u32 s6, s33
	s_cbranch_scc0 .LBB486_35
.LBB486_6:                              ; =>This Loop Header: Depth=1
                                        ;     Child Loop BB486_9 Depth 2
	v_mov_b32_e32 v16, s6
	v_mov_b64_e32 v[26:27], 0
	v_mov_b64_e32 v[22:23], 0
	;; [unrolled: 1-line block ×4, first 2 shown]
	global_load_b64 v[24:25], v16, s[26:27] scale_offset
	s_and_not1_b32 vcc_lo, exec_lo, s37
	s_cbranch_vccnz .LBB486_15
; %bb.7:                                ;   in Loop: Header=BB486_6 Depth=1
	s_lshl_b64 s[20:21], s[6:7], 3
	v_mov_b64_e32 v[22:23], 0
	s_add_nc_u64 s[22:23], s[12:13], s[20:21]
	s_add_nc_u64 s[20:21], s[18:19], s[20:21]
	s_clause 0x1
	global_load_b64 v[18:19], v17, s[22:23]
	global_load_b64 v[20:21], v17, s[20:21]
	v_mov_b64_e32 v[26:27], 0
	s_wait_xcnt 0x0
	s_mov_b64 s[20:21], 0
	s_wait_loadcnt 0x1
	v_add_nc_u64_e32 v[28:29], s[4:5], v[18:19]
	s_wait_loadcnt 0x0
	v_add_nc_u64_e32 v[30:31], s[2:3], v[20:21]
	v_mov_b64_e32 v[18:19], 0
	v_mov_b64_e32 v[20:21], 0
	s_delay_alu instid0(VALU_DEP_4) | instskip(NEXT) | instid1(VALU_DEP_4)
	v_lshl_add_u64 v[28:29], v[4:5], 3, v[28:29]
	v_lshl_add_u64 v[30:31], v[6:7], 3, v[30:31]
	s_branch .LBB486_9
.LBB486_8:                              ;   in Loop: Header=BB486_9 Depth=2
	s_wait_xcnt 0x0
	s_or_b32 exec_lo, exec_lo, s22
	s_wait_loadcnt_dscnt 0x0
	ds_store_b64 v3, v[34:35]
	s_wait_dscnt 0x0
	s_barrier_signal -1
	s_barrier_wait -1
	ds_load_b128 v[32:35], v37
	ds_load_2addr_b64 v[38:41], v36 offset1:16
	ds_load_b128 v[42:45], v37 offset:1024
	ds_load_b128 v[46:49], v37 offset:16
	;; [unrolled: 1-line block ×3, first 2 shown]
	s_add_nc_u64 s[20:21], s[20:21], 8
	s_delay_alu instid0(SALU_CYCLE_1)
	v_cmp_gt_i64_e64 s22, s[8:9], s[20:21]
	s_and_b32 vcc_lo, exec_lo, s22
	s_wait_dscnt 0x3
	v_fmac_f64_e32 v[26:27], v[38:39], v[32:33]
	v_fmac_f64_e32 v[22:23], v[40:41], v[32:33]
	s_wait_dscnt 0x2
	v_fmac_f64_e32 v[20:21], v[38:39], v[42:43]
	v_fmac_f64_e32 v[18:19], v[40:41], v[42:43]
	ds_load_2addr_b64 v[38:41], v36 offset0:32 offset1:48
	s_wait_dscnt 0x0
	v_fmac_f64_e32 v[26:27], v[38:39], v[34:35]
	v_fmac_f64_e32 v[22:23], v[40:41], v[34:35]
	v_fmac_f64_e32 v[20:21], v[38:39], v[44:45]
	v_fmac_f64_e32 v[18:19], v[40:41], v[44:45]
	ds_load_2addr_b64 v[32:35], v36 offset0:64 offset1:80
	s_wait_dscnt 0x0
	v_fmac_f64_e32 v[26:27], v[32:33], v[46:47]
	v_fmac_f64_e32 v[22:23], v[34:35], v[46:47]
	;; [unrolled: 6-line block ×3, first 2 shown]
	v_fmac_f64_e32 v[20:21], v[32:33], v[52:53]
	v_fmac_f64_e32 v[18:19], v[34:35], v[52:53]
	ds_load_b128 v[32:35], v37 offset:32
	ds_load_2addr_b64 v[38:41], v36 offset0:128 offset1:144
	ds_load_b128 v[42:45], v37 offset:1056
	ds_load_b128 v[46:49], v37 offset:48
	;; [unrolled: 1-line block ×3, first 2 shown]
	s_wait_dscnt 0x3
	v_fmac_f64_e32 v[26:27], v[38:39], v[32:33]
	v_fmac_f64_e32 v[22:23], v[40:41], v[32:33]
	s_wait_dscnt 0x2
	v_fmac_f64_e32 v[20:21], v[38:39], v[42:43]
	v_fmac_f64_e32 v[18:19], v[40:41], v[42:43]
	ds_load_2addr_b64 v[38:41], v36 offset0:160 offset1:176
	s_wait_dscnt 0x0
	v_fmac_f64_e32 v[26:27], v[38:39], v[34:35]
	v_fmac_f64_e32 v[22:23], v[40:41], v[34:35]
	;; [unrolled: 1-line block ×4, first 2 shown]
	ds_load_2addr_b64 v[32:35], v36 offset0:192 offset1:208
	s_wait_dscnt 0x0
	v_fmac_f64_e32 v[26:27], v[32:33], v[46:47]
	v_fmac_f64_e32 v[22:23], v[34:35], v[46:47]
	;; [unrolled: 1-line block ×4, first 2 shown]
	ds_load_2addr_b64 v[32:35], v36 offset0:224 offset1:240
	s_wait_dscnt 0x0
	s_barrier_signal -1
	s_barrier_wait -1
	v_fmac_f64_e32 v[26:27], v[32:33], v[48:49]
	v_fmac_f64_e32 v[22:23], v[34:35], v[48:49]
	;; [unrolled: 1-line block ×4, first 2 shown]
	s_cbranch_vccz .LBB486_15
.LBB486_9:                              ;   Parent Loop BB486_6 Depth=1
                                        ; =>  This Inner Loop Header: Depth=2
	v_mov_b64_e32 v[32:33], 0
	s_and_saveexec_b32 s22, s0
	s_cbranch_execz .LBB486_13
; %bb.10:                               ;   in Loop: Header=BB486_9 Depth=2
	v_mov_b64_e32 v[32:33], 0
	v_add_nc_u32_e32 v16, s20, v2
	s_mov_b32 s23, exec_lo
	s_delay_alu instid0(VALU_DEP_1)
	v_cmpx_gt_u64_e64 s[8:9], v[16:17]
	s_cbranch_execz .LBB486_12
; %bb.11:                               ;   in Loop: Header=BB486_9 Depth=2
	v_mul_u64_e32 v[32:33], s[14:15], v[16:17]
	s_delay_alu instid0(VALU_DEP_1)
	v_lshl_add_u64 v[32:33], v[32:33], 3, v[28:29]
	flat_load_b64 v[32:33], v[32:33]
.LBB486_12:                             ;   in Loop: Header=BB486_9 Depth=2
	s_wait_xcnt 0x0
	s_or_b32 exec_lo, exec_lo, s23
.LBB486_13:                             ;   in Loop: Header=BB486_9 Depth=2
	s_delay_alu instid0(SALU_CYCLE_1)
	s_or_b32 exec_lo, exec_lo, s22
	v_add_nc_u32_e32 v16, s20, v0
	v_mov_b64_e32 v[34:35], 0
	s_wait_loadcnt_dscnt 0x0
	ds_store_b64 v1, v[32:33]
	v_cmp_gt_u64_e32 vcc_lo, s[8:9], v[16:17]
	s_and_b32 s23, vcc_lo, s1
	s_delay_alu instid0(SALU_CYCLE_1)
	s_and_saveexec_b32 s22, s23
	s_cbranch_execz .LBB486_8
; %bb.14:                               ;   in Loop: Header=BB486_9 Depth=2
	v_lshl_add_u64 v[32:33], v[16:17], 3, v[30:31]
	flat_load_b64 v[34:35], v[32:33]
	s_branch .LBB486_8
.LBB486_15:                             ;   in Loop: Header=BB486_6 Depth=1
	s_wait_loadcnt 0x0
	v_add_nc_u64_e32 v[24:25], s[16:17], v[24:25]
	s_delay_alu instid0(VALU_DEP_1)
	v_lshl_add_u64 v[28:29], v[8:9], 3, v[24:25]
	s_wait_xcnt 0x0
	s_and_saveexec_b32 s20, s28
	s_cbranch_execz .LBB486_19
; %bb.16:                               ;   in Loop: Header=BB486_6 Depth=1
	v_mul_f64_e32 v[26:27], s[10:11], v[26:27]
	v_lshl_add_u64 v[30:31], v[12:13], 3, v[28:29]
	s_and_b32 vcc_lo, exec_lo, s34
	s_cbranch_vccz .LBB486_30
; %bb.17:                               ;   in Loop: Header=BB486_6 Depth=1
	flat_load_b64 v[32:33], v[30:31]
	s_wait_loadcnt_dscnt 0x0
	v_fma_f64 v[32:33], s[24:25], v[32:33], v[26:27]
	flat_store_b64 v[30:31], v[32:33]
	s_cbranch_execnz .LBB486_19
.LBB486_18:                             ;   in Loop: Header=BB486_6 Depth=1
	flat_store_b64 v[30:31], v[26:27]
.LBB486_19:                             ;   in Loop: Header=BB486_6 Depth=1
	s_wait_xcnt 0x0
	s_or_b32 exec_lo, exec_lo, s20
	s_and_saveexec_b32 s20, s29
	s_cbranch_execz .LBB486_23
; %bb.20:                               ;   in Loop: Header=BB486_6 Depth=1
	v_mul_f64_e32 v[22:23], s[10:11], v[22:23]
	v_lshl_add_u64 v[26:27], v[14:15], 3, v[28:29]
	s_and_not1_b32 vcc_lo, exec_lo, s34
	s_cbranch_vccnz .LBB486_31
; %bb.21:                               ;   in Loop: Header=BB486_6 Depth=1
	flat_load_b64 v[28:29], v[26:27]
	s_wait_loadcnt_dscnt 0x0
	v_fma_f64 v[28:29], s[24:25], v[28:29], v[22:23]
	flat_store_b64 v[26:27], v[28:29]
	s_cbranch_execnz .LBB486_23
.LBB486_22:                             ;   in Loop: Header=BB486_6 Depth=1
	flat_store_b64 v[26:27], v[22:23]
.LBB486_23:                             ;   in Loop: Header=BB486_6 Depth=1
	s_wait_xcnt 0x0
	s_or_b32 exec_lo, exec_lo, s20
	v_lshl_add_u64 v[22:23], v[10:11], 3, v[24:25]
	s_and_saveexec_b32 s20, s35
	s_cbranch_execz .LBB486_27
; %bb.24:                               ;   in Loop: Header=BB486_6 Depth=1
	v_mul_f64_e32 v[20:21], s[10:11], v[20:21]
	s_delay_alu instid0(VALU_DEP_2)
	v_lshl_add_u64 v[24:25], v[12:13], 3, v[22:23]
	s_and_not1_b32 vcc_lo, exec_lo, s34
	s_cbranch_vccnz .LBB486_32
; %bb.25:                               ;   in Loop: Header=BB486_6 Depth=1
	flat_load_b64 v[26:27], v[24:25]
	s_wait_loadcnt_dscnt 0x0
	v_fma_f64 v[26:27], s[24:25], v[26:27], v[20:21]
	flat_store_b64 v[24:25], v[26:27]
	s_cbranch_execnz .LBB486_27
.LBB486_26:                             ;   in Loop: Header=BB486_6 Depth=1
	flat_store_b64 v[24:25], v[20:21]
.LBB486_27:                             ;   in Loop: Header=BB486_6 Depth=1
	s_wait_xcnt 0x0
	s_or_b32 exec_lo, exec_lo, s20
	s_and_saveexec_b32 s20, s36
	s_cbranch_execz .LBB486_5
; %bb.28:                               ;   in Loop: Header=BB486_6 Depth=1
	s_delay_alu instid0(VALU_DEP_4)
	v_mul_f64_e32 v[18:19], s[10:11], v[18:19]
	v_lshl_add_u64 v[20:21], v[14:15], 3, v[22:23]
	s_and_not1_b32 vcc_lo, exec_lo, s34
	s_cbranch_vccnz .LBB486_33
; %bb.29:                               ;   in Loop: Header=BB486_6 Depth=1
	flat_load_b64 v[22:23], v[20:21]
	s_wait_loadcnt_dscnt 0x0
	v_fma_f64 v[22:23], s[24:25], v[22:23], v[18:19]
	flat_store_b64 v[20:21], v[22:23]
	s_cbranch_execnz .LBB486_5
	s_branch .LBB486_34
.LBB486_30:                             ;   in Loop: Header=BB486_6 Depth=1
	s_branch .LBB486_18
.LBB486_31:                             ;   in Loop: Header=BB486_6 Depth=1
	s_branch .LBB486_22
.LBB486_32:                             ;   in Loop: Header=BB486_6 Depth=1
	s_branch .LBB486_26
.LBB486_33:                             ;   in Loop: Header=BB486_6 Depth=1
.LBB486_34:                             ;   in Loop: Header=BB486_6 Depth=1
	flat_store_b64 v[20:21], v[18:19]
	s_branch .LBB486_5
.LBB486_35:
	s_endpgm
	.section	.rodata,"a",@progbits
	.p2align	6, 0x0
	.amdhsa_kernel _ZL29rocblas_internal_gemmt_kernelIlLi16ELi32ELi8ELc78ELc78ELc85ELb0ELb0EddPKPKdPKPdEviT_T9_T10_S7_lS9_S7_lS8_T11_S7_li
		.amdhsa_group_segment_fixed_size 4096
		.amdhsa_private_segment_fixed_size 0
		.amdhsa_kernarg_size 108
		.amdhsa_user_sgpr_count 2
		.amdhsa_user_sgpr_dispatch_ptr 0
		.amdhsa_user_sgpr_queue_ptr 0
		.amdhsa_user_sgpr_kernarg_segment_ptr 1
		.amdhsa_user_sgpr_dispatch_id 0
		.amdhsa_user_sgpr_kernarg_preload_length 0
		.amdhsa_user_sgpr_kernarg_preload_offset 0
		.amdhsa_user_sgpr_private_segment_size 0
		.amdhsa_wavefront_size32 1
		.amdhsa_uses_dynamic_stack 0
		.amdhsa_enable_private_segment 0
		.amdhsa_system_sgpr_workgroup_id_x 1
		.amdhsa_system_sgpr_workgroup_id_y 1
		.amdhsa_system_sgpr_workgroup_id_z 1
		.amdhsa_system_sgpr_workgroup_info 0
		.amdhsa_system_vgpr_workitem_id 1
		.amdhsa_next_free_vgpr 54
		.amdhsa_next_free_sgpr 38
		.amdhsa_named_barrier_count 0
		.amdhsa_reserve_vcc 1
		.amdhsa_float_round_mode_32 0
		.amdhsa_float_round_mode_16_64 0
		.amdhsa_float_denorm_mode_32 3
		.amdhsa_float_denorm_mode_16_64 3
		.amdhsa_fp16_overflow 0
		.amdhsa_memory_ordered 1
		.amdhsa_forward_progress 1
		.amdhsa_inst_pref_size 13
		.amdhsa_round_robin_scheduling 0
		.amdhsa_exception_fp_ieee_invalid_op 0
		.amdhsa_exception_fp_denorm_src 0
		.amdhsa_exception_fp_ieee_div_zero 0
		.amdhsa_exception_fp_ieee_overflow 0
		.amdhsa_exception_fp_ieee_underflow 0
		.amdhsa_exception_fp_ieee_inexact 0
		.amdhsa_exception_int_div_zero 0
	.end_amdhsa_kernel
	.section	.text._ZL29rocblas_internal_gemmt_kernelIlLi16ELi32ELi8ELc78ELc78ELc85ELb0ELb0EddPKPKdPKPdEviT_T9_T10_S7_lS9_S7_lS8_T11_S7_li,"axG",@progbits,_ZL29rocblas_internal_gemmt_kernelIlLi16ELi32ELi8ELc78ELc78ELc85ELb0ELb0EddPKPKdPKPdEviT_T9_T10_S7_lS9_S7_lS8_T11_S7_li,comdat
.Lfunc_end486:
	.size	_ZL29rocblas_internal_gemmt_kernelIlLi16ELi32ELi8ELc78ELc78ELc85ELb0ELb0EddPKPKdPKPdEviT_T9_T10_S7_lS9_S7_lS8_T11_S7_li, .Lfunc_end486-_ZL29rocblas_internal_gemmt_kernelIlLi16ELi32ELi8ELc78ELc78ELc85ELb0ELb0EddPKPKdPKPdEviT_T9_T10_S7_lS9_S7_lS8_T11_S7_li
                                        ; -- End function
	.set _ZL29rocblas_internal_gemmt_kernelIlLi16ELi32ELi8ELc78ELc78ELc85ELb0ELb0EddPKPKdPKPdEviT_T9_T10_S7_lS9_S7_lS8_T11_S7_li.num_vgpr, 54
	.set _ZL29rocblas_internal_gemmt_kernelIlLi16ELi32ELi8ELc78ELc78ELc85ELb0ELb0EddPKPKdPKPdEviT_T9_T10_S7_lS9_S7_lS8_T11_S7_li.num_agpr, 0
	.set _ZL29rocblas_internal_gemmt_kernelIlLi16ELi32ELi8ELc78ELc78ELc85ELb0ELb0EddPKPKdPKPdEviT_T9_T10_S7_lS9_S7_lS8_T11_S7_li.numbered_sgpr, 38
	.set _ZL29rocblas_internal_gemmt_kernelIlLi16ELi32ELi8ELc78ELc78ELc85ELb0ELb0EddPKPKdPKPdEviT_T9_T10_S7_lS9_S7_lS8_T11_S7_li.num_named_barrier, 0
	.set _ZL29rocblas_internal_gemmt_kernelIlLi16ELi32ELi8ELc78ELc78ELc85ELb0ELb0EddPKPKdPKPdEviT_T9_T10_S7_lS9_S7_lS8_T11_S7_li.private_seg_size, 0
	.set _ZL29rocblas_internal_gemmt_kernelIlLi16ELi32ELi8ELc78ELc78ELc85ELb0ELb0EddPKPKdPKPdEviT_T9_T10_S7_lS9_S7_lS8_T11_S7_li.uses_vcc, 1
	.set _ZL29rocblas_internal_gemmt_kernelIlLi16ELi32ELi8ELc78ELc78ELc85ELb0ELb0EddPKPKdPKPdEviT_T9_T10_S7_lS9_S7_lS8_T11_S7_li.uses_flat_scratch, 0
	.set _ZL29rocblas_internal_gemmt_kernelIlLi16ELi32ELi8ELc78ELc78ELc85ELb0ELb0EddPKPKdPKPdEviT_T9_T10_S7_lS9_S7_lS8_T11_S7_li.has_dyn_sized_stack, 0
	.set _ZL29rocblas_internal_gemmt_kernelIlLi16ELi32ELi8ELc78ELc78ELc85ELb0ELb0EddPKPKdPKPdEviT_T9_T10_S7_lS9_S7_lS8_T11_S7_li.has_recursion, 0
	.set _ZL29rocblas_internal_gemmt_kernelIlLi16ELi32ELi8ELc78ELc78ELc85ELb0ELb0EddPKPKdPKPdEviT_T9_T10_S7_lS9_S7_lS8_T11_S7_li.has_indirect_call, 0
	.section	.AMDGPU.csdata,"",@progbits
; Kernel info:
; codeLenInByte = 1648
; TotalNumSgprs: 40
; NumVgprs: 54
; ScratchSize: 0
; MemoryBound: 0
; FloatMode: 240
; IeeeMode: 1
; LDSByteSize: 4096 bytes/workgroup (compile time only)
; SGPRBlocks: 0
; VGPRBlocks: 3
; NumSGPRsForWavesPerEU: 40
; NumVGPRsForWavesPerEU: 54
; NamedBarCnt: 0
; Occupancy: 16
; WaveLimiterHint : 1
; COMPUTE_PGM_RSRC2:SCRATCH_EN: 0
; COMPUTE_PGM_RSRC2:USER_SGPR: 2
; COMPUTE_PGM_RSRC2:TRAP_HANDLER: 0
; COMPUTE_PGM_RSRC2:TGID_X_EN: 1
; COMPUTE_PGM_RSRC2:TGID_Y_EN: 1
; COMPUTE_PGM_RSRC2:TGID_Z_EN: 1
; COMPUTE_PGM_RSRC2:TIDIG_COMP_CNT: 1
	.section	.text._ZL29rocblas_internal_gemmt_kernelIlLi16ELi32ELi8ELc78ELc84ELc85ELb0ELb0EddPKPKdPKPdEviT_T9_T10_S7_lS9_S7_lS8_T11_S7_li,"axG",@progbits,_ZL29rocblas_internal_gemmt_kernelIlLi16ELi32ELi8ELc78ELc84ELc85ELb0ELb0EddPKPKdPKPdEviT_T9_T10_S7_lS9_S7_lS8_T11_S7_li,comdat
	.globl	_ZL29rocblas_internal_gemmt_kernelIlLi16ELi32ELi8ELc78ELc84ELc85ELb0ELb0EddPKPKdPKPdEviT_T9_T10_S7_lS9_S7_lS8_T11_S7_li ; -- Begin function _ZL29rocblas_internal_gemmt_kernelIlLi16ELi32ELi8ELc78ELc84ELc85ELb0ELb0EddPKPKdPKPdEviT_T9_T10_S7_lS9_S7_lS8_T11_S7_li
	.p2align	8
	.type	_ZL29rocblas_internal_gemmt_kernelIlLi16ELi32ELi8ELc78ELc84ELc85ELb0ELb0EddPKPKdPKPdEviT_T9_T10_S7_lS9_S7_lS8_T11_S7_li,@function
_ZL29rocblas_internal_gemmt_kernelIlLi16ELi32ELi8ELc78ELc84ELc85ELb0ELb0EddPKPKdPKPdEviT_T9_T10_S7_lS9_S7_lS8_T11_S7_li: ; @_ZL29rocblas_internal_gemmt_kernelIlLi16ELi32ELi8ELc78ELc84ELc85ELb0ELb0EddPKPKdPKPdEviT_T9_T10_S7_lS9_S7_lS8_T11_S7_li
; %bb.0:
	s_clause 0x1
	s_load_b256 s[24:31], s[0:1], 0x48
	s_load_b512 s[8:23], s[0:1], 0x8
	s_wait_kmcnt 0x0
	v_cmp_neq_f64_e64 s2, s[24:25], 1.0
	s_and_b32 vcc_lo, exec_lo, s2
	s_cbranch_vccnz .LBB487_2
; %bb.1:
	v_cmp_neq_f64_e64 s2, s[10:11], 0
	s_cmp_lg_u64 s[8:9], 0
	s_cselect_b32 s3, -1, 0
	s_delay_alu instid0(SALU_CYCLE_1)
	s_and_b32 s2, s3, s2
.LBB487_2:
	s_delay_alu instid0(SALU_CYCLE_1)
	s_and_not1_b32 vcc_lo, exec_lo, s2
	s_cbranch_vccnz .LBB487_35
; %bb.3:
	s_load_b32 s33, s[0:1], 0x68
	s_bfe_u32 s2, ttmp6, 0x40014
	s_lshr_b32 s3, ttmp7, 16
	s_add_co_i32 s2, s2, 1
	s_bfe_u32 s5, ttmp6, 0x40008
	s_mul_i32 s4, s3, s2
	s_getreg_b32 s2, hwreg(HW_REG_IB_STS2, 6, 4)
	s_add_co_i32 s5, s5, s4
	s_cmp_eq_u32 s2, 0
	s_mov_b32 s7, 0
	s_cselect_b32 s6, s3, s5
	s_wait_kmcnt 0x0
	s_cmp_ge_u32 s6, s33
	s_cbranch_scc1 .LBB487_35
; %bb.4:
	s_bfe_u32 s3, ttmp6, 0x4000c
	s_bfe_u32 s5, ttmp6, 0x40010
	s_add_co_i32 s3, s3, 1
	s_and_b32 s34, ttmp7, 0xffff
	s_add_co_i32 s5, s5, 1
	v_and_b32_e32 v13, 0x3ff, v0
	v_bfe_u32 v15, v0, 10, 10
	s_and_b32 s4, ttmp6, 15
	s_mul_i32 s3, ttmp9, s3
	s_mul_i32 s5, s34, s5
	s_bfe_u32 s35, ttmp6, 0x40004
	s_add_co_i32 s4, s4, s3
	s_add_co_i32 s35, s35, s5
	s_cmp_eq_u32 s2, 0
	v_lshl_add_u32 v1, v15, 4, v13
	s_load_b32 s3, s[0:1], 0x0
	s_wait_xcnt 0x0
	s_cselect_b32 s0, s34, s35
	s_cselect_b32 s1, ttmp9, s4
	s_lshl_b32 s0, s0, 5
	s_delay_alu instid0(SALU_CYCLE_1) | instskip(SKIP_3) | instid1(VALU_DEP_2)
	v_dual_lshrrev_b32 v2, 5, v1 :: v_dual_add_nc_u32 v16, s0, v15
	v_dual_lshrrev_b32 v1, 3, v1 :: v_dual_bitop2_b32 v3, 31, v1 bitop3:0x40
	s_lshl_b32 s1, s1, 5
	v_cmp_neq_f64_e64 s37, s[10:11], 0
	v_dual_add_nc_u32 v18, 16, v16 :: v_dual_bitop2_b32 v4, s1, v3 bitop3:0x54
	v_ashrrev_i32_e32 v17, 31, v16
	v_cmp_neq_f64_e64 s34, s[24:25], 0
	v_dual_add_nc_u32 v6, s0, v1 :: v_dual_bitop2_b32 v0, 7, v0 bitop3:0x40
	s_delay_alu instid0(VALU_DEP_4) | instskip(NEXT) | instid1(VALU_DEP_4)
	v_ashrrev_i32_e32 v19, 31, v18
	v_mul_u64_e32 v[8:9], s[28:29], v[16:17]
	s_delay_alu instid0(VALU_DEP_3) | instskip(SKIP_1) | instid1(VALU_DEP_4)
	v_dual_lshlrev_b32 v3, 3, v3 :: v_dual_lshlrev_b32 v5, 3, v0
	v_add_nc_u32_e32 v12, s1, v13
	v_mul_u64_e32 v[10:11], s[28:29], v[18:19]
	s_wait_kmcnt 0x0
	v_cmp_gt_i32_e32 vcc_lo, s3, v16
	v_cmp_gt_i64_e64 s38, s[8:9], 0
	v_lshl_or_b32 v7, v1, 6, v5
	v_ashrrev_i32_e32 v5, 31, v4
	v_cmp_le_i32_e64 s2, v12, v16
	v_add_nc_u32_e32 v14, 16, v12
	v_cmp_gt_i32_e64 s0, s3, v4
	v_lshl_or_b32 v1, v2, 8, v3
	v_cmp_gt_i32_e64 s1, s3, v6
	v_add_nc_u32_e32 v3, 0x800, v7
	v_ashrrev_i32_e32 v7, 31, v6
	s_and_b32 s28, vcc_lo, s2
	v_cmp_le_i32_e64 s2, v14, v16
	v_cmp_gt_i32_e64 s3, s3, v18
	v_cmp_le_i32_e64 s4, v12, v18
	v_cmp_le_i32_e64 s5, v14, v18
	v_dual_lshlrev_b32 v36, 3, v13 :: v_dual_ashrrev_i32 v13, 31, v12
	v_lshl_add_u32 v37, v15, 6, 0x800
	v_dual_ashrrev_i32 v15, 31, v14 :: v_dual_mov_b32 v17, 0
	s_and_b32 s29, vcc_lo, s2
	s_and_b32 s35, s3, s4
	s_and_b32 s36, s3, s5
	;; [unrolled: 1-line block ×3, first 2 shown]
	s_lshl_b64 s[2:3], s[22:23], 3
	s_lshl_b64 s[4:5], s[16:17], 3
	;; [unrolled: 1-line block ×3, first 2 shown]
	s_branch .LBB487_6
.LBB487_5:                              ;   in Loop: Header=BB487_6 Depth=1
	s_wait_xcnt 0x0
	s_or_b32 exec_lo, exec_lo, s22
	s_add_co_i32 s6, s6, 0x10000
	s_delay_alu instid0(SALU_CYCLE_1)
	s_cmp_lt_u32 s6, s33
	s_cbranch_scc0 .LBB487_35
.LBB487_6:                              ; =>This Loop Header: Depth=1
                                        ;     Child Loop BB487_9 Depth 2
	v_mov_b32_e32 v16, s6
	v_mov_b64_e32 v[26:27], 0
	v_mov_b64_e32 v[22:23], 0
	;; [unrolled: 1-line block ×4, first 2 shown]
	global_load_b64 v[24:25], v16, s[26:27] scale_offset
	s_and_not1_b32 vcc_lo, exec_lo, s37
	s_cbranch_vccnz .LBB487_15
; %bb.7:                                ;   in Loop: Header=BB487_6 Depth=1
	s_lshl_b64 s[22:23], s[6:7], 3
	v_mov_b64_e32 v[22:23], 0
	s_add_nc_u64 s[30:31], s[12:13], s[22:23]
	s_add_nc_u64 s[22:23], s[18:19], s[22:23]
	s_clause 0x1
	global_load_b64 v[18:19], v17, s[30:31]
	global_load_b64 v[20:21], v17, s[22:23]
	v_mov_b64_e32 v[26:27], 0
	s_wait_xcnt 0x0
	s_mov_b64 s[22:23], 0
	s_wait_loadcnt 0x1
	v_add_nc_u64_e32 v[28:29], s[4:5], v[18:19]
	s_wait_loadcnt 0x0
	v_add_nc_u64_e32 v[30:31], s[2:3], v[20:21]
	v_mov_b64_e32 v[18:19], 0
	v_mov_b64_e32 v[20:21], 0
	s_delay_alu instid0(VALU_DEP_4) | instskip(NEXT) | instid1(VALU_DEP_4)
	v_lshl_add_u64 v[28:29], v[4:5], 3, v[28:29]
	v_lshl_add_u64 v[30:31], v[6:7], 3, v[30:31]
	s_branch .LBB487_9
.LBB487_8:                              ;   in Loop: Header=BB487_9 Depth=2
	s_wait_xcnt 0x0
	s_or_b32 exec_lo, exec_lo, s30
	s_wait_loadcnt_dscnt 0x0
	ds_store_b64 v3, v[34:35]
	s_wait_dscnt 0x0
	s_barrier_signal -1
	s_barrier_wait -1
	ds_load_b128 v[32:35], v37
	ds_load_2addr_b64 v[38:41], v36 offset1:16
	ds_load_b128 v[42:45], v37 offset:1024
	ds_load_b128 v[46:49], v37 offset:16
	;; [unrolled: 1-line block ×3, first 2 shown]
	s_add_nc_u64 s[22:23], s[22:23], 8
	s_delay_alu instid0(SALU_CYCLE_1)
	v_cmp_gt_i64_e64 s30, s[8:9], s[22:23]
	s_and_b32 vcc_lo, exec_lo, s30
	s_wait_dscnt 0x3
	v_fmac_f64_e32 v[26:27], v[38:39], v[32:33]
	v_fmac_f64_e32 v[22:23], v[40:41], v[32:33]
	s_wait_dscnt 0x2
	v_fmac_f64_e32 v[20:21], v[38:39], v[42:43]
	v_fmac_f64_e32 v[18:19], v[40:41], v[42:43]
	ds_load_2addr_b64 v[38:41], v36 offset0:32 offset1:48
	s_wait_dscnt 0x0
	v_fmac_f64_e32 v[26:27], v[38:39], v[34:35]
	v_fmac_f64_e32 v[22:23], v[40:41], v[34:35]
	v_fmac_f64_e32 v[20:21], v[38:39], v[44:45]
	v_fmac_f64_e32 v[18:19], v[40:41], v[44:45]
	ds_load_2addr_b64 v[32:35], v36 offset0:64 offset1:80
	s_wait_dscnt 0x0
	v_fmac_f64_e32 v[26:27], v[32:33], v[46:47]
	v_fmac_f64_e32 v[22:23], v[34:35], v[46:47]
	;; [unrolled: 6-line block ×3, first 2 shown]
	v_fmac_f64_e32 v[20:21], v[32:33], v[52:53]
	v_fmac_f64_e32 v[18:19], v[34:35], v[52:53]
	ds_load_b128 v[32:35], v37 offset:32
	ds_load_2addr_b64 v[38:41], v36 offset0:128 offset1:144
	ds_load_b128 v[42:45], v37 offset:1056
	ds_load_b128 v[46:49], v37 offset:48
	;; [unrolled: 1-line block ×3, first 2 shown]
	s_wait_dscnt 0x3
	v_fmac_f64_e32 v[26:27], v[38:39], v[32:33]
	v_fmac_f64_e32 v[22:23], v[40:41], v[32:33]
	s_wait_dscnt 0x2
	v_fmac_f64_e32 v[20:21], v[38:39], v[42:43]
	v_fmac_f64_e32 v[18:19], v[40:41], v[42:43]
	ds_load_2addr_b64 v[38:41], v36 offset0:160 offset1:176
	s_wait_dscnt 0x0
	v_fmac_f64_e32 v[26:27], v[38:39], v[34:35]
	v_fmac_f64_e32 v[22:23], v[40:41], v[34:35]
	v_fmac_f64_e32 v[20:21], v[38:39], v[44:45]
	v_fmac_f64_e32 v[18:19], v[40:41], v[44:45]
	ds_load_2addr_b64 v[32:35], v36 offset0:192 offset1:208
	s_wait_dscnt 0x0
	v_fmac_f64_e32 v[26:27], v[32:33], v[46:47]
	v_fmac_f64_e32 v[22:23], v[34:35], v[46:47]
	;; [unrolled: 1-line block ×4, first 2 shown]
	ds_load_2addr_b64 v[32:35], v36 offset0:224 offset1:240
	s_wait_dscnt 0x0
	s_barrier_signal -1
	s_barrier_wait -1
	v_fmac_f64_e32 v[26:27], v[32:33], v[48:49]
	v_fmac_f64_e32 v[22:23], v[34:35], v[48:49]
	;; [unrolled: 1-line block ×4, first 2 shown]
	s_cbranch_vccz .LBB487_15
.LBB487_9:                              ;   Parent Loop BB487_6 Depth=1
                                        ; =>  This Inner Loop Header: Depth=2
	v_mov_b64_e32 v[32:33], 0
	s_and_saveexec_b32 s30, s0
	s_cbranch_execz .LBB487_13
; %bb.10:                               ;   in Loop: Header=BB487_9 Depth=2
	v_mov_b64_e32 v[32:33], 0
	v_add_nc_u32_e32 v16, s22, v2
	s_mov_b32 s31, exec_lo
	s_delay_alu instid0(VALU_DEP_1)
	v_cmpx_gt_u64_e64 s[8:9], v[16:17]
	s_cbranch_execz .LBB487_12
; %bb.11:                               ;   in Loop: Header=BB487_9 Depth=2
	v_mul_u64_e32 v[32:33], s[14:15], v[16:17]
	s_delay_alu instid0(VALU_DEP_1)
	v_lshl_add_u64 v[32:33], v[32:33], 3, v[28:29]
	flat_load_b64 v[32:33], v[32:33]
.LBB487_12:                             ;   in Loop: Header=BB487_9 Depth=2
	s_wait_xcnt 0x0
	s_or_b32 exec_lo, exec_lo, s31
.LBB487_13:                             ;   in Loop: Header=BB487_9 Depth=2
	s_delay_alu instid0(SALU_CYCLE_1)
	s_or_b32 exec_lo, exec_lo, s30
	v_add_nc_u32_e32 v16, s22, v0
	v_mov_b64_e32 v[34:35], 0
	s_wait_loadcnt_dscnt 0x0
	ds_store_b64 v1, v[32:33]
	v_cmp_gt_u64_e32 vcc_lo, s[8:9], v[16:17]
	s_and_b32 s31, vcc_lo, s1
	s_delay_alu instid0(SALU_CYCLE_1)
	s_and_saveexec_b32 s30, s31
	s_cbranch_execz .LBB487_8
; %bb.14:                               ;   in Loop: Header=BB487_9 Depth=2
	v_mul_u64_e32 v[32:33], s[20:21], v[16:17]
	s_delay_alu instid0(VALU_DEP_1)
	v_lshl_add_u64 v[32:33], v[32:33], 3, v[30:31]
	flat_load_b64 v[34:35], v[32:33]
	s_branch .LBB487_8
.LBB487_15:                             ;   in Loop: Header=BB487_6 Depth=1
	s_wait_loadcnt 0x0
	v_add_nc_u64_e32 v[24:25], s[16:17], v[24:25]
	s_delay_alu instid0(VALU_DEP_1)
	v_lshl_add_u64 v[28:29], v[8:9], 3, v[24:25]
	s_wait_xcnt 0x0
	s_and_saveexec_b32 s22, s28
	s_cbranch_execz .LBB487_19
; %bb.16:                               ;   in Loop: Header=BB487_6 Depth=1
	v_mul_f64_e32 v[26:27], s[10:11], v[26:27]
	v_lshl_add_u64 v[30:31], v[12:13], 3, v[28:29]
	s_and_b32 vcc_lo, exec_lo, s34
	s_cbranch_vccz .LBB487_30
; %bb.17:                               ;   in Loop: Header=BB487_6 Depth=1
	flat_load_b64 v[32:33], v[30:31]
	s_wait_loadcnt_dscnt 0x0
	v_fma_f64 v[32:33], s[24:25], v[32:33], v[26:27]
	flat_store_b64 v[30:31], v[32:33]
	s_cbranch_execnz .LBB487_19
.LBB487_18:                             ;   in Loop: Header=BB487_6 Depth=1
	flat_store_b64 v[30:31], v[26:27]
.LBB487_19:                             ;   in Loop: Header=BB487_6 Depth=1
	s_wait_xcnt 0x0
	s_or_b32 exec_lo, exec_lo, s22
	s_and_saveexec_b32 s22, s29
	s_cbranch_execz .LBB487_23
; %bb.20:                               ;   in Loop: Header=BB487_6 Depth=1
	v_mul_f64_e32 v[22:23], s[10:11], v[22:23]
	v_lshl_add_u64 v[26:27], v[14:15], 3, v[28:29]
	s_and_not1_b32 vcc_lo, exec_lo, s34
	s_cbranch_vccnz .LBB487_31
; %bb.21:                               ;   in Loop: Header=BB487_6 Depth=1
	flat_load_b64 v[28:29], v[26:27]
	s_wait_loadcnt_dscnt 0x0
	v_fma_f64 v[28:29], s[24:25], v[28:29], v[22:23]
	flat_store_b64 v[26:27], v[28:29]
	s_cbranch_execnz .LBB487_23
.LBB487_22:                             ;   in Loop: Header=BB487_6 Depth=1
	flat_store_b64 v[26:27], v[22:23]
.LBB487_23:                             ;   in Loop: Header=BB487_6 Depth=1
	s_wait_xcnt 0x0
	s_or_b32 exec_lo, exec_lo, s22
	v_lshl_add_u64 v[22:23], v[10:11], 3, v[24:25]
	s_and_saveexec_b32 s22, s35
	s_cbranch_execz .LBB487_27
; %bb.24:                               ;   in Loop: Header=BB487_6 Depth=1
	v_mul_f64_e32 v[20:21], s[10:11], v[20:21]
	s_delay_alu instid0(VALU_DEP_2)
	v_lshl_add_u64 v[24:25], v[12:13], 3, v[22:23]
	s_and_not1_b32 vcc_lo, exec_lo, s34
	s_cbranch_vccnz .LBB487_32
; %bb.25:                               ;   in Loop: Header=BB487_6 Depth=1
	flat_load_b64 v[26:27], v[24:25]
	s_wait_loadcnt_dscnt 0x0
	v_fma_f64 v[26:27], s[24:25], v[26:27], v[20:21]
	flat_store_b64 v[24:25], v[26:27]
	s_cbranch_execnz .LBB487_27
.LBB487_26:                             ;   in Loop: Header=BB487_6 Depth=1
	flat_store_b64 v[24:25], v[20:21]
.LBB487_27:                             ;   in Loop: Header=BB487_6 Depth=1
	s_wait_xcnt 0x0
	s_or_b32 exec_lo, exec_lo, s22
	s_and_saveexec_b32 s22, s36
	s_cbranch_execz .LBB487_5
; %bb.28:                               ;   in Loop: Header=BB487_6 Depth=1
	s_delay_alu instid0(VALU_DEP_4)
	v_mul_f64_e32 v[18:19], s[10:11], v[18:19]
	v_lshl_add_u64 v[20:21], v[14:15], 3, v[22:23]
	s_and_not1_b32 vcc_lo, exec_lo, s34
	s_cbranch_vccnz .LBB487_33
; %bb.29:                               ;   in Loop: Header=BB487_6 Depth=1
	flat_load_b64 v[22:23], v[20:21]
	s_wait_loadcnt_dscnt 0x0
	v_fma_f64 v[22:23], s[24:25], v[22:23], v[18:19]
	flat_store_b64 v[20:21], v[22:23]
	s_cbranch_execnz .LBB487_5
	s_branch .LBB487_34
.LBB487_30:                             ;   in Loop: Header=BB487_6 Depth=1
	s_branch .LBB487_18
.LBB487_31:                             ;   in Loop: Header=BB487_6 Depth=1
	s_branch .LBB487_22
.LBB487_32:                             ;   in Loop: Header=BB487_6 Depth=1
	s_branch .LBB487_26
.LBB487_33:                             ;   in Loop: Header=BB487_6 Depth=1
.LBB487_34:                             ;   in Loop: Header=BB487_6 Depth=1
	flat_store_b64 v[20:21], v[18:19]
	s_branch .LBB487_5
.LBB487_35:
	s_endpgm
	.section	.rodata,"a",@progbits
	.p2align	6, 0x0
	.amdhsa_kernel _ZL29rocblas_internal_gemmt_kernelIlLi16ELi32ELi8ELc78ELc84ELc85ELb0ELb0EddPKPKdPKPdEviT_T9_T10_S7_lS9_S7_lS8_T11_S7_li
		.amdhsa_group_segment_fixed_size 4096
		.amdhsa_private_segment_fixed_size 0
		.amdhsa_kernarg_size 108
		.amdhsa_user_sgpr_count 2
		.amdhsa_user_sgpr_dispatch_ptr 0
		.amdhsa_user_sgpr_queue_ptr 0
		.amdhsa_user_sgpr_kernarg_segment_ptr 1
		.amdhsa_user_sgpr_dispatch_id 0
		.amdhsa_user_sgpr_kernarg_preload_length 0
		.amdhsa_user_sgpr_kernarg_preload_offset 0
		.amdhsa_user_sgpr_private_segment_size 0
		.amdhsa_wavefront_size32 1
		.amdhsa_uses_dynamic_stack 0
		.amdhsa_enable_private_segment 0
		.amdhsa_system_sgpr_workgroup_id_x 1
		.amdhsa_system_sgpr_workgroup_id_y 1
		.amdhsa_system_sgpr_workgroup_id_z 1
		.amdhsa_system_sgpr_workgroup_info 0
		.amdhsa_system_vgpr_workitem_id 1
		.amdhsa_next_free_vgpr 54
		.amdhsa_next_free_sgpr 39
		.amdhsa_named_barrier_count 0
		.amdhsa_reserve_vcc 1
		.amdhsa_float_round_mode_32 0
		.amdhsa_float_round_mode_16_64 0
		.amdhsa_float_denorm_mode_32 3
		.amdhsa_float_denorm_mode_16_64 3
		.amdhsa_fp16_overflow 0
		.amdhsa_memory_ordered 1
		.amdhsa_forward_progress 1
		.amdhsa_inst_pref_size 13
		.amdhsa_round_robin_scheduling 0
		.amdhsa_exception_fp_ieee_invalid_op 0
		.amdhsa_exception_fp_denorm_src 0
		.amdhsa_exception_fp_ieee_div_zero 0
		.amdhsa_exception_fp_ieee_overflow 0
		.amdhsa_exception_fp_ieee_underflow 0
		.amdhsa_exception_fp_ieee_inexact 0
		.amdhsa_exception_int_div_zero 0
	.end_amdhsa_kernel
	.section	.text._ZL29rocblas_internal_gemmt_kernelIlLi16ELi32ELi8ELc78ELc84ELc85ELb0ELb0EddPKPKdPKPdEviT_T9_T10_S7_lS9_S7_lS8_T11_S7_li,"axG",@progbits,_ZL29rocblas_internal_gemmt_kernelIlLi16ELi32ELi8ELc78ELc84ELc85ELb0ELb0EddPKPKdPKPdEviT_T9_T10_S7_lS9_S7_lS8_T11_S7_li,comdat
.Lfunc_end487:
	.size	_ZL29rocblas_internal_gemmt_kernelIlLi16ELi32ELi8ELc78ELc84ELc85ELb0ELb0EddPKPKdPKPdEviT_T9_T10_S7_lS9_S7_lS8_T11_S7_li, .Lfunc_end487-_ZL29rocblas_internal_gemmt_kernelIlLi16ELi32ELi8ELc78ELc84ELc85ELb0ELb0EddPKPKdPKPdEviT_T9_T10_S7_lS9_S7_lS8_T11_S7_li
                                        ; -- End function
	.set _ZL29rocblas_internal_gemmt_kernelIlLi16ELi32ELi8ELc78ELc84ELc85ELb0ELb0EddPKPKdPKPdEviT_T9_T10_S7_lS9_S7_lS8_T11_S7_li.num_vgpr, 54
	.set _ZL29rocblas_internal_gemmt_kernelIlLi16ELi32ELi8ELc78ELc84ELc85ELb0ELb0EddPKPKdPKPdEviT_T9_T10_S7_lS9_S7_lS8_T11_S7_li.num_agpr, 0
	.set _ZL29rocblas_internal_gemmt_kernelIlLi16ELi32ELi8ELc78ELc84ELc85ELb0ELb0EddPKPKdPKPdEviT_T9_T10_S7_lS9_S7_lS8_T11_S7_li.numbered_sgpr, 39
	.set _ZL29rocblas_internal_gemmt_kernelIlLi16ELi32ELi8ELc78ELc84ELc85ELb0ELb0EddPKPKdPKPdEviT_T9_T10_S7_lS9_S7_lS8_T11_S7_li.num_named_barrier, 0
	.set _ZL29rocblas_internal_gemmt_kernelIlLi16ELi32ELi8ELc78ELc84ELc85ELb0ELb0EddPKPKdPKPdEviT_T9_T10_S7_lS9_S7_lS8_T11_S7_li.private_seg_size, 0
	.set _ZL29rocblas_internal_gemmt_kernelIlLi16ELi32ELi8ELc78ELc84ELc85ELb0ELb0EddPKPKdPKPdEviT_T9_T10_S7_lS9_S7_lS8_T11_S7_li.uses_vcc, 1
	.set _ZL29rocblas_internal_gemmt_kernelIlLi16ELi32ELi8ELc78ELc84ELc85ELb0ELb0EddPKPKdPKPdEviT_T9_T10_S7_lS9_S7_lS8_T11_S7_li.uses_flat_scratch, 0
	.set _ZL29rocblas_internal_gemmt_kernelIlLi16ELi32ELi8ELc78ELc84ELc85ELb0ELb0EddPKPKdPKPdEviT_T9_T10_S7_lS9_S7_lS8_T11_S7_li.has_dyn_sized_stack, 0
	.set _ZL29rocblas_internal_gemmt_kernelIlLi16ELi32ELi8ELc78ELc84ELc85ELb0ELb0EddPKPKdPKPdEviT_T9_T10_S7_lS9_S7_lS8_T11_S7_li.has_recursion, 0
	.set _ZL29rocblas_internal_gemmt_kernelIlLi16ELi32ELi8ELc78ELc84ELc85ELb0ELb0EddPKPKdPKPdEviT_T9_T10_S7_lS9_S7_lS8_T11_S7_li.has_indirect_call, 0
	.section	.AMDGPU.csdata,"",@progbits
; Kernel info:
; codeLenInByte = 1644
; TotalNumSgprs: 41
; NumVgprs: 54
; ScratchSize: 0
; MemoryBound: 0
; FloatMode: 240
; IeeeMode: 1
; LDSByteSize: 4096 bytes/workgroup (compile time only)
; SGPRBlocks: 0
; VGPRBlocks: 3
; NumSGPRsForWavesPerEU: 41
; NumVGPRsForWavesPerEU: 54
; NamedBarCnt: 0
; Occupancy: 16
; WaveLimiterHint : 1
; COMPUTE_PGM_RSRC2:SCRATCH_EN: 0
; COMPUTE_PGM_RSRC2:USER_SGPR: 2
; COMPUTE_PGM_RSRC2:TRAP_HANDLER: 0
; COMPUTE_PGM_RSRC2:TGID_X_EN: 1
; COMPUTE_PGM_RSRC2:TGID_Y_EN: 1
; COMPUTE_PGM_RSRC2:TGID_Z_EN: 1
; COMPUTE_PGM_RSRC2:TIDIG_COMP_CNT: 1
	.section	.text._ZL29rocblas_internal_gemmt_kernelIlLi16ELi32ELi8ELc78ELc67ELc85ELb0ELb0EddPKPKdPKPdEviT_T9_T10_S7_lS9_S7_lS8_T11_S7_li,"axG",@progbits,_ZL29rocblas_internal_gemmt_kernelIlLi16ELi32ELi8ELc78ELc67ELc85ELb0ELb0EddPKPKdPKPdEviT_T9_T10_S7_lS9_S7_lS8_T11_S7_li,comdat
	.globl	_ZL29rocblas_internal_gemmt_kernelIlLi16ELi32ELi8ELc78ELc67ELc85ELb0ELb0EddPKPKdPKPdEviT_T9_T10_S7_lS9_S7_lS8_T11_S7_li ; -- Begin function _ZL29rocblas_internal_gemmt_kernelIlLi16ELi32ELi8ELc78ELc67ELc85ELb0ELb0EddPKPKdPKPdEviT_T9_T10_S7_lS9_S7_lS8_T11_S7_li
	.p2align	8
	.type	_ZL29rocblas_internal_gemmt_kernelIlLi16ELi32ELi8ELc78ELc67ELc85ELb0ELb0EddPKPKdPKPdEviT_T9_T10_S7_lS9_S7_lS8_T11_S7_li,@function
_ZL29rocblas_internal_gemmt_kernelIlLi16ELi32ELi8ELc78ELc67ELc85ELb0ELb0EddPKPKdPKPdEviT_T9_T10_S7_lS9_S7_lS8_T11_S7_li: ; @_ZL29rocblas_internal_gemmt_kernelIlLi16ELi32ELi8ELc78ELc67ELc85ELb0ELb0EddPKPKdPKPdEviT_T9_T10_S7_lS9_S7_lS8_T11_S7_li
; %bb.0:
	s_clause 0x1
	s_load_b256 s[24:31], s[0:1], 0x48
	s_load_b512 s[8:23], s[0:1], 0x8
	s_wait_kmcnt 0x0
	v_cmp_neq_f64_e64 s2, s[24:25], 1.0
	s_and_b32 vcc_lo, exec_lo, s2
	s_cbranch_vccnz .LBB488_2
; %bb.1:
	v_cmp_neq_f64_e64 s2, s[10:11], 0
	s_cmp_lg_u64 s[8:9], 0
	s_cselect_b32 s3, -1, 0
	s_delay_alu instid0(SALU_CYCLE_1)
	s_and_b32 s2, s3, s2
.LBB488_2:
	s_delay_alu instid0(SALU_CYCLE_1)
	s_and_not1_b32 vcc_lo, exec_lo, s2
	s_cbranch_vccnz .LBB488_35
; %bb.3:
	s_load_b32 s33, s[0:1], 0x68
	s_bfe_u32 s2, ttmp6, 0x40014
	s_lshr_b32 s3, ttmp7, 16
	s_add_co_i32 s2, s2, 1
	s_bfe_u32 s5, ttmp6, 0x40008
	s_mul_i32 s4, s3, s2
	s_getreg_b32 s2, hwreg(HW_REG_IB_STS2, 6, 4)
	s_add_co_i32 s5, s5, s4
	s_cmp_eq_u32 s2, 0
	s_mov_b32 s7, 0
	s_cselect_b32 s6, s3, s5
	s_wait_kmcnt 0x0
	s_cmp_ge_u32 s6, s33
	s_cbranch_scc1 .LBB488_35
; %bb.4:
	s_bfe_u32 s3, ttmp6, 0x4000c
	s_bfe_u32 s5, ttmp6, 0x40010
	s_add_co_i32 s3, s3, 1
	s_and_b32 s34, ttmp7, 0xffff
	s_add_co_i32 s5, s5, 1
	v_and_b32_e32 v13, 0x3ff, v0
	v_bfe_u32 v15, v0, 10, 10
	s_and_b32 s4, ttmp6, 15
	s_mul_i32 s3, ttmp9, s3
	s_mul_i32 s5, s34, s5
	s_bfe_u32 s35, ttmp6, 0x40004
	s_add_co_i32 s4, s4, s3
	s_add_co_i32 s35, s35, s5
	s_cmp_eq_u32 s2, 0
	v_lshl_add_u32 v1, v15, 4, v13
	s_load_b32 s3, s[0:1], 0x0
	s_wait_xcnt 0x0
	s_cselect_b32 s0, s34, s35
	s_cselect_b32 s1, ttmp9, s4
	s_lshl_b32 s0, s0, 5
	s_delay_alu instid0(SALU_CYCLE_1) | instskip(SKIP_3) | instid1(VALU_DEP_2)
	v_dual_lshrrev_b32 v2, 5, v1 :: v_dual_add_nc_u32 v16, s0, v15
	v_dual_lshrrev_b32 v1, 3, v1 :: v_dual_bitop2_b32 v3, 31, v1 bitop3:0x40
	s_lshl_b32 s1, s1, 5
	v_cmp_neq_f64_e64 s37, s[10:11], 0
	v_dual_add_nc_u32 v18, 16, v16 :: v_dual_bitop2_b32 v4, s1, v3 bitop3:0x54
	v_ashrrev_i32_e32 v17, 31, v16
	v_cmp_neq_f64_e64 s34, s[24:25], 0
	v_dual_add_nc_u32 v6, s0, v1 :: v_dual_bitop2_b32 v0, 7, v0 bitop3:0x40
	s_delay_alu instid0(VALU_DEP_4) | instskip(NEXT) | instid1(VALU_DEP_4)
	v_ashrrev_i32_e32 v19, 31, v18
	v_mul_u64_e32 v[8:9], s[28:29], v[16:17]
	s_delay_alu instid0(VALU_DEP_3) | instskip(SKIP_1) | instid1(VALU_DEP_4)
	v_dual_lshlrev_b32 v3, 3, v3 :: v_dual_lshlrev_b32 v5, 3, v0
	v_add_nc_u32_e32 v12, s1, v13
	v_mul_u64_e32 v[10:11], s[28:29], v[18:19]
	s_wait_kmcnt 0x0
	v_cmp_gt_i32_e32 vcc_lo, s3, v16
	v_cmp_gt_i64_e64 s38, s[8:9], 0
	v_lshl_or_b32 v7, v1, 6, v5
	v_ashrrev_i32_e32 v5, 31, v4
	v_cmp_le_i32_e64 s2, v12, v16
	v_add_nc_u32_e32 v14, 16, v12
	v_cmp_gt_i32_e64 s0, s3, v4
	v_lshl_or_b32 v1, v2, 8, v3
	v_cmp_gt_i32_e64 s1, s3, v6
	v_add_nc_u32_e32 v3, 0x800, v7
	v_ashrrev_i32_e32 v7, 31, v6
	s_and_b32 s28, vcc_lo, s2
	v_cmp_le_i32_e64 s2, v14, v16
	v_cmp_gt_i32_e64 s3, s3, v18
	v_cmp_le_i32_e64 s4, v12, v18
	v_cmp_le_i32_e64 s5, v14, v18
	v_dual_lshlrev_b32 v36, 3, v13 :: v_dual_ashrrev_i32 v13, 31, v12
	v_lshl_add_u32 v37, v15, 6, 0x800
	v_dual_ashrrev_i32 v15, 31, v14 :: v_dual_mov_b32 v17, 0
	s_and_b32 s29, vcc_lo, s2
	s_and_b32 s35, s3, s4
	s_and_b32 s36, s3, s5
	;; [unrolled: 1-line block ×3, first 2 shown]
	s_lshl_b64 s[2:3], s[22:23], 3
	s_lshl_b64 s[4:5], s[16:17], 3
	;; [unrolled: 1-line block ×3, first 2 shown]
	s_branch .LBB488_6
.LBB488_5:                              ;   in Loop: Header=BB488_6 Depth=1
	s_wait_xcnt 0x0
	s_or_b32 exec_lo, exec_lo, s22
	s_add_co_i32 s6, s6, 0x10000
	s_delay_alu instid0(SALU_CYCLE_1)
	s_cmp_lt_u32 s6, s33
	s_cbranch_scc0 .LBB488_35
.LBB488_6:                              ; =>This Loop Header: Depth=1
                                        ;     Child Loop BB488_9 Depth 2
	v_mov_b32_e32 v16, s6
	v_mov_b64_e32 v[26:27], 0
	v_mov_b64_e32 v[22:23], 0
	;; [unrolled: 1-line block ×4, first 2 shown]
	global_load_b64 v[24:25], v16, s[26:27] scale_offset
	s_and_not1_b32 vcc_lo, exec_lo, s37
	s_cbranch_vccnz .LBB488_15
; %bb.7:                                ;   in Loop: Header=BB488_6 Depth=1
	s_lshl_b64 s[22:23], s[6:7], 3
	v_mov_b64_e32 v[22:23], 0
	s_add_nc_u64 s[30:31], s[12:13], s[22:23]
	s_add_nc_u64 s[22:23], s[18:19], s[22:23]
	s_clause 0x1
	global_load_b64 v[18:19], v17, s[30:31]
	global_load_b64 v[20:21], v17, s[22:23]
	v_mov_b64_e32 v[26:27], 0
	s_wait_xcnt 0x0
	s_mov_b64 s[22:23], 0
	s_wait_loadcnt 0x1
	v_add_nc_u64_e32 v[28:29], s[4:5], v[18:19]
	s_wait_loadcnt 0x0
	v_add_nc_u64_e32 v[30:31], s[2:3], v[20:21]
	v_mov_b64_e32 v[18:19], 0
	v_mov_b64_e32 v[20:21], 0
	s_delay_alu instid0(VALU_DEP_4) | instskip(NEXT) | instid1(VALU_DEP_4)
	v_lshl_add_u64 v[28:29], v[4:5], 3, v[28:29]
	v_lshl_add_u64 v[30:31], v[6:7], 3, v[30:31]
	s_branch .LBB488_9
.LBB488_8:                              ;   in Loop: Header=BB488_9 Depth=2
	s_wait_xcnt 0x0
	s_or_b32 exec_lo, exec_lo, s30
	s_wait_loadcnt_dscnt 0x0
	ds_store_b64 v3, v[34:35]
	s_wait_dscnt 0x0
	s_barrier_signal -1
	s_barrier_wait -1
	ds_load_b128 v[32:35], v37
	ds_load_2addr_b64 v[38:41], v36 offset1:16
	ds_load_b128 v[42:45], v37 offset:1024
	ds_load_b128 v[46:49], v37 offset:16
	ds_load_b128 v[50:53], v37 offset:1040
	s_add_nc_u64 s[22:23], s[22:23], 8
	s_delay_alu instid0(SALU_CYCLE_1)
	v_cmp_gt_i64_e64 s30, s[8:9], s[22:23]
	s_and_b32 vcc_lo, exec_lo, s30
	s_wait_dscnt 0x3
	v_fmac_f64_e32 v[26:27], v[38:39], v[32:33]
	v_fmac_f64_e32 v[22:23], v[40:41], v[32:33]
	s_wait_dscnt 0x2
	v_fmac_f64_e32 v[20:21], v[38:39], v[42:43]
	v_fmac_f64_e32 v[18:19], v[40:41], v[42:43]
	ds_load_2addr_b64 v[38:41], v36 offset0:32 offset1:48
	s_wait_dscnt 0x0
	v_fmac_f64_e32 v[26:27], v[38:39], v[34:35]
	v_fmac_f64_e32 v[22:23], v[40:41], v[34:35]
	v_fmac_f64_e32 v[20:21], v[38:39], v[44:45]
	v_fmac_f64_e32 v[18:19], v[40:41], v[44:45]
	ds_load_2addr_b64 v[32:35], v36 offset0:64 offset1:80
	s_wait_dscnt 0x0
	v_fmac_f64_e32 v[26:27], v[32:33], v[46:47]
	v_fmac_f64_e32 v[22:23], v[34:35], v[46:47]
	;; [unrolled: 6-line block ×3, first 2 shown]
	v_fmac_f64_e32 v[20:21], v[32:33], v[52:53]
	v_fmac_f64_e32 v[18:19], v[34:35], v[52:53]
	ds_load_b128 v[32:35], v37 offset:32
	ds_load_2addr_b64 v[38:41], v36 offset0:128 offset1:144
	ds_load_b128 v[42:45], v37 offset:1056
	ds_load_b128 v[46:49], v37 offset:48
	;; [unrolled: 1-line block ×3, first 2 shown]
	s_wait_dscnt 0x3
	v_fmac_f64_e32 v[26:27], v[38:39], v[32:33]
	v_fmac_f64_e32 v[22:23], v[40:41], v[32:33]
	s_wait_dscnt 0x2
	v_fmac_f64_e32 v[20:21], v[38:39], v[42:43]
	v_fmac_f64_e32 v[18:19], v[40:41], v[42:43]
	ds_load_2addr_b64 v[38:41], v36 offset0:160 offset1:176
	s_wait_dscnt 0x0
	v_fmac_f64_e32 v[26:27], v[38:39], v[34:35]
	v_fmac_f64_e32 v[22:23], v[40:41], v[34:35]
	v_fmac_f64_e32 v[20:21], v[38:39], v[44:45]
	v_fmac_f64_e32 v[18:19], v[40:41], v[44:45]
	ds_load_2addr_b64 v[32:35], v36 offset0:192 offset1:208
	s_wait_dscnt 0x0
	v_fmac_f64_e32 v[26:27], v[32:33], v[46:47]
	v_fmac_f64_e32 v[22:23], v[34:35], v[46:47]
	;; [unrolled: 1-line block ×4, first 2 shown]
	ds_load_2addr_b64 v[32:35], v36 offset0:224 offset1:240
	s_wait_dscnt 0x0
	s_barrier_signal -1
	s_barrier_wait -1
	v_fmac_f64_e32 v[26:27], v[32:33], v[48:49]
	v_fmac_f64_e32 v[22:23], v[34:35], v[48:49]
	;; [unrolled: 1-line block ×4, first 2 shown]
	s_cbranch_vccz .LBB488_15
.LBB488_9:                              ;   Parent Loop BB488_6 Depth=1
                                        ; =>  This Inner Loop Header: Depth=2
	v_mov_b64_e32 v[32:33], 0
	s_and_saveexec_b32 s30, s0
	s_cbranch_execz .LBB488_13
; %bb.10:                               ;   in Loop: Header=BB488_9 Depth=2
	v_mov_b64_e32 v[32:33], 0
	v_add_nc_u32_e32 v16, s22, v2
	s_mov_b32 s31, exec_lo
	s_delay_alu instid0(VALU_DEP_1)
	v_cmpx_gt_u64_e64 s[8:9], v[16:17]
	s_cbranch_execz .LBB488_12
; %bb.11:                               ;   in Loop: Header=BB488_9 Depth=2
	v_mul_u64_e32 v[32:33], s[14:15], v[16:17]
	s_delay_alu instid0(VALU_DEP_1)
	v_lshl_add_u64 v[32:33], v[32:33], 3, v[28:29]
	flat_load_b64 v[32:33], v[32:33]
.LBB488_12:                             ;   in Loop: Header=BB488_9 Depth=2
	s_wait_xcnt 0x0
	s_or_b32 exec_lo, exec_lo, s31
.LBB488_13:                             ;   in Loop: Header=BB488_9 Depth=2
	s_delay_alu instid0(SALU_CYCLE_1)
	s_or_b32 exec_lo, exec_lo, s30
	v_add_nc_u32_e32 v16, s22, v0
	v_mov_b64_e32 v[34:35], 0
	s_wait_loadcnt_dscnt 0x0
	ds_store_b64 v1, v[32:33]
	v_cmp_gt_u64_e32 vcc_lo, s[8:9], v[16:17]
	s_and_b32 s31, vcc_lo, s1
	s_delay_alu instid0(SALU_CYCLE_1)
	s_and_saveexec_b32 s30, s31
	s_cbranch_execz .LBB488_8
; %bb.14:                               ;   in Loop: Header=BB488_9 Depth=2
	v_mul_u64_e32 v[32:33], s[20:21], v[16:17]
	s_delay_alu instid0(VALU_DEP_1)
	v_lshl_add_u64 v[32:33], v[32:33], 3, v[30:31]
	flat_load_b64 v[34:35], v[32:33]
	s_branch .LBB488_8
.LBB488_15:                             ;   in Loop: Header=BB488_6 Depth=1
	s_wait_loadcnt 0x0
	v_add_nc_u64_e32 v[24:25], s[16:17], v[24:25]
	s_delay_alu instid0(VALU_DEP_1)
	v_lshl_add_u64 v[28:29], v[8:9], 3, v[24:25]
	s_wait_xcnt 0x0
	s_and_saveexec_b32 s22, s28
	s_cbranch_execz .LBB488_19
; %bb.16:                               ;   in Loop: Header=BB488_6 Depth=1
	v_mul_f64_e32 v[26:27], s[10:11], v[26:27]
	v_lshl_add_u64 v[30:31], v[12:13], 3, v[28:29]
	s_and_b32 vcc_lo, exec_lo, s34
	s_cbranch_vccz .LBB488_30
; %bb.17:                               ;   in Loop: Header=BB488_6 Depth=1
	flat_load_b64 v[32:33], v[30:31]
	s_wait_loadcnt_dscnt 0x0
	v_fma_f64 v[32:33], s[24:25], v[32:33], v[26:27]
	flat_store_b64 v[30:31], v[32:33]
	s_cbranch_execnz .LBB488_19
.LBB488_18:                             ;   in Loop: Header=BB488_6 Depth=1
	flat_store_b64 v[30:31], v[26:27]
.LBB488_19:                             ;   in Loop: Header=BB488_6 Depth=1
	s_wait_xcnt 0x0
	s_or_b32 exec_lo, exec_lo, s22
	s_and_saveexec_b32 s22, s29
	s_cbranch_execz .LBB488_23
; %bb.20:                               ;   in Loop: Header=BB488_6 Depth=1
	v_mul_f64_e32 v[22:23], s[10:11], v[22:23]
	v_lshl_add_u64 v[26:27], v[14:15], 3, v[28:29]
	s_and_not1_b32 vcc_lo, exec_lo, s34
	s_cbranch_vccnz .LBB488_31
; %bb.21:                               ;   in Loop: Header=BB488_6 Depth=1
	flat_load_b64 v[28:29], v[26:27]
	s_wait_loadcnt_dscnt 0x0
	v_fma_f64 v[28:29], s[24:25], v[28:29], v[22:23]
	flat_store_b64 v[26:27], v[28:29]
	s_cbranch_execnz .LBB488_23
.LBB488_22:                             ;   in Loop: Header=BB488_6 Depth=1
	flat_store_b64 v[26:27], v[22:23]
.LBB488_23:                             ;   in Loop: Header=BB488_6 Depth=1
	s_wait_xcnt 0x0
	s_or_b32 exec_lo, exec_lo, s22
	v_lshl_add_u64 v[22:23], v[10:11], 3, v[24:25]
	s_and_saveexec_b32 s22, s35
	s_cbranch_execz .LBB488_27
; %bb.24:                               ;   in Loop: Header=BB488_6 Depth=1
	v_mul_f64_e32 v[20:21], s[10:11], v[20:21]
	s_delay_alu instid0(VALU_DEP_2)
	v_lshl_add_u64 v[24:25], v[12:13], 3, v[22:23]
	s_and_not1_b32 vcc_lo, exec_lo, s34
	s_cbranch_vccnz .LBB488_32
; %bb.25:                               ;   in Loop: Header=BB488_6 Depth=1
	flat_load_b64 v[26:27], v[24:25]
	s_wait_loadcnt_dscnt 0x0
	v_fma_f64 v[26:27], s[24:25], v[26:27], v[20:21]
	flat_store_b64 v[24:25], v[26:27]
	s_cbranch_execnz .LBB488_27
.LBB488_26:                             ;   in Loop: Header=BB488_6 Depth=1
	flat_store_b64 v[24:25], v[20:21]
.LBB488_27:                             ;   in Loop: Header=BB488_6 Depth=1
	s_wait_xcnt 0x0
	s_or_b32 exec_lo, exec_lo, s22
	s_and_saveexec_b32 s22, s36
	s_cbranch_execz .LBB488_5
; %bb.28:                               ;   in Loop: Header=BB488_6 Depth=1
	s_delay_alu instid0(VALU_DEP_4)
	v_mul_f64_e32 v[18:19], s[10:11], v[18:19]
	v_lshl_add_u64 v[20:21], v[14:15], 3, v[22:23]
	s_and_not1_b32 vcc_lo, exec_lo, s34
	s_cbranch_vccnz .LBB488_33
; %bb.29:                               ;   in Loop: Header=BB488_6 Depth=1
	flat_load_b64 v[22:23], v[20:21]
	s_wait_loadcnt_dscnt 0x0
	v_fma_f64 v[22:23], s[24:25], v[22:23], v[18:19]
	flat_store_b64 v[20:21], v[22:23]
	s_cbranch_execnz .LBB488_5
	s_branch .LBB488_34
.LBB488_30:                             ;   in Loop: Header=BB488_6 Depth=1
	s_branch .LBB488_18
.LBB488_31:                             ;   in Loop: Header=BB488_6 Depth=1
	s_branch .LBB488_22
.LBB488_32:                             ;   in Loop: Header=BB488_6 Depth=1
	s_branch .LBB488_26
.LBB488_33:                             ;   in Loop: Header=BB488_6 Depth=1
.LBB488_34:                             ;   in Loop: Header=BB488_6 Depth=1
	flat_store_b64 v[20:21], v[18:19]
	s_branch .LBB488_5
.LBB488_35:
	s_endpgm
	.section	.rodata,"a",@progbits
	.p2align	6, 0x0
	.amdhsa_kernel _ZL29rocblas_internal_gemmt_kernelIlLi16ELi32ELi8ELc78ELc67ELc85ELb0ELb0EddPKPKdPKPdEviT_T9_T10_S7_lS9_S7_lS8_T11_S7_li
		.amdhsa_group_segment_fixed_size 4096
		.amdhsa_private_segment_fixed_size 0
		.amdhsa_kernarg_size 108
		.amdhsa_user_sgpr_count 2
		.amdhsa_user_sgpr_dispatch_ptr 0
		.amdhsa_user_sgpr_queue_ptr 0
		.amdhsa_user_sgpr_kernarg_segment_ptr 1
		.amdhsa_user_sgpr_dispatch_id 0
		.amdhsa_user_sgpr_kernarg_preload_length 0
		.amdhsa_user_sgpr_kernarg_preload_offset 0
		.amdhsa_user_sgpr_private_segment_size 0
		.amdhsa_wavefront_size32 1
		.amdhsa_uses_dynamic_stack 0
		.amdhsa_enable_private_segment 0
		.amdhsa_system_sgpr_workgroup_id_x 1
		.amdhsa_system_sgpr_workgroup_id_y 1
		.amdhsa_system_sgpr_workgroup_id_z 1
		.amdhsa_system_sgpr_workgroup_info 0
		.amdhsa_system_vgpr_workitem_id 1
		.amdhsa_next_free_vgpr 54
		.amdhsa_next_free_sgpr 39
		.amdhsa_named_barrier_count 0
		.amdhsa_reserve_vcc 1
		.amdhsa_float_round_mode_32 0
		.amdhsa_float_round_mode_16_64 0
		.amdhsa_float_denorm_mode_32 3
		.amdhsa_float_denorm_mode_16_64 3
		.amdhsa_fp16_overflow 0
		.amdhsa_memory_ordered 1
		.amdhsa_forward_progress 1
		.amdhsa_inst_pref_size 13
		.amdhsa_round_robin_scheduling 0
		.amdhsa_exception_fp_ieee_invalid_op 0
		.amdhsa_exception_fp_denorm_src 0
		.amdhsa_exception_fp_ieee_div_zero 0
		.amdhsa_exception_fp_ieee_overflow 0
		.amdhsa_exception_fp_ieee_underflow 0
		.amdhsa_exception_fp_ieee_inexact 0
		.amdhsa_exception_int_div_zero 0
	.end_amdhsa_kernel
	.section	.text._ZL29rocblas_internal_gemmt_kernelIlLi16ELi32ELi8ELc78ELc67ELc85ELb0ELb0EddPKPKdPKPdEviT_T9_T10_S7_lS9_S7_lS8_T11_S7_li,"axG",@progbits,_ZL29rocblas_internal_gemmt_kernelIlLi16ELi32ELi8ELc78ELc67ELc85ELb0ELb0EddPKPKdPKPdEviT_T9_T10_S7_lS9_S7_lS8_T11_S7_li,comdat
.Lfunc_end488:
	.size	_ZL29rocblas_internal_gemmt_kernelIlLi16ELi32ELi8ELc78ELc67ELc85ELb0ELb0EddPKPKdPKPdEviT_T9_T10_S7_lS9_S7_lS8_T11_S7_li, .Lfunc_end488-_ZL29rocblas_internal_gemmt_kernelIlLi16ELi32ELi8ELc78ELc67ELc85ELb0ELb0EddPKPKdPKPdEviT_T9_T10_S7_lS9_S7_lS8_T11_S7_li
                                        ; -- End function
	.set _ZL29rocblas_internal_gemmt_kernelIlLi16ELi32ELi8ELc78ELc67ELc85ELb0ELb0EddPKPKdPKPdEviT_T9_T10_S7_lS9_S7_lS8_T11_S7_li.num_vgpr, 54
	.set _ZL29rocblas_internal_gemmt_kernelIlLi16ELi32ELi8ELc78ELc67ELc85ELb0ELb0EddPKPKdPKPdEviT_T9_T10_S7_lS9_S7_lS8_T11_S7_li.num_agpr, 0
	.set _ZL29rocblas_internal_gemmt_kernelIlLi16ELi32ELi8ELc78ELc67ELc85ELb0ELb0EddPKPKdPKPdEviT_T9_T10_S7_lS9_S7_lS8_T11_S7_li.numbered_sgpr, 39
	.set _ZL29rocblas_internal_gemmt_kernelIlLi16ELi32ELi8ELc78ELc67ELc85ELb0ELb0EddPKPKdPKPdEviT_T9_T10_S7_lS9_S7_lS8_T11_S7_li.num_named_barrier, 0
	.set _ZL29rocblas_internal_gemmt_kernelIlLi16ELi32ELi8ELc78ELc67ELc85ELb0ELb0EddPKPKdPKPdEviT_T9_T10_S7_lS9_S7_lS8_T11_S7_li.private_seg_size, 0
	.set _ZL29rocblas_internal_gemmt_kernelIlLi16ELi32ELi8ELc78ELc67ELc85ELb0ELb0EddPKPKdPKPdEviT_T9_T10_S7_lS9_S7_lS8_T11_S7_li.uses_vcc, 1
	.set _ZL29rocblas_internal_gemmt_kernelIlLi16ELi32ELi8ELc78ELc67ELc85ELb0ELb0EddPKPKdPKPdEviT_T9_T10_S7_lS9_S7_lS8_T11_S7_li.uses_flat_scratch, 0
	.set _ZL29rocblas_internal_gemmt_kernelIlLi16ELi32ELi8ELc78ELc67ELc85ELb0ELb0EddPKPKdPKPdEviT_T9_T10_S7_lS9_S7_lS8_T11_S7_li.has_dyn_sized_stack, 0
	.set _ZL29rocblas_internal_gemmt_kernelIlLi16ELi32ELi8ELc78ELc67ELc85ELb0ELb0EddPKPKdPKPdEviT_T9_T10_S7_lS9_S7_lS8_T11_S7_li.has_recursion, 0
	.set _ZL29rocblas_internal_gemmt_kernelIlLi16ELi32ELi8ELc78ELc67ELc85ELb0ELb0EddPKPKdPKPdEviT_T9_T10_S7_lS9_S7_lS8_T11_S7_li.has_indirect_call, 0
	.section	.AMDGPU.csdata,"",@progbits
; Kernel info:
; codeLenInByte = 1644
; TotalNumSgprs: 41
; NumVgprs: 54
; ScratchSize: 0
; MemoryBound: 0
; FloatMode: 240
; IeeeMode: 1
; LDSByteSize: 4096 bytes/workgroup (compile time only)
; SGPRBlocks: 0
; VGPRBlocks: 3
; NumSGPRsForWavesPerEU: 41
; NumVGPRsForWavesPerEU: 54
; NamedBarCnt: 0
; Occupancy: 16
; WaveLimiterHint : 1
; COMPUTE_PGM_RSRC2:SCRATCH_EN: 0
; COMPUTE_PGM_RSRC2:USER_SGPR: 2
; COMPUTE_PGM_RSRC2:TRAP_HANDLER: 0
; COMPUTE_PGM_RSRC2:TGID_X_EN: 1
; COMPUTE_PGM_RSRC2:TGID_Y_EN: 1
; COMPUTE_PGM_RSRC2:TGID_Z_EN: 1
; COMPUTE_PGM_RSRC2:TIDIG_COMP_CNT: 1
	.section	.text._ZL29rocblas_internal_gemmt_kernelIlLi16ELi32ELi8ELc84ELc78ELc85ELb0ELb0EddPKPKdPKPdEviT_T9_T10_S7_lS9_S7_lS8_T11_S7_li,"axG",@progbits,_ZL29rocblas_internal_gemmt_kernelIlLi16ELi32ELi8ELc84ELc78ELc85ELb0ELb0EddPKPKdPKPdEviT_T9_T10_S7_lS9_S7_lS8_T11_S7_li,comdat
	.globl	_ZL29rocblas_internal_gemmt_kernelIlLi16ELi32ELi8ELc84ELc78ELc85ELb0ELb0EddPKPKdPKPdEviT_T9_T10_S7_lS9_S7_lS8_T11_S7_li ; -- Begin function _ZL29rocblas_internal_gemmt_kernelIlLi16ELi32ELi8ELc84ELc78ELc85ELb0ELb0EddPKPKdPKPdEviT_T9_T10_S7_lS9_S7_lS8_T11_S7_li
	.p2align	8
	.type	_ZL29rocblas_internal_gemmt_kernelIlLi16ELi32ELi8ELc84ELc78ELc85ELb0ELb0EddPKPKdPKPdEviT_T9_T10_S7_lS9_S7_lS8_T11_S7_li,@function
_ZL29rocblas_internal_gemmt_kernelIlLi16ELi32ELi8ELc84ELc78ELc85ELb0ELb0EddPKPKdPKPdEviT_T9_T10_S7_lS9_S7_lS8_T11_S7_li: ; @_ZL29rocblas_internal_gemmt_kernelIlLi16ELi32ELi8ELc84ELc78ELc85ELb0ELb0EddPKPKdPKPdEviT_T9_T10_S7_lS9_S7_lS8_T11_S7_li
; %bb.0:
	s_clause 0x1
	s_load_b256 s[24:31], s[0:1], 0x48
	s_load_b512 s[8:23], s[0:1], 0x8
	s_wait_kmcnt 0x0
	v_cmp_neq_f64_e64 s2, s[24:25], 1.0
	s_and_b32 vcc_lo, exec_lo, s2
	s_cbranch_vccnz .LBB489_2
; %bb.1:
	v_cmp_neq_f64_e64 s2, s[10:11], 0
	s_cmp_lg_u64 s[8:9], 0
	s_cselect_b32 s3, -1, 0
	s_delay_alu instid0(SALU_CYCLE_1)
	s_and_b32 s2, s3, s2
.LBB489_2:
	s_delay_alu instid0(SALU_CYCLE_1)
	s_and_not1_b32 vcc_lo, exec_lo, s2
	s_cbranch_vccnz .LBB489_35
; %bb.3:
	s_load_b32 s33, s[0:1], 0x68
	s_bfe_u32 s2, ttmp6, 0x40014
	s_lshr_b32 s3, ttmp7, 16
	s_add_co_i32 s2, s2, 1
	s_bfe_u32 s5, ttmp6, 0x40008
	s_mul_i32 s4, s3, s2
	s_getreg_b32 s2, hwreg(HW_REG_IB_STS2, 6, 4)
	s_add_co_i32 s5, s5, s4
	s_cmp_eq_u32 s2, 0
	s_mov_b32 s7, 0
	s_cselect_b32 s6, s3, s5
	s_wait_kmcnt 0x0
	s_cmp_ge_u32 s6, s33
	s_cbranch_scc1 .LBB489_35
; %bb.4:
	s_load_b32 s3, s[0:1], 0x0
	s_wait_xcnt 0x0
	s_bfe_u32 s1, ttmp6, 0x4000c
	s_bfe_u32 s5, ttmp6, 0x40010
	s_and_b32 s4, ttmp7, 0xffff
	s_add_co_i32 s1, s1, 1
	s_add_co_i32 s5, s5, 1
	v_and_b32_e32 v20, 0x3ff, v0
	v_bfe_u32 v21, v0, 10, 10
	s_and_b32 s0, ttmp6, 15
	s_mul_i32 s1, ttmp9, s1
	s_mul_i32 s5, s4, s5
	s_bfe_u32 s34, ttmp6, 0x40004
	s_add_co_i32 s0, s0, s1
	s_add_co_i32 s34, s34, s5
	s_cmp_eq_u32 s2, 0
	v_lshl_add_u32 v1, v21, 4, v20
	s_cselect_b32 s1, s4, s34
	s_cselect_b32 s0, ttmp9, s0
	s_lshl_b32 s1, s1, 5
	s_lshl_b32 s2, s0, 5
	v_dual_lshrrev_b32 v3, 3, v1 :: v_dual_bitop2_b32 v22, 31, v1 bitop3:0x40
	v_add_nc_u32_e32 v16, s1, v21
	v_lshrrev_b32_e32 v2, 5, v1
	v_cmp_neq_f64_e64 s35, s[10:11], 0
	s_delay_alu instid0(VALU_DEP_4) | instskip(NEXT) | instid1(VALU_DEP_4)
	v_dual_add_nc_u32 v14, s1, v3 :: v_dual_bitop2_b32 v12, s2, v22 bitop3:0x54
	v_dual_add_nc_u32 v18, 16, v16 :: v_dual_ashrrev_i32 v17, 31, v16
	s_delay_alu instid0(VALU_DEP_2) | instskip(NEXT) | instid1(VALU_DEP_2)
	v_dual_ashrrev_i32 v15, 31, v14 :: v_dual_bitop2_b32 v0, 7, v0 bitop3:0x40
	v_dual_ashrrev_i32 v13, 31, v12 :: v_dual_ashrrev_i32 v19, 31, v18
	s_delay_alu instid0(VALU_DEP_3)
	v_mul_u64_e32 v[8:9], s[28:29], v[16:17]
	s_wait_kmcnt 0x0
	v_cmp_gt_i32_e64 s0, s3, v12
	v_mul_u64_e32 v[6:7], s[20:21], v[14:15]
	v_mul_u64_e32 v[4:5], s[14:15], v[12:13]
	v_cmp_neq_f64_e64 s20, s[24:25], 0
	v_mul_u64_e32 v[10:11], s[28:29], v[18:19]
	v_dual_add_nc_u32 v12, s2, v20 :: v_dual_lshlrev_b32 v36, 3, v20
	v_dual_lshlrev_b32 v1, 3, v22 :: v_dual_lshlrev_b32 v13, 3, v0
	v_cmp_gt_i32_e64 s1, s3, v14
	v_cmp_gt_i32_e32 vcc_lo, s3, v16
	s_delay_alu instid0(VALU_DEP_4)
	v_cmp_le_i32_e64 s2, v12, v16
	v_add_nc_u32_e32 v14, 16, v12
	v_lshl_or_b32 v3, v3, 6, v13
	v_cmp_gt_i64_e64 s14, s[8:9], 0
	v_cmp_gt_i32_e64 s3, s3, v18
	s_and_b32 s21, vcc_lo, s2
	v_cmp_le_i32_e64 s4, v12, v18
	v_ashrrev_i32_e32 v13, 31, v12
	v_cmp_le_i32_e64 s2, v14, v16
	v_cmp_le_i32_e64 s5, v14, v18
	v_lshl_or_b32 v1, v2, 8, v1
	v_add_nc_u32_e32 v3, 0x800, v3
	v_lshl_add_u32 v37, v21, 6, 0x800
	v_dual_ashrrev_i32 v15, 31, v14 :: v_dual_mov_b32 v17, 0
	s_and_b32 s28, vcc_lo, s2
	s_and_b32 s29, s3, s4
	s_and_b32 s34, s3, s5
	;; [unrolled: 1-line block ×3, first 2 shown]
	s_lshl_b64 s[2:3], s[22:23], 3
	s_lshl_b64 s[4:5], s[16:17], 3
	;; [unrolled: 1-line block ×3, first 2 shown]
	s_branch .LBB489_6
.LBB489_5:                              ;   in Loop: Header=BB489_6 Depth=1
	s_wait_xcnt 0x0
	s_or_b32 exec_lo, exec_lo, s16
	s_add_co_i32 s6, s6, 0x10000
	s_delay_alu instid0(SALU_CYCLE_1)
	s_cmp_lt_u32 s6, s33
	s_cbranch_scc0 .LBB489_35
.LBB489_6:                              ; =>This Loop Header: Depth=1
                                        ;     Child Loop BB489_9 Depth 2
	v_mov_b32_e32 v16, s6
	v_mov_b64_e32 v[26:27], 0
	v_mov_b64_e32 v[22:23], 0
	;; [unrolled: 1-line block ×4, first 2 shown]
	global_load_b64 v[24:25], v16, s[26:27] scale_offset
	s_and_not1_b32 vcc_lo, exec_lo, s35
	s_cbranch_vccnz .LBB489_15
; %bb.7:                                ;   in Loop: Header=BB489_6 Depth=1
	s_lshl_b64 s[16:17], s[6:7], 3
	v_mov_b64_e32 v[22:23], 0
	s_add_nc_u64 s[22:23], s[12:13], s[16:17]
	s_add_nc_u64 s[16:17], s[18:19], s[16:17]
	s_clause 0x1
	global_load_b64 v[18:19], v17, s[22:23]
	global_load_b64 v[20:21], v17, s[16:17]
	v_mov_b64_e32 v[26:27], 0
	s_wait_xcnt 0x0
	s_mov_b64 s[16:17], 0
	s_wait_loadcnt 0x1
	v_add_nc_u64_e32 v[28:29], s[4:5], v[18:19]
	s_wait_loadcnt 0x0
	v_add_nc_u64_e32 v[30:31], s[2:3], v[20:21]
	v_mov_b64_e32 v[18:19], 0
	v_mov_b64_e32 v[20:21], 0
	s_delay_alu instid0(VALU_DEP_4) | instskip(NEXT) | instid1(VALU_DEP_4)
	v_lshl_add_u64 v[28:29], v[4:5], 3, v[28:29]
	v_lshl_add_u64 v[30:31], v[6:7], 3, v[30:31]
	s_branch .LBB489_9
.LBB489_8:                              ;   in Loop: Header=BB489_9 Depth=2
	s_wait_xcnt 0x0
	s_or_b32 exec_lo, exec_lo, s22
	s_wait_loadcnt_dscnt 0x0
	ds_store_b64 v3, v[34:35]
	s_wait_dscnt 0x0
	s_barrier_signal -1
	s_barrier_wait -1
	ds_load_b128 v[32:35], v37
	ds_load_2addr_b64 v[38:41], v36 offset1:16
	ds_load_b128 v[42:45], v37 offset:1024
	ds_load_b128 v[46:49], v37 offset:16
	;; [unrolled: 1-line block ×3, first 2 shown]
	s_add_nc_u64 s[16:17], s[16:17], 8
	s_delay_alu instid0(SALU_CYCLE_1)
	v_cmp_gt_i64_e64 s22, s[8:9], s[16:17]
	s_and_b32 vcc_lo, exec_lo, s22
	s_wait_dscnt 0x3
	v_fmac_f64_e32 v[26:27], v[38:39], v[32:33]
	v_fmac_f64_e32 v[22:23], v[40:41], v[32:33]
	s_wait_dscnt 0x2
	v_fmac_f64_e32 v[20:21], v[38:39], v[42:43]
	v_fmac_f64_e32 v[18:19], v[40:41], v[42:43]
	ds_load_2addr_b64 v[38:41], v36 offset0:32 offset1:48
	s_wait_dscnt 0x0
	v_fmac_f64_e32 v[26:27], v[38:39], v[34:35]
	v_fmac_f64_e32 v[22:23], v[40:41], v[34:35]
	v_fmac_f64_e32 v[20:21], v[38:39], v[44:45]
	v_fmac_f64_e32 v[18:19], v[40:41], v[44:45]
	ds_load_2addr_b64 v[32:35], v36 offset0:64 offset1:80
	s_wait_dscnt 0x0
	v_fmac_f64_e32 v[26:27], v[32:33], v[46:47]
	v_fmac_f64_e32 v[22:23], v[34:35], v[46:47]
	;; [unrolled: 6-line block ×3, first 2 shown]
	v_fmac_f64_e32 v[20:21], v[32:33], v[52:53]
	v_fmac_f64_e32 v[18:19], v[34:35], v[52:53]
	ds_load_b128 v[32:35], v37 offset:32
	ds_load_2addr_b64 v[38:41], v36 offset0:128 offset1:144
	ds_load_b128 v[42:45], v37 offset:1056
	ds_load_b128 v[46:49], v37 offset:48
	;; [unrolled: 1-line block ×3, first 2 shown]
	s_wait_dscnt 0x3
	v_fmac_f64_e32 v[26:27], v[38:39], v[32:33]
	v_fmac_f64_e32 v[22:23], v[40:41], v[32:33]
	s_wait_dscnt 0x2
	v_fmac_f64_e32 v[20:21], v[38:39], v[42:43]
	v_fmac_f64_e32 v[18:19], v[40:41], v[42:43]
	ds_load_2addr_b64 v[38:41], v36 offset0:160 offset1:176
	s_wait_dscnt 0x0
	v_fmac_f64_e32 v[26:27], v[38:39], v[34:35]
	v_fmac_f64_e32 v[22:23], v[40:41], v[34:35]
	v_fmac_f64_e32 v[20:21], v[38:39], v[44:45]
	v_fmac_f64_e32 v[18:19], v[40:41], v[44:45]
	ds_load_2addr_b64 v[32:35], v36 offset0:192 offset1:208
	s_wait_dscnt 0x0
	v_fmac_f64_e32 v[26:27], v[32:33], v[46:47]
	v_fmac_f64_e32 v[22:23], v[34:35], v[46:47]
	;; [unrolled: 1-line block ×4, first 2 shown]
	ds_load_2addr_b64 v[32:35], v36 offset0:224 offset1:240
	s_wait_dscnt 0x0
	s_barrier_signal -1
	s_barrier_wait -1
	v_fmac_f64_e32 v[26:27], v[32:33], v[48:49]
	v_fmac_f64_e32 v[22:23], v[34:35], v[48:49]
	v_fmac_f64_e32 v[20:21], v[32:33], v[52:53]
	v_fmac_f64_e32 v[18:19], v[34:35], v[52:53]
	s_cbranch_vccz .LBB489_15
.LBB489_9:                              ;   Parent Loop BB489_6 Depth=1
                                        ; =>  This Inner Loop Header: Depth=2
	v_mov_b64_e32 v[32:33], 0
	s_and_saveexec_b32 s22, s0
	s_cbranch_execz .LBB489_13
; %bb.10:                               ;   in Loop: Header=BB489_9 Depth=2
	v_mov_b64_e32 v[32:33], 0
	v_add_nc_u32_e32 v16, s16, v2
	s_mov_b32 s23, exec_lo
	s_delay_alu instid0(VALU_DEP_1)
	v_cmpx_gt_u64_e64 s[8:9], v[16:17]
	s_cbranch_execz .LBB489_12
; %bb.11:                               ;   in Loop: Header=BB489_9 Depth=2
	v_lshl_add_u64 v[32:33], v[16:17], 3, v[28:29]
	flat_load_b64 v[32:33], v[32:33]
.LBB489_12:                             ;   in Loop: Header=BB489_9 Depth=2
	s_wait_xcnt 0x0
	s_or_b32 exec_lo, exec_lo, s23
.LBB489_13:                             ;   in Loop: Header=BB489_9 Depth=2
	s_delay_alu instid0(SALU_CYCLE_1)
	s_or_b32 exec_lo, exec_lo, s22
	v_add_nc_u32_e32 v16, s16, v0
	v_mov_b64_e32 v[34:35], 0
	s_wait_loadcnt_dscnt 0x0
	ds_store_b64 v1, v[32:33]
	v_cmp_gt_u64_e32 vcc_lo, s[8:9], v[16:17]
	s_and_b32 s23, vcc_lo, s1
	s_delay_alu instid0(SALU_CYCLE_1)
	s_and_saveexec_b32 s22, s23
	s_cbranch_execz .LBB489_8
; %bb.14:                               ;   in Loop: Header=BB489_9 Depth=2
	v_lshl_add_u64 v[32:33], v[16:17], 3, v[30:31]
	flat_load_b64 v[34:35], v[32:33]
	s_branch .LBB489_8
.LBB489_15:                             ;   in Loop: Header=BB489_6 Depth=1
	s_wait_loadcnt 0x0
	v_add_nc_u64_e32 v[24:25], s[14:15], v[24:25]
	s_delay_alu instid0(VALU_DEP_1)
	v_lshl_add_u64 v[28:29], v[8:9], 3, v[24:25]
	s_wait_xcnt 0x0
	s_and_saveexec_b32 s16, s21
	s_cbranch_execz .LBB489_19
; %bb.16:                               ;   in Loop: Header=BB489_6 Depth=1
	v_mul_f64_e32 v[26:27], s[10:11], v[26:27]
	v_lshl_add_u64 v[30:31], v[12:13], 3, v[28:29]
	s_and_b32 vcc_lo, exec_lo, s20
	s_cbranch_vccz .LBB489_30
; %bb.17:                               ;   in Loop: Header=BB489_6 Depth=1
	flat_load_b64 v[32:33], v[30:31]
	s_wait_loadcnt_dscnt 0x0
	v_fma_f64 v[32:33], s[24:25], v[32:33], v[26:27]
	flat_store_b64 v[30:31], v[32:33]
	s_cbranch_execnz .LBB489_19
.LBB489_18:                             ;   in Loop: Header=BB489_6 Depth=1
	flat_store_b64 v[30:31], v[26:27]
.LBB489_19:                             ;   in Loop: Header=BB489_6 Depth=1
	s_wait_xcnt 0x0
	s_or_b32 exec_lo, exec_lo, s16
	s_and_saveexec_b32 s16, s28
	s_cbranch_execz .LBB489_23
; %bb.20:                               ;   in Loop: Header=BB489_6 Depth=1
	v_mul_f64_e32 v[22:23], s[10:11], v[22:23]
	v_lshl_add_u64 v[26:27], v[14:15], 3, v[28:29]
	s_and_not1_b32 vcc_lo, exec_lo, s20
	s_cbranch_vccnz .LBB489_31
; %bb.21:                               ;   in Loop: Header=BB489_6 Depth=1
	flat_load_b64 v[28:29], v[26:27]
	s_wait_loadcnt_dscnt 0x0
	v_fma_f64 v[28:29], s[24:25], v[28:29], v[22:23]
	flat_store_b64 v[26:27], v[28:29]
	s_cbranch_execnz .LBB489_23
.LBB489_22:                             ;   in Loop: Header=BB489_6 Depth=1
	flat_store_b64 v[26:27], v[22:23]
.LBB489_23:                             ;   in Loop: Header=BB489_6 Depth=1
	s_wait_xcnt 0x0
	s_or_b32 exec_lo, exec_lo, s16
	v_lshl_add_u64 v[22:23], v[10:11], 3, v[24:25]
	s_and_saveexec_b32 s16, s29
	s_cbranch_execz .LBB489_27
; %bb.24:                               ;   in Loop: Header=BB489_6 Depth=1
	v_mul_f64_e32 v[20:21], s[10:11], v[20:21]
	s_delay_alu instid0(VALU_DEP_2)
	v_lshl_add_u64 v[24:25], v[12:13], 3, v[22:23]
	s_and_not1_b32 vcc_lo, exec_lo, s20
	s_cbranch_vccnz .LBB489_32
; %bb.25:                               ;   in Loop: Header=BB489_6 Depth=1
	flat_load_b64 v[26:27], v[24:25]
	s_wait_loadcnt_dscnt 0x0
	v_fma_f64 v[26:27], s[24:25], v[26:27], v[20:21]
	flat_store_b64 v[24:25], v[26:27]
	s_cbranch_execnz .LBB489_27
.LBB489_26:                             ;   in Loop: Header=BB489_6 Depth=1
	flat_store_b64 v[24:25], v[20:21]
.LBB489_27:                             ;   in Loop: Header=BB489_6 Depth=1
	s_wait_xcnt 0x0
	s_or_b32 exec_lo, exec_lo, s16
	s_and_saveexec_b32 s16, s34
	s_cbranch_execz .LBB489_5
; %bb.28:                               ;   in Loop: Header=BB489_6 Depth=1
	s_delay_alu instid0(VALU_DEP_4)
	v_mul_f64_e32 v[18:19], s[10:11], v[18:19]
	v_lshl_add_u64 v[20:21], v[14:15], 3, v[22:23]
	s_and_not1_b32 vcc_lo, exec_lo, s20
	s_cbranch_vccnz .LBB489_33
; %bb.29:                               ;   in Loop: Header=BB489_6 Depth=1
	flat_load_b64 v[22:23], v[20:21]
	s_wait_loadcnt_dscnt 0x0
	v_fma_f64 v[22:23], s[24:25], v[22:23], v[18:19]
	flat_store_b64 v[20:21], v[22:23]
	s_cbranch_execnz .LBB489_5
	s_branch .LBB489_34
.LBB489_30:                             ;   in Loop: Header=BB489_6 Depth=1
	s_branch .LBB489_18
.LBB489_31:                             ;   in Loop: Header=BB489_6 Depth=1
	s_branch .LBB489_22
.LBB489_32:                             ;   in Loop: Header=BB489_6 Depth=1
	s_branch .LBB489_26
.LBB489_33:                             ;   in Loop: Header=BB489_6 Depth=1
.LBB489_34:                             ;   in Loop: Header=BB489_6 Depth=1
	flat_store_b64 v[20:21], v[18:19]
	s_branch .LBB489_5
.LBB489_35:
	s_endpgm
	.section	.rodata,"a",@progbits
	.p2align	6, 0x0
	.amdhsa_kernel _ZL29rocblas_internal_gemmt_kernelIlLi16ELi32ELi8ELc84ELc78ELc85ELb0ELb0EddPKPKdPKPdEviT_T9_T10_S7_lS9_S7_lS8_T11_S7_li
		.amdhsa_group_segment_fixed_size 4096
		.amdhsa_private_segment_fixed_size 0
		.amdhsa_kernarg_size 108
		.amdhsa_user_sgpr_count 2
		.amdhsa_user_sgpr_dispatch_ptr 0
		.amdhsa_user_sgpr_queue_ptr 0
		.amdhsa_user_sgpr_kernarg_segment_ptr 1
		.amdhsa_user_sgpr_dispatch_id 0
		.amdhsa_user_sgpr_kernarg_preload_length 0
		.amdhsa_user_sgpr_kernarg_preload_offset 0
		.amdhsa_user_sgpr_private_segment_size 0
		.amdhsa_wavefront_size32 1
		.amdhsa_uses_dynamic_stack 0
		.amdhsa_enable_private_segment 0
		.amdhsa_system_sgpr_workgroup_id_x 1
		.amdhsa_system_sgpr_workgroup_id_y 1
		.amdhsa_system_sgpr_workgroup_id_z 1
		.amdhsa_system_sgpr_workgroup_info 0
		.amdhsa_system_vgpr_workitem_id 1
		.amdhsa_next_free_vgpr 54
		.amdhsa_next_free_sgpr 36
		.amdhsa_named_barrier_count 0
		.amdhsa_reserve_vcc 1
		.amdhsa_float_round_mode_32 0
		.amdhsa_float_round_mode_16_64 0
		.amdhsa_float_denorm_mode_32 3
		.amdhsa_float_denorm_mode_16_64 3
		.amdhsa_fp16_overflow 0
		.amdhsa_memory_ordered 1
		.amdhsa_forward_progress 1
		.amdhsa_inst_pref_size 13
		.amdhsa_round_robin_scheduling 0
		.amdhsa_exception_fp_ieee_invalid_op 0
		.amdhsa_exception_fp_denorm_src 0
		.amdhsa_exception_fp_ieee_div_zero 0
		.amdhsa_exception_fp_ieee_overflow 0
		.amdhsa_exception_fp_ieee_underflow 0
		.amdhsa_exception_fp_ieee_inexact 0
		.amdhsa_exception_int_div_zero 0
	.end_amdhsa_kernel
	.section	.text._ZL29rocblas_internal_gemmt_kernelIlLi16ELi32ELi8ELc84ELc78ELc85ELb0ELb0EddPKPKdPKPdEviT_T9_T10_S7_lS9_S7_lS8_T11_S7_li,"axG",@progbits,_ZL29rocblas_internal_gemmt_kernelIlLi16ELi32ELi8ELc84ELc78ELc85ELb0ELb0EddPKPKdPKPdEviT_T9_T10_S7_lS9_S7_lS8_T11_S7_li,comdat
.Lfunc_end489:
	.size	_ZL29rocblas_internal_gemmt_kernelIlLi16ELi32ELi8ELc84ELc78ELc85ELb0ELb0EddPKPKdPKPdEviT_T9_T10_S7_lS9_S7_lS8_T11_S7_li, .Lfunc_end489-_ZL29rocblas_internal_gemmt_kernelIlLi16ELi32ELi8ELc84ELc78ELc85ELb0ELb0EddPKPKdPKPdEviT_T9_T10_S7_lS9_S7_lS8_T11_S7_li
                                        ; -- End function
	.set _ZL29rocblas_internal_gemmt_kernelIlLi16ELi32ELi8ELc84ELc78ELc85ELb0ELb0EddPKPKdPKPdEviT_T9_T10_S7_lS9_S7_lS8_T11_S7_li.num_vgpr, 54
	.set _ZL29rocblas_internal_gemmt_kernelIlLi16ELi32ELi8ELc84ELc78ELc85ELb0ELb0EddPKPKdPKPdEviT_T9_T10_S7_lS9_S7_lS8_T11_S7_li.num_agpr, 0
	.set _ZL29rocblas_internal_gemmt_kernelIlLi16ELi32ELi8ELc84ELc78ELc85ELb0ELb0EddPKPKdPKPdEviT_T9_T10_S7_lS9_S7_lS8_T11_S7_li.numbered_sgpr, 36
	.set _ZL29rocblas_internal_gemmt_kernelIlLi16ELi32ELi8ELc84ELc78ELc85ELb0ELb0EddPKPKdPKPdEviT_T9_T10_S7_lS9_S7_lS8_T11_S7_li.num_named_barrier, 0
	.set _ZL29rocblas_internal_gemmt_kernelIlLi16ELi32ELi8ELc84ELc78ELc85ELb0ELb0EddPKPKdPKPdEviT_T9_T10_S7_lS9_S7_lS8_T11_S7_li.private_seg_size, 0
	.set _ZL29rocblas_internal_gemmt_kernelIlLi16ELi32ELi8ELc84ELc78ELc85ELb0ELb0EddPKPKdPKPdEviT_T9_T10_S7_lS9_S7_lS8_T11_S7_li.uses_vcc, 1
	.set _ZL29rocblas_internal_gemmt_kernelIlLi16ELi32ELi8ELc84ELc78ELc85ELb0ELb0EddPKPKdPKPdEviT_T9_T10_S7_lS9_S7_lS8_T11_S7_li.uses_flat_scratch, 0
	.set _ZL29rocblas_internal_gemmt_kernelIlLi16ELi32ELi8ELc84ELc78ELc85ELb0ELb0EddPKPKdPKPdEviT_T9_T10_S7_lS9_S7_lS8_T11_S7_li.has_dyn_sized_stack, 0
	.set _ZL29rocblas_internal_gemmt_kernelIlLi16ELi32ELi8ELc84ELc78ELc85ELb0ELb0EddPKPKdPKPdEviT_T9_T10_S7_lS9_S7_lS8_T11_S7_li.has_recursion, 0
	.set _ZL29rocblas_internal_gemmt_kernelIlLi16ELi32ELi8ELc84ELc78ELc85ELb0ELb0EddPKPKdPKPdEviT_T9_T10_S7_lS9_S7_lS8_T11_S7_li.has_indirect_call, 0
	.section	.AMDGPU.csdata,"",@progbits
; Kernel info:
; codeLenInByte = 1644
; TotalNumSgprs: 38
; NumVgprs: 54
; ScratchSize: 0
; MemoryBound: 0
; FloatMode: 240
; IeeeMode: 1
; LDSByteSize: 4096 bytes/workgroup (compile time only)
; SGPRBlocks: 0
; VGPRBlocks: 3
; NumSGPRsForWavesPerEU: 38
; NumVGPRsForWavesPerEU: 54
; NamedBarCnt: 0
; Occupancy: 16
; WaveLimiterHint : 1
; COMPUTE_PGM_RSRC2:SCRATCH_EN: 0
; COMPUTE_PGM_RSRC2:USER_SGPR: 2
; COMPUTE_PGM_RSRC2:TRAP_HANDLER: 0
; COMPUTE_PGM_RSRC2:TGID_X_EN: 1
; COMPUTE_PGM_RSRC2:TGID_Y_EN: 1
; COMPUTE_PGM_RSRC2:TGID_Z_EN: 1
; COMPUTE_PGM_RSRC2:TIDIG_COMP_CNT: 1
	.section	.text._ZL29rocblas_internal_gemmt_kernelIlLi16ELi32ELi8ELc84ELc84ELc85ELb0ELb0EddPKPKdPKPdEviT_T9_T10_S7_lS9_S7_lS8_T11_S7_li,"axG",@progbits,_ZL29rocblas_internal_gemmt_kernelIlLi16ELi32ELi8ELc84ELc84ELc85ELb0ELb0EddPKPKdPKPdEviT_T9_T10_S7_lS9_S7_lS8_T11_S7_li,comdat
	.globl	_ZL29rocblas_internal_gemmt_kernelIlLi16ELi32ELi8ELc84ELc84ELc85ELb0ELb0EddPKPKdPKPdEviT_T9_T10_S7_lS9_S7_lS8_T11_S7_li ; -- Begin function _ZL29rocblas_internal_gemmt_kernelIlLi16ELi32ELi8ELc84ELc84ELc85ELb0ELb0EddPKPKdPKPdEviT_T9_T10_S7_lS9_S7_lS8_T11_S7_li
	.p2align	8
	.type	_ZL29rocblas_internal_gemmt_kernelIlLi16ELi32ELi8ELc84ELc84ELc85ELb0ELb0EddPKPKdPKPdEviT_T9_T10_S7_lS9_S7_lS8_T11_S7_li,@function
_ZL29rocblas_internal_gemmt_kernelIlLi16ELi32ELi8ELc84ELc84ELc85ELb0ELb0EddPKPKdPKPdEviT_T9_T10_S7_lS9_S7_lS8_T11_S7_li: ; @_ZL29rocblas_internal_gemmt_kernelIlLi16ELi32ELi8ELc84ELc84ELc85ELb0ELb0EddPKPKdPKPdEviT_T9_T10_S7_lS9_S7_lS8_T11_S7_li
; %bb.0:
	s_clause 0x1
	s_load_b256 s[24:31], s[0:1], 0x48
	s_load_b512 s[8:23], s[0:1], 0x8
	s_wait_kmcnt 0x0
	v_cmp_neq_f64_e64 s2, s[24:25], 1.0
	s_and_b32 vcc_lo, exec_lo, s2
	s_cbranch_vccnz .LBB490_2
; %bb.1:
	v_cmp_neq_f64_e64 s2, s[10:11], 0
	s_cmp_lg_u64 s[8:9], 0
	s_cselect_b32 s3, -1, 0
	s_delay_alu instid0(SALU_CYCLE_1)
	s_and_b32 s2, s3, s2
.LBB490_2:
	s_delay_alu instid0(SALU_CYCLE_1)
	s_and_not1_b32 vcc_lo, exec_lo, s2
	s_cbranch_vccnz .LBB490_35
; %bb.3:
	s_load_b32 s33, s[0:1], 0x68
	s_bfe_u32 s2, ttmp6, 0x40014
	s_lshr_b32 s3, ttmp7, 16
	s_add_co_i32 s2, s2, 1
	s_bfe_u32 s5, ttmp6, 0x40008
	s_mul_i32 s4, s3, s2
	s_getreg_b32 s2, hwreg(HW_REG_IB_STS2, 6, 4)
	s_add_co_i32 s5, s5, s4
	s_cmp_eq_u32 s2, 0
	s_mov_b32 s7, 0
	s_cselect_b32 s6, s3, s5
	s_wait_kmcnt 0x0
	s_cmp_ge_u32 s6, s33
	s_cbranch_scc1 .LBB490_35
; %bb.4:
	s_load_b32 s3, s[0:1], 0x0
	s_wait_xcnt 0x0
	s_bfe_u32 s1, ttmp6, 0x4000c
	s_bfe_u32 s4, ttmp6, 0x40010
	s_add_co_i32 s1, s1, 1
	s_and_b32 s5, ttmp7, 0xffff
	s_add_co_i32 s4, s4, 1
	v_and_b32_e32 v15, 0x3ff, v0
	v_bfe_u32 v20, v0, 10, 10
	s_and_b32 s0, ttmp6, 15
	s_mul_i32 s1, ttmp9, s1
	s_mul_i32 s4, s5, s4
	s_bfe_u32 s34, ttmp6, 0x40004
	s_add_co_i32 s0, s0, s1
	s_add_co_i32 s34, s34, s4
	s_cmp_eq_u32 s2, 0
	v_lshl_add_u32 v1, v20, 4, v15
	s_cselect_b32 s1, s5, s34
	s_cselect_b32 s0, ttmp9, s0
	s_lshl_b32 s1, s1, 5
	s_lshl_b32 s2, s0, 5
	v_dual_add_nc_u32 v16, s1, v20 :: v_dual_bitop2_b32 v3, 31, v1 bitop3:0x40
	v_lshrrev_b32_e32 v5, 3, v1
	v_cmp_neq_f64_e64 s37, s[10:11], 0
	v_cmp_neq_f64_e64 s34, s[24:25], 0
	s_delay_alu instid0(VALU_DEP_4) | instskip(NEXT) | instid1(VALU_DEP_4)
	v_dual_add_nc_u32 v18, 16, v16 :: v_dual_bitop2_b32 v12, s2, v3 bitop3:0x54
	v_dual_add_nc_u32 v4, s1, v5 :: v_dual_ashrrev_i32 v17, 31, v16
	s_delay_alu instid0(VALU_DEP_2) | instskip(NEXT) | instid1(VALU_DEP_3)
	v_dual_lshlrev_b32 v3, 3, v3 :: v_dual_ashrrev_i32 v13, 31, v12
	v_dual_ashrrev_i32 v19, 31, v18 :: v_dual_lshrrev_b32 v2, 5, v1
	v_and_b32_e32 v0, 7, v0
	s_delay_alu instid0(VALU_DEP_4) | instskip(NEXT) | instid1(VALU_DEP_4)
	v_mul_u64_e32 v[8:9], s[28:29], v[16:17]
	v_mul_u64_e32 v[6:7], s[14:15], v[12:13]
	s_delay_alu instid0(VALU_DEP_4)
	v_mul_u64_e32 v[10:11], s[28:29], v[18:19]
	s_wait_kmcnt 0x0
	v_cmp_gt_i32_e64 s0, s3, v12
	v_dual_lshlrev_b32 v1, 3, v0 :: v_dual_add_nc_u32 v12, s2, v15
	v_cmp_gt_i32_e32 vcc_lo, s3, v16
	v_cmp_gt_i64_e64 s14, s[8:9], 0
	v_cmp_gt_i32_e64 s1, s3, v4
	s_delay_alu instid0(VALU_DEP_4)
	v_lshl_or_b32 v5, v5, 6, v1
	v_cmp_le_i32_e64 s2, v12, v16
	v_dual_add_nc_u32 v14, 16, v12 :: v_dual_lshlrev_b32 v36, 3, v15
	v_cmp_gt_i32_e64 s3, s3, v18
	v_cmp_le_i32_e64 s4, v12, v18
	s_and_b32 s28, vcc_lo, s2
	v_cmp_le_i32_e64 s2, v14, v16
	v_cmp_le_i32_e64 s5, v14, v18
	v_lshl_or_b32 v1, v2, 8, v3
	v_add_nc_u32_e32 v3, 0x800, v5
	v_dual_ashrrev_i32 v5, 31, v4 :: v_dual_ashrrev_i32 v15, 31, v14
	v_lshl_add_u32 v37, v20, 6, 0x800
	v_dual_ashrrev_i32 v13, 31, v12 :: v_dual_mov_b32 v17, 0
	s_and_b32 s29, vcc_lo, s2
	s_and_b32 s35, s3, s4
	s_and_b32 s36, s3, s5
	;; [unrolled: 1-line block ×3, first 2 shown]
	s_lshl_b64 s[2:3], s[22:23], 3
	s_lshl_b64 s[4:5], s[16:17], 3
	;; [unrolled: 1-line block ×3, first 2 shown]
	s_branch .LBB490_6
.LBB490_5:                              ;   in Loop: Header=BB490_6 Depth=1
	s_wait_xcnt 0x0
	s_or_b32 exec_lo, exec_lo, s16
	s_add_co_i32 s6, s6, 0x10000
	s_delay_alu instid0(SALU_CYCLE_1)
	s_cmp_lt_u32 s6, s33
	s_cbranch_scc0 .LBB490_35
.LBB490_6:                              ; =>This Loop Header: Depth=1
                                        ;     Child Loop BB490_9 Depth 2
	v_mov_b32_e32 v16, s6
	v_mov_b64_e32 v[26:27], 0
	v_mov_b64_e32 v[22:23], 0
	;; [unrolled: 1-line block ×4, first 2 shown]
	global_load_b64 v[24:25], v16, s[26:27] scale_offset
	s_and_not1_b32 vcc_lo, exec_lo, s37
	s_cbranch_vccnz .LBB490_15
; %bb.7:                                ;   in Loop: Header=BB490_6 Depth=1
	s_lshl_b64 s[16:17], s[6:7], 3
	v_mov_b64_e32 v[22:23], 0
	s_add_nc_u64 s[22:23], s[12:13], s[16:17]
	s_add_nc_u64 s[16:17], s[18:19], s[16:17]
	s_clause 0x1
	global_load_b64 v[18:19], v17, s[22:23]
	global_load_b64 v[20:21], v17, s[16:17]
	v_mov_b64_e32 v[26:27], 0
	s_wait_xcnt 0x0
	s_mov_b64 s[16:17], 0
	s_wait_loadcnt 0x1
	v_add_nc_u64_e32 v[28:29], s[4:5], v[18:19]
	s_wait_loadcnt 0x0
	v_add_nc_u64_e32 v[30:31], s[2:3], v[20:21]
	v_mov_b64_e32 v[18:19], 0
	v_mov_b64_e32 v[20:21], 0
	s_delay_alu instid0(VALU_DEP_4) | instskip(NEXT) | instid1(VALU_DEP_4)
	v_lshl_add_u64 v[28:29], v[6:7], 3, v[28:29]
	v_lshl_add_u64 v[30:31], v[4:5], 3, v[30:31]
	s_branch .LBB490_9
.LBB490_8:                              ;   in Loop: Header=BB490_9 Depth=2
	s_wait_xcnt 0x0
	s_or_b32 exec_lo, exec_lo, s22
	s_wait_loadcnt_dscnt 0x0
	ds_store_b64 v3, v[34:35]
	s_wait_dscnt 0x0
	s_barrier_signal -1
	s_barrier_wait -1
	ds_load_b128 v[32:35], v37
	ds_load_2addr_b64 v[38:41], v36 offset1:16
	ds_load_b128 v[42:45], v37 offset:1024
	ds_load_b128 v[46:49], v37 offset:16
	;; [unrolled: 1-line block ×3, first 2 shown]
	s_add_nc_u64 s[16:17], s[16:17], 8
	s_delay_alu instid0(SALU_CYCLE_1)
	v_cmp_gt_i64_e64 s22, s[8:9], s[16:17]
	s_and_b32 vcc_lo, exec_lo, s22
	s_wait_dscnt 0x3
	v_fmac_f64_e32 v[26:27], v[38:39], v[32:33]
	v_fmac_f64_e32 v[22:23], v[40:41], v[32:33]
	s_wait_dscnt 0x2
	v_fmac_f64_e32 v[20:21], v[38:39], v[42:43]
	v_fmac_f64_e32 v[18:19], v[40:41], v[42:43]
	ds_load_2addr_b64 v[38:41], v36 offset0:32 offset1:48
	s_wait_dscnt 0x0
	v_fmac_f64_e32 v[26:27], v[38:39], v[34:35]
	v_fmac_f64_e32 v[22:23], v[40:41], v[34:35]
	v_fmac_f64_e32 v[20:21], v[38:39], v[44:45]
	v_fmac_f64_e32 v[18:19], v[40:41], v[44:45]
	ds_load_2addr_b64 v[32:35], v36 offset0:64 offset1:80
	s_wait_dscnt 0x0
	v_fmac_f64_e32 v[26:27], v[32:33], v[46:47]
	v_fmac_f64_e32 v[22:23], v[34:35], v[46:47]
	;; [unrolled: 6-line block ×3, first 2 shown]
	v_fmac_f64_e32 v[20:21], v[32:33], v[52:53]
	v_fmac_f64_e32 v[18:19], v[34:35], v[52:53]
	ds_load_b128 v[32:35], v37 offset:32
	ds_load_2addr_b64 v[38:41], v36 offset0:128 offset1:144
	ds_load_b128 v[42:45], v37 offset:1056
	ds_load_b128 v[46:49], v37 offset:48
	;; [unrolled: 1-line block ×3, first 2 shown]
	s_wait_dscnt 0x3
	v_fmac_f64_e32 v[26:27], v[38:39], v[32:33]
	v_fmac_f64_e32 v[22:23], v[40:41], v[32:33]
	s_wait_dscnt 0x2
	v_fmac_f64_e32 v[20:21], v[38:39], v[42:43]
	v_fmac_f64_e32 v[18:19], v[40:41], v[42:43]
	ds_load_2addr_b64 v[38:41], v36 offset0:160 offset1:176
	s_wait_dscnt 0x0
	v_fmac_f64_e32 v[26:27], v[38:39], v[34:35]
	v_fmac_f64_e32 v[22:23], v[40:41], v[34:35]
	;; [unrolled: 1-line block ×4, first 2 shown]
	ds_load_2addr_b64 v[32:35], v36 offset0:192 offset1:208
	s_wait_dscnt 0x0
	v_fmac_f64_e32 v[26:27], v[32:33], v[46:47]
	v_fmac_f64_e32 v[22:23], v[34:35], v[46:47]
	;; [unrolled: 1-line block ×4, first 2 shown]
	ds_load_2addr_b64 v[32:35], v36 offset0:224 offset1:240
	s_wait_dscnt 0x0
	s_barrier_signal -1
	s_barrier_wait -1
	v_fmac_f64_e32 v[26:27], v[32:33], v[48:49]
	v_fmac_f64_e32 v[22:23], v[34:35], v[48:49]
	;; [unrolled: 1-line block ×4, first 2 shown]
	s_cbranch_vccz .LBB490_15
.LBB490_9:                              ;   Parent Loop BB490_6 Depth=1
                                        ; =>  This Inner Loop Header: Depth=2
	v_mov_b64_e32 v[32:33], 0
	s_and_saveexec_b32 s22, s0
	s_cbranch_execz .LBB490_13
; %bb.10:                               ;   in Loop: Header=BB490_9 Depth=2
	v_mov_b64_e32 v[32:33], 0
	v_add_nc_u32_e32 v16, s16, v2
	s_mov_b32 s23, exec_lo
	s_delay_alu instid0(VALU_DEP_1)
	v_cmpx_gt_u64_e64 s[8:9], v[16:17]
	s_cbranch_execz .LBB490_12
; %bb.11:                               ;   in Loop: Header=BB490_9 Depth=2
	v_lshl_add_u64 v[32:33], v[16:17], 3, v[28:29]
	flat_load_b64 v[32:33], v[32:33]
.LBB490_12:                             ;   in Loop: Header=BB490_9 Depth=2
	s_wait_xcnt 0x0
	s_or_b32 exec_lo, exec_lo, s23
.LBB490_13:                             ;   in Loop: Header=BB490_9 Depth=2
	s_delay_alu instid0(SALU_CYCLE_1)
	s_or_b32 exec_lo, exec_lo, s22
	v_add_nc_u32_e32 v16, s16, v0
	v_mov_b64_e32 v[34:35], 0
	s_wait_loadcnt_dscnt 0x0
	ds_store_b64 v1, v[32:33]
	v_cmp_gt_u64_e32 vcc_lo, s[8:9], v[16:17]
	s_and_b32 s23, vcc_lo, s1
	s_delay_alu instid0(SALU_CYCLE_1)
	s_and_saveexec_b32 s22, s23
	s_cbranch_execz .LBB490_8
; %bb.14:                               ;   in Loop: Header=BB490_9 Depth=2
	v_mul_u64_e32 v[32:33], s[20:21], v[16:17]
	s_delay_alu instid0(VALU_DEP_1)
	v_lshl_add_u64 v[32:33], v[32:33], 3, v[30:31]
	flat_load_b64 v[34:35], v[32:33]
	s_branch .LBB490_8
.LBB490_15:                             ;   in Loop: Header=BB490_6 Depth=1
	s_wait_loadcnt 0x0
	v_add_nc_u64_e32 v[24:25], s[14:15], v[24:25]
	s_delay_alu instid0(VALU_DEP_1)
	v_lshl_add_u64 v[28:29], v[8:9], 3, v[24:25]
	s_wait_xcnt 0x0
	s_and_saveexec_b32 s16, s28
	s_cbranch_execz .LBB490_19
; %bb.16:                               ;   in Loop: Header=BB490_6 Depth=1
	v_mul_f64_e32 v[26:27], s[10:11], v[26:27]
	v_lshl_add_u64 v[30:31], v[12:13], 3, v[28:29]
	s_and_b32 vcc_lo, exec_lo, s34
	s_cbranch_vccz .LBB490_30
; %bb.17:                               ;   in Loop: Header=BB490_6 Depth=1
	flat_load_b64 v[32:33], v[30:31]
	s_wait_loadcnt_dscnt 0x0
	v_fma_f64 v[32:33], s[24:25], v[32:33], v[26:27]
	flat_store_b64 v[30:31], v[32:33]
	s_cbranch_execnz .LBB490_19
.LBB490_18:                             ;   in Loop: Header=BB490_6 Depth=1
	flat_store_b64 v[30:31], v[26:27]
.LBB490_19:                             ;   in Loop: Header=BB490_6 Depth=1
	s_wait_xcnt 0x0
	s_or_b32 exec_lo, exec_lo, s16
	s_and_saveexec_b32 s16, s29
	s_cbranch_execz .LBB490_23
; %bb.20:                               ;   in Loop: Header=BB490_6 Depth=1
	v_mul_f64_e32 v[22:23], s[10:11], v[22:23]
	v_lshl_add_u64 v[26:27], v[14:15], 3, v[28:29]
	s_and_not1_b32 vcc_lo, exec_lo, s34
	s_cbranch_vccnz .LBB490_31
; %bb.21:                               ;   in Loop: Header=BB490_6 Depth=1
	flat_load_b64 v[28:29], v[26:27]
	s_wait_loadcnt_dscnt 0x0
	v_fma_f64 v[28:29], s[24:25], v[28:29], v[22:23]
	flat_store_b64 v[26:27], v[28:29]
	s_cbranch_execnz .LBB490_23
.LBB490_22:                             ;   in Loop: Header=BB490_6 Depth=1
	flat_store_b64 v[26:27], v[22:23]
.LBB490_23:                             ;   in Loop: Header=BB490_6 Depth=1
	s_wait_xcnt 0x0
	s_or_b32 exec_lo, exec_lo, s16
	v_lshl_add_u64 v[22:23], v[10:11], 3, v[24:25]
	s_and_saveexec_b32 s16, s35
	s_cbranch_execz .LBB490_27
; %bb.24:                               ;   in Loop: Header=BB490_6 Depth=1
	v_mul_f64_e32 v[20:21], s[10:11], v[20:21]
	s_delay_alu instid0(VALU_DEP_2)
	v_lshl_add_u64 v[24:25], v[12:13], 3, v[22:23]
	s_and_not1_b32 vcc_lo, exec_lo, s34
	s_cbranch_vccnz .LBB490_32
; %bb.25:                               ;   in Loop: Header=BB490_6 Depth=1
	flat_load_b64 v[26:27], v[24:25]
	s_wait_loadcnt_dscnt 0x0
	v_fma_f64 v[26:27], s[24:25], v[26:27], v[20:21]
	flat_store_b64 v[24:25], v[26:27]
	s_cbranch_execnz .LBB490_27
.LBB490_26:                             ;   in Loop: Header=BB490_6 Depth=1
	flat_store_b64 v[24:25], v[20:21]
.LBB490_27:                             ;   in Loop: Header=BB490_6 Depth=1
	s_wait_xcnt 0x0
	s_or_b32 exec_lo, exec_lo, s16
	s_and_saveexec_b32 s16, s36
	s_cbranch_execz .LBB490_5
; %bb.28:                               ;   in Loop: Header=BB490_6 Depth=1
	s_delay_alu instid0(VALU_DEP_4)
	v_mul_f64_e32 v[18:19], s[10:11], v[18:19]
	v_lshl_add_u64 v[20:21], v[14:15], 3, v[22:23]
	s_and_not1_b32 vcc_lo, exec_lo, s34
	s_cbranch_vccnz .LBB490_33
; %bb.29:                               ;   in Loop: Header=BB490_6 Depth=1
	flat_load_b64 v[22:23], v[20:21]
	s_wait_loadcnt_dscnt 0x0
	v_fma_f64 v[22:23], s[24:25], v[22:23], v[18:19]
	flat_store_b64 v[20:21], v[22:23]
	s_cbranch_execnz .LBB490_5
	s_branch .LBB490_34
.LBB490_30:                             ;   in Loop: Header=BB490_6 Depth=1
	s_branch .LBB490_18
.LBB490_31:                             ;   in Loop: Header=BB490_6 Depth=1
	s_branch .LBB490_22
.LBB490_32:                             ;   in Loop: Header=BB490_6 Depth=1
	s_branch .LBB490_26
.LBB490_33:                             ;   in Loop: Header=BB490_6 Depth=1
.LBB490_34:                             ;   in Loop: Header=BB490_6 Depth=1
	flat_store_b64 v[20:21], v[18:19]
	s_branch .LBB490_5
.LBB490_35:
	s_endpgm
	.section	.rodata,"a",@progbits
	.p2align	6, 0x0
	.amdhsa_kernel _ZL29rocblas_internal_gemmt_kernelIlLi16ELi32ELi8ELc84ELc84ELc85ELb0ELb0EddPKPKdPKPdEviT_T9_T10_S7_lS9_S7_lS8_T11_S7_li
		.amdhsa_group_segment_fixed_size 4096
		.amdhsa_private_segment_fixed_size 0
		.amdhsa_kernarg_size 108
		.amdhsa_user_sgpr_count 2
		.amdhsa_user_sgpr_dispatch_ptr 0
		.amdhsa_user_sgpr_queue_ptr 0
		.amdhsa_user_sgpr_kernarg_segment_ptr 1
		.amdhsa_user_sgpr_dispatch_id 0
		.amdhsa_user_sgpr_kernarg_preload_length 0
		.amdhsa_user_sgpr_kernarg_preload_offset 0
		.amdhsa_user_sgpr_private_segment_size 0
		.amdhsa_wavefront_size32 1
		.amdhsa_uses_dynamic_stack 0
		.amdhsa_enable_private_segment 0
		.amdhsa_system_sgpr_workgroup_id_x 1
		.amdhsa_system_sgpr_workgroup_id_y 1
		.amdhsa_system_sgpr_workgroup_id_z 1
		.amdhsa_system_sgpr_workgroup_info 0
		.amdhsa_system_vgpr_workitem_id 1
		.amdhsa_next_free_vgpr 54
		.amdhsa_next_free_sgpr 38
		.amdhsa_named_barrier_count 0
		.amdhsa_reserve_vcc 1
		.amdhsa_float_round_mode_32 0
		.amdhsa_float_round_mode_16_64 0
		.amdhsa_float_denorm_mode_32 3
		.amdhsa_float_denorm_mode_16_64 3
		.amdhsa_fp16_overflow 0
		.amdhsa_memory_ordered 1
		.amdhsa_forward_progress 1
		.amdhsa_inst_pref_size 13
		.amdhsa_round_robin_scheduling 0
		.amdhsa_exception_fp_ieee_invalid_op 0
		.amdhsa_exception_fp_denorm_src 0
		.amdhsa_exception_fp_ieee_div_zero 0
		.amdhsa_exception_fp_ieee_overflow 0
		.amdhsa_exception_fp_ieee_underflow 0
		.amdhsa_exception_fp_ieee_inexact 0
		.amdhsa_exception_int_div_zero 0
	.end_amdhsa_kernel
	.section	.text._ZL29rocblas_internal_gemmt_kernelIlLi16ELi32ELi8ELc84ELc84ELc85ELb0ELb0EddPKPKdPKPdEviT_T9_T10_S7_lS9_S7_lS8_T11_S7_li,"axG",@progbits,_ZL29rocblas_internal_gemmt_kernelIlLi16ELi32ELi8ELc84ELc84ELc85ELb0ELb0EddPKPKdPKPdEviT_T9_T10_S7_lS9_S7_lS8_T11_S7_li,comdat
.Lfunc_end490:
	.size	_ZL29rocblas_internal_gemmt_kernelIlLi16ELi32ELi8ELc84ELc84ELc85ELb0ELb0EddPKPKdPKPdEviT_T9_T10_S7_lS9_S7_lS8_T11_S7_li, .Lfunc_end490-_ZL29rocblas_internal_gemmt_kernelIlLi16ELi32ELi8ELc84ELc84ELc85ELb0ELb0EddPKPKdPKPdEviT_T9_T10_S7_lS9_S7_lS8_T11_S7_li
                                        ; -- End function
	.set _ZL29rocblas_internal_gemmt_kernelIlLi16ELi32ELi8ELc84ELc84ELc85ELb0ELb0EddPKPKdPKPdEviT_T9_T10_S7_lS9_S7_lS8_T11_S7_li.num_vgpr, 54
	.set _ZL29rocblas_internal_gemmt_kernelIlLi16ELi32ELi8ELc84ELc84ELc85ELb0ELb0EddPKPKdPKPdEviT_T9_T10_S7_lS9_S7_lS8_T11_S7_li.num_agpr, 0
	.set _ZL29rocblas_internal_gemmt_kernelIlLi16ELi32ELi8ELc84ELc84ELc85ELb0ELb0EddPKPKdPKPdEviT_T9_T10_S7_lS9_S7_lS8_T11_S7_li.numbered_sgpr, 38
	.set _ZL29rocblas_internal_gemmt_kernelIlLi16ELi32ELi8ELc84ELc84ELc85ELb0ELb0EddPKPKdPKPdEviT_T9_T10_S7_lS9_S7_lS8_T11_S7_li.num_named_barrier, 0
	.set _ZL29rocblas_internal_gemmt_kernelIlLi16ELi32ELi8ELc84ELc84ELc85ELb0ELb0EddPKPKdPKPdEviT_T9_T10_S7_lS9_S7_lS8_T11_S7_li.private_seg_size, 0
	.set _ZL29rocblas_internal_gemmt_kernelIlLi16ELi32ELi8ELc84ELc84ELc85ELb0ELb0EddPKPKdPKPdEviT_T9_T10_S7_lS9_S7_lS8_T11_S7_li.uses_vcc, 1
	.set _ZL29rocblas_internal_gemmt_kernelIlLi16ELi32ELi8ELc84ELc84ELc85ELb0ELb0EddPKPKdPKPdEviT_T9_T10_S7_lS9_S7_lS8_T11_S7_li.uses_flat_scratch, 0
	.set _ZL29rocblas_internal_gemmt_kernelIlLi16ELi32ELi8ELc84ELc84ELc85ELb0ELb0EddPKPKdPKPdEviT_T9_T10_S7_lS9_S7_lS8_T11_S7_li.has_dyn_sized_stack, 0
	.set _ZL29rocblas_internal_gemmt_kernelIlLi16ELi32ELi8ELc84ELc84ELc85ELb0ELb0EddPKPKdPKPdEviT_T9_T10_S7_lS9_S7_lS8_T11_S7_li.has_recursion, 0
	.set _ZL29rocblas_internal_gemmt_kernelIlLi16ELi32ELi8ELc84ELc84ELc85ELb0ELb0EddPKPKdPKPdEviT_T9_T10_S7_lS9_S7_lS8_T11_S7_li.has_indirect_call, 0
	.section	.AMDGPU.csdata,"",@progbits
; Kernel info:
; codeLenInByte = 1656
; TotalNumSgprs: 40
; NumVgprs: 54
; ScratchSize: 0
; MemoryBound: 0
; FloatMode: 240
; IeeeMode: 1
; LDSByteSize: 4096 bytes/workgroup (compile time only)
; SGPRBlocks: 0
; VGPRBlocks: 3
; NumSGPRsForWavesPerEU: 40
; NumVGPRsForWavesPerEU: 54
; NamedBarCnt: 0
; Occupancy: 16
; WaveLimiterHint : 1
; COMPUTE_PGM_RSRC2:SCRATCH_EN: 0
; COMPUTE_PGM_RSRC2:USER_SGPR: 2
; COMPUTE_PGM_RSRC2:TRAP_HANDLER: 0
; COMPUTE_PGM_RSRC2:TGID_X_EN: 1
; COMPUTE_PGM_RSRC2:TGID_Y_EN: 1
; COMPUTE_PGM_RSRC2:TGID_Z_EN: 1
; COMPUTE_PGM_RSRC2:TIDIG_COMP_CNT: 1
	.section	.text._ZL29rocblas_internal_gemmt_kernelIlLi16ELi32ELi8ELc84ELc67ELc85ELb0ELb0EddPKPKdPKPdEviT_T9_T10_S7_lS9_S7_lS8_T11_S7_li,"axG",@progbits,_ZL29rocblas_internal_gemmt_kernelIlLi16ELi32ELi8ELc84ELc67ELc85ELb0ELb0EddPKPKdPKPdEviT_T9_T10_S7_lS9_S7_lS8_T11_S7_li,comdat
	.globl	_ZL29rocblas_internal_gemmt_kernelIlLi16ELi32ELi8ELc84ELc67ELc85ELb0ELb0EddPKPKdPKPdEviT_T9_T10_S7_lS9_S7_lS8_T11_S7_li ; -- Begin function _ZL29rocblas_internal_gemmt_kernelIlLi16ELi32ELi8ELc84ELc67ELc85ELb0ELb0EddPKPKdPKPdEviT_T9_T10_S7_lS9_S7_lS8_T11_S7_li
	.p2align	8
	.type	_ZL29rocblas_internal_gemmt_kernelIlLi16ELi32ELi8ELc84ELc67ELc85ELb0ELb0EddPKPKdPKPdEviT_T9_T10_S7_lS9_S7_lS8_T11_S7_li,@function
_ZL29rocblas_internal_gemmt_kernelIlLi16ELi32ELi8ELc84ELc67ELc85ELb0ELb0EddPKPKdPKPdEviT_T9_T10_S7_lS9_S7_lS8_T11_S7_li: ; @_ZL29rocblas_internal_gemmt_kernelIlLi16ELi32ELi8ELc84ELc67ELc85ELb0ELb0EddPKPKdPKPdEviT_T9_T10_S7_lS9_S7_lS8_T11_S7_li
; %bb.0:
	s_clause 0x1
	s_load_b256 s[24:31], s[0:1], 0x48
	s_load_b512 s[8:23], s[0:1], 0x8
	s_wait_kmcnt 0x0
	v_cmp_neq_f64_e64 s2, s[24:25], 1.0
	s_and_b32 vcc_lo, exec_lo, s2
	s_cbranch_vccnz .LBB491_2
; %bb.1:
	v_cmp_neq_f64_e64 s2, s[10:11], 0
	s_cmp_lg_u64 s[8:9], 0
	s_cselect_b32 s3, -1, 0
	s_delay_alu instid0(SALU_CYCLE_1)
	s_and_b32 s2, s3, s2
.LBB491_2:
	s_delay_alu instid0(SALU_CYCLE_1)
	s_and_not1_b32 vcc_lo, exec_lo, s2
	s_cbranch_vccnz .LBB491_35
; %bb.3:
	s_load_b32 s33, s[0:1], 0x68
	s_bfe_u32 s2, ttmp6, 0x40014
	s_lshr_b32 s3, ttmp7, 16
	s_add_co_i32 s2, s2, 1
	s_bfe_u32 s5, ttmp6, 0x40008
	s_mul_i32 s4, s3, s2
	s_getreg_b32 s2, hwreg(HW_REG_IB_STS2, 6, 4)
	s_add_co_i32 s5, s5, s4
	s_cmp_eq_u32 s2, 0
	s_mov_b32 s7, 0
	s_cselect_b32 s6, s3, s5
	s_wait_kmcnt 0x0
	s_cmp_ge_u32 s6, s33
	s_cbranch_scc1 .LBB491_35
; %bb.4:
	s_load_b32 s3, s[0:1], 0x0
	s_wait_xcnt 0x0
	s_bfe_u32 s1, ttmp6, 0x4000c
	s_bfe_u32 s4, ttmp6, 0x40010
	s_add_co_i32 s1, s1, 1
	s_and_b32 s5, ttmp7, 0xffff
	s_add_co_i32 s4, s4, 1
	v_and_b32_e32 v15, 0x3ff, v0
	v_bfe_u32 v20, v0, 10, 10
	s_and_b32 s0, ttmp6, 15
	s_mul_i32 s1, ttmp9, s1
	s_mul_i32 s4, s5, s4
	s_bfe_u32 s34, ttmp6, 0x40004
	s_add_co_i32 s0, s0, s1
	s_add_co_i32 s34, s34, s4
	s_cmp_eq_u32 s2, 0
	v_lshl_add_u32 v1, v20, 4, v15
	s_cselect_b32 s1, s5, s34
	s_cselect_b32 s0, ttmp9, s0
	s_lshl_b32 s1, s1, 5
	s_lshl_b32 s2, s0, 5
	v_dual_add_nc_u32 v16, s1, v20 :: v_dual_bitop2_b32 v3, 31, v1 bitop3:0x40
	v_lshrrev_b32_e32 v5, 3, v1
	v_cmp_neq_f64_e64 s37, s[10:11], 0
	v_cmp_neq_f64_e64 s34, s[24:25], 0
	s_delay_alu instid0(VALU_DEP_4) | instskip(NEXT) | instid1(VALU_DEP_4)
	v_dual_add_nc_u32 v18, 16, v16 :: v_dual_bitop2_b32 v12, s2, v3 bitop3:0x54
	v_dual_add_nc_u32 v4, s1, v5 :: v_dual_ashrrev_i32 v17, 31, v16
	s_delay_alu instid0(VALU_DEP_2) | instskip(NEXT) | instid1(VALU_DEP_3)
	v_dual_lshlrev_b32 v3, 3, v3 :: v_dual_ashrrev_i32 v13, 31, v12
	v_dual_ashrrev_i32 v19, 31, v18 :: v_dual_lshrrev_b32 v2, 5, v1
	v_and_b32_e32 v0, 7, v0
	s_delay_alu instid0(VALU_DEP_4) | instskip(NEXT) | instid1(VALU_DEP_4)
	v_mul_u64_e32 v[8:9], s[28:29], v[16:17]
	v_mul_u64_e32 v[6:7], s[14:15], v[12:13]
	s_delay_alu instid0(VALU_DEP_4)
	v_mul_u64_e32 v[10:11], s[28:29], v[18:19]
	s_wait_kmcnt 0x0
	v_cmp_gt_i32_e64 s0, s3, v12
	v_dual_lshlrev_b32 v1, 3, v0 :: v_dual_add_nc_u32 v12, s2, v15
	v_cmp_gt_i32_e32 vcc_lo, s3, v16
	v_cmp_gt_i64_e64 s14, s[8:9], 0
	v_cmp_gt_i32_e64 s1, s3, v4
	s_delay_alu instid0(VALU_DEP_4)
	v_lshl_or_b32 v5, v5, 6, v1
	v_cmp_le_i32_e64 s2, v12, v16
	v_dual_add_nc_u32 v14, 16, v12 :: v_dual_lshlrev_b32 v36, 3, v15
	v_cmp_gt_i32_e64 s3, s3, v18
	v_cmp_le_i32_e64 s4, v12, v18
	s_and_b32 s28, vcc_lo, s2
	v_cmp_le_i32_e64 s2, v14, v16
	v_cmp_le_i32_e64 s5, v14, v18
	v_lshl_or_b32 v1, v2, 8, v3
	v_add_nc_u32_e32 v3, 0x800, v5
	v_dual_ashrrev_i32 v5, 31, v4 :: v_dual_ashrrev_i32 v15, 31, v14
	v_lshl_add_u32 v37, v20, 6, 0x800
	v_dual_ashrrev_i32 v13, 31, v12 :: v_dual_mov_b32 v17, 0
	s_and_b32 s29, vcc_lo, s2
	s_and_b32 s35, s3, s4
	s_and_b32 s36, s3, s5
	s_and_b32 s37, s37, s14
	s_lshl_b64 s[2:3], s[22:23], 3
	s_lshl_b64 s[4:5], s[16:17], 3
	;; [unrolled: 1-line block ×3, first 2 shown]
	s_branch .LBB491_6
.LBB491_5:                              ;   in Loop: Header=BB491_6 Depth=1
	s_wait_xcnt 0x0
	s_or_b32 exec_lo, exec_lo, s16
	s_add_co_i32 s6, s6, 0x10000
	s_delay_alu instid0(SALU_CYCLE_1)
	s_cmp_lt_u32 s6, s33
	s_cbranch_scc0 .LBB491_35
.LBB491_6:                              ; =>This Loop Header: Depth=1
                                        ;     Child Loop BB491_9 Depth 2
	v_mov_b32_e32 v16, s6
	v_mov_b64_e32 v[26:27], 0
	v_mov_b64_e32 v[22:23], 0
	;; [unrolled: 1-line block ×4, first 2 shown]
	global_load_b64 v[24:25], v16, s[26:27] scale_offset
	s_and_not1_b32 vcc_lo, exec_lo, s37
	s_cbranch_vccnz .LBB491_15
; %bb.7:                                ;   in Loop: Header=BB491_6 Depth=1
	s_lshl_b64 s[16:17], s[6:7], 3
	v_mov_b64_e32 v[22:23], 0
	s_add_nc_u64 s[22:23], s[12:13], s[16:17]
	s_add_nc_u64 s[16:17], s[18:19], s[16:17]
	s_clause 0x1
	global_load_b64 v[18:19], v17, s[22:23]
	global_load_b64 v[20:21], v17, s[16:17]
	v_mov_b64_e32 v[26:27], 0
	s_wait_xcnt 0x0
	s_mov_b64 s[16:17], 0
	s_wait_loadcnt 0x1
	v_add_nc_u64_e32 v[28:29], s[4:5], v[18:19]
	s_wait_loadcnt 0x0
	v_add_nc_u64_e32 v[30:31], s[2:3], v[20:21]
	v_mov_b64_e32 v[18:19], 0
	v_mov_b64_e32 v[20:21], 0
	s_delay_alu instid0(VALU_DEP_4) | instskip(NEXT) | instid1(VALU_DEP_4)
	v_lshl_add_u64 v[28:29], v[6:7], 3, v[28:29]
	v_lshl_add_u64 v[30:31], v[4:5], 3, v[30:31]
	s_branch .LBB491_9
.LBB491_8:                              ;   in Loop: Header=BB491_9 Depth=2
	s_wait_xcnt 0x0
	s_or_b32 exec_lo, exec_lo, s22
	s_wait_loadcnt_dscnt 0x0
	ds_store_b64 v3, v[34:35]
	s_wait_dscnt 0x0
	s_barrier_signal -1
	s_barrier_wait -1
	ds_load_b128 v[32:35], v37
	ds_load_2addr_b64 v[38:41], v36 offset1:16
	ds_load_b128 v[42:45], v37 offset:1024
	ds_load_b128 v[46:49], v37 offset:16
	;; [unrolled: 1-line block ×3, first 2 shown]
	s_add_nc_u64 s[16:17], s[16:17], 8
	s_delay_alu instid0(SALU_CYCLE_1)
	v_cmp_gt_i64_e64 s22, s[8:9], s[16:17]
	s_and_b32 vcc_lo, exec_lo, s22
	s_wait_dscnt 0x3
	v_fmac_f64_e32 v[26:27], v[38:39], v[32:33]
	v_fmac_f64_e32 v[22:23], v[40:41], v[32:33]
	s_wait_dscnt 0x2
	v_fmac_f64_e32 v[20:21], v[38:39], v[42:43]
	v_fmac_f64_e32 v[18:19], v[40:41], v[42:43]
	ds_load_2addr_b64 v[38:41], v36 offset0:32 offset1:48
	s_wait_dscnt 0x0
	v_fmac_f64_e32 v[26:27], v[38:39], v[34:35]
	v_fmac_f64_e32 v[22:23], v[40:41], v[34:35]
	v_fmac_f64_e32 v[20:21], v[38:39], v[44:45]
	v_fmac_f64_e32 v[18:19], v[40:41], v[44:45]
	ds_load_2addr_b64 v[32:35], v36 offset0:64 offset1:80
	s_wait_dscnt 0x0
	v_fmac_f64_e32 v[26:27], v[32:33], v[46:47]
	v_fmac_f64_e32 v[22:23], v[34:35], v[46:47]
	;; [unrolled: 6-line block ×3, first 2 shown]
	v_fmac_f64_e32 v[20:21], v[32:33], v[52:53]
	v_fmac_f64_e32 v[18:19], v[34:35], v[52:53]
	ds_load_b128 v[32:35], v37 offset:32
	ds_load_2addr_b64 v[38:41], v36 offset0:128 offset1:144
	ds_load_b128 v[42:45], v37 offset:1056
	ds_load_b128 v[46:49], v37 offset:48
	;; [unrolled: 1-line block ×3, first 2 shown]
	s_wait_dscnt 0x3
	v_fmac_f64_e32 v[26:27], v[38:39], v[32:33]
	v_fmac_f64_e32 v[22:23], v[40:41], v[32:33]
	s_wait_dscnt 0x2
	v_fmac_f64_e32 v[20:21], v[38:39], v[42:43]
	v_fmac_f64_e32 v[18:19], v[40:41], v[42:43]
	ds_load_2addr_b64 v[38:41], v36 offset0:160 offset1:176
	s_wait_dscnt 0x0
	v_fmac_f64_e32 v[26:27], v[38:39], v[34:35]
	v_fmac_f64_e32 v[22:23], v[40:41], v[34:35]
	;; [unrolled: 1-line block ×4, first 2 shown]
	ds_load_2addr_b64 v[32:35], v36 offset0:192 offset1:208
	s_wait_dscnt 0x0
	v_fmac_f64_e32 v[26:27], v[32:33], v[46:47]
	v_fmac_f64_e32 v[22:23], v[34:35], v[46:47]
	;; [unrolled: 1-line block ×4, first 2 shown]
	ds_load_2addr_b64 v[32:35], v36 offset0:224 offset1:240
	s_wait_dscnt 0x0
	s_barrier_signal -1
	s_barrier_wait -1
	v_fmac_f64_e32 v[26:27], v[32:33], v[48:49]
	v_fmac_f64_e32 v[22:23], v[34:35], v[48:49]
	;; [unrolled: 1-line block ×4, first 2 shown]
	s_cbranch_vccz .LBB491_15
.LBB491_9:                              ;   Parent Loop BB491_6 Depth=1
                                        ; =>  This Inner Loop Header: Depth=2
	v_mov_b64_e32 v[32:33], 0
	s_and_saveexec_b32 s22, s0
	s_cbranch_execz .LBB491_13
; %bb.10:                               ;   in Loop: Header=BB491_9 Depth=2
	v_mov_b64_e32 v[32:33], 0
	v_add_nc_u32_e32 v16, s16, v2
	s_mov_b32 s23, exec_lo
	s_delay_alu instid0(VALU_DEP_1)
	v_cmpx_gt_u64_e64 s[8:9], v[16:17]
	s_cbranch_execz .LBB491_12
; %bb.11:                               ;   in Loop: Header=BB491_9 Depth=2
	v_lshl_add_u64 v[32:33], v[16:17], 3, v[28:29]
	flat_load_b64 v[32:33], v[32:33]
.LBB491_12:                             ;   in Loop: Header=BB491_9 Depth=2
	s_wait_xcnt 0x0
	s_or_b32 exec_lo, exec_lo, s23
.LBB491_13:                             ;   in Loop: Header=BB491_9 Depth=2
	s_delay_alu instid0(SALU_CYCLE_1)
	s_or_b32 exec_lo, exec_lo, s22
	v_add_nc_u32_e32 v16, s16, v0
	v_mov_b64_e32 v[34:35], 0
	s_wait_loadcnt_dscnt 0x0
	ds_store_b64 v1, v[32:33]
	v_cmp_gt_u64_e32 vcc_lo, s[8:9], v[16:17]
	s_and_b32 s23, vcc_lo, s1
	s_delay_alu instid0(SALU_CYCLE_1)
	s_and_saveexec_b32 s22, s23
	s_cbranch_execz .LBB491_8
; %bb.14:                               ;   in Loop: Header=BB491_9 Depth=2
	v_mul_u64_e32 v[32:33], s[20:21], v[16:17]
	s_delay_alu instid0(VALU_DEP_1)
	v_lshl_add_u64 v[32:33], v[32:33], 3, v[30:31]
	flat_load_b64 v[34:35], v[32:33]
	s_branch .LBB491_8
.LBB491_15:                             ;   in Loop: Header=BB491_6 Depth=1
	s_wait_loadcnt 0x0
	v_add_nc_u64_e32 v[24:25], s[14:15], v[24:25]
	s_delay_alu instid0(VALU_DEP_1)
	v_lshl_add_u64 v[28:29], v[8:9], 3, v[24:25]
	s_wait_xcnt 0x0
	s_and_saveexec_b32 s16, s28
	s_cbranch_execz .LBB491_19
; %bb.16:                               ;   in Loop: Header=BB491_6 Depth=1
	v_mul_f64_e32 v[26:27], s[10:11], v[26:27]
	v_lshl_add_u64 v[30:31], v[12:13], 3, v[28:29]
	s_and_b32 vcc_lo, exec_lo, s34
	s_cbranch_vccz .LBB491_30
; %bb.17:                               ;   in Loop: Header=BB491_6 Depth=1
	flat_load_b64 v[32:33], v[30:31]
	s_wait_loadcnt_dscnt 0x0
	v_fma_f64 v[32:33], s[24:25], v[32:33], v[26:27]
	flat_store_b64 v[30:31], v[32:33]
	s_cbranch_execnz .LBB491_19
.LBB491_18:                             ;   in Loop: Header=BB491_6 Depth=1
	flat_store_b64 v[30:31], v[26:27]
.LBB491_19:                             ;   in Loop: Header=BB491_6 Depth=1
	s_wait_xcnt 0x0
	s_or_b32 exec_lo, exec_lo, s16
	s_and_saveexec_b32 s16, s29
	s_cbranch_execz .LBB491_23
; %bb.20:                               ;   in Loop: Header=BB491_6 Depth=1
	v_mul_f64_e32 v[22:23], s[10:11], v[22:23]
	v_lshl_add_u64 v[26:27], v[14:15], 3, v[28:29]
	s_and_not1_b32 vcc_lo, exec_lo, s34
	s_cbranch_vccnz .LBB491_31
; %bb.21:                               ;   in Loop: Header=BB491_6 Depth=1
	flat_load_b64 v[28:29], v[26:27]
	s_wait_loadcnt_dscnt 0x0
	v_fma_f64 v[28:29], s[24:25], v[28:29], v[22:23]
	flat_store_b64 v[26:27], v[28:29]
	s_cbranch_execnz .LBB491_23
.LBB491_22:                             ;   in Loop: Header=BB491_6 Depth=1
	flat_store_b64 v[26:27], v[22:23]
.LBB491_23:                             ;   in Loop: Header=BB491_6 Depth=1
	s_wait_xcnt 0x0
	s_or_b32 exec_lo, exec_lo, s16
	v_lshl_add_u64 v[22:23], v[10:11], 3, v[24:25]
	s_and_saveexec_b32 s16, s35
	s_cbranch_execz .LBB491_27
; %bb.24:                               ;   in Loop: Header=BB491_6 Depth=1
	v_mul_f64_e32 v[20:21], s[10:11], v[20:21]
	s_delay_alu instid0(VALU_DEP_2)
	v_lshl_add_u64 v[24:25], v[12:13], 3, v[22:23]
	s_and_not1_b32 vcc_lo, exec_lo, s34
	s_cbranch_vccnz .LBB491_32
; %bb.25:                               ;   in Loop: Header=BB491_6 Depth=1
	flat_load_b64 v[26:27], v[24:25]
	s_wait_loadcnt_dscnt 0x0
	v_fma_f64 v[26:27], s[24:25], v[26:27], v[20:21]
	flat_store_b64 v[24:25], v[26:27]
	s_cbranch_execnz .LBB491_27
.LBB491_26:                             ;   in Loop: Header=BB491_6 Depth=1
	flat_store_b64 v[24:25], v[20:21]
.LBB491_27:                             ;   in Loop: Header=BB491_6 Depth=1
	s_wait_xcnt 0x0
	s_or_b32 exec_lo, exec_lo, s16
	s_and_saveexec_b32 s16, s36
	s_cbranch_execz .LBB491_5
; %bb.28:                               ;   in Loop: Header=BB491_6 Depth=1
	s_delay_alu instid0(VALU_DEP_4)
	v_mul_f64_e32 v[18:19], s[10:11], v[18:19]
	v_lshl_add_u64 v[20:21], v[14:15], 3, v[22:23]
	s_and_not1_b32 vcc_lo, exec_lo, s34
	s_cbranch_vccnz .LBB491_33
; %bb.29:                               ;   in Loop: Header=BB491_6 Depth=1
	flat_load_b64 v[22:23], v[20:21]
	s_wait_loadcnt_dscnt 0x0
	v_fma_f64 v[22:23], s[24:25], v[22:23], v[18:19]
	flat_store_b64 v[20:21], v[22:23]
	s_cbranch_execnz .LBB491_5
	s_branch .LBB491_34
.LBB491_30:                             ;   in Loop: Header=BB491_6 Depth=1
	s_branch .LBB491_18
.LBB491_31:                             ;   in Loop: Header=BB491_6 Depth=1
	s_branch .LBB491_22
.LBB491_32:                             ;   in Loop: Header=BB491_6 Depth=1
	s_branch .LBB491_26
.LBB491_33:                             ;   in Loop: Header=BB491_6 Depth=1
.LBB491_34:                             ;   in Loop: Header=BB491_6 Depth=1
	flat_store_b64 v[20:21], v[18:19]
	s_branch .LBB491_5
.LBB491_35:
	s_endpgm
	.section	.rodata,"a",@progbits
	.p2align	6, 0x0
	.amdhsa_kernel _ZL29rocblas_internal_gemmt_kernelIlLi16ELi32ELi8ELc84ELc67ELc85ELb0ELb0EddPKPKdPKPdEviT_T9_T10_S7_lS9_S7_lS8_T11_S7_li
		.amdhsa_group_segment_fixed_size 4096
		.amdhsa_private_segment_fixed_size 0
		.amdhsa_kernarg_size 108
		.amdhsa_user_sgpr_count 2
		.amdhsa_user_sgpr_dispatch_ptr 0
		.amdhsa_user_sgpr_queue_ptr 0
		.amdhsa_user_sgpr_kernarg_segment_ptr 1
		.amdhsa_user_sgpr_dispatch_id 0
		.amdhsa_user_sgpr_kernarg_preload_length 0
		.amdhsa_user_sgpr_kernarg_preload_offset 0
		.amdhsa_user_sgpr_private_segment_size 0
		.amdhsa_wavefront_size32 1
		.amdhsa_uses_dynamic_stack 0
		.amdhsa_enable_private_segment 0
		.amdhsa_system_sgpr_workgroup_id_x 1
		.amdhsa_system_sgpr_workgroup_id_y 1
		.amdhsa_system_sgpr_workgroup_id_z 1
		.amdhsa_system_sgpr_workgroup_info 0
		.amdhsa_system_vgpr_workitem_id 1
		.amdhsa_next_free_vgpr 54
		.amdhsa_next_free_sgpr 38
		.amdhsa_named_barrier_count 0
		.amdhsa_reserve_vcc 1
		.amdhsa_float_round_mode_32 0
		.amdhsa_float_round_mode_16_64 0
		.amdhsa_float_denorm_mode_32 3
		.amdhsa_float_denorm_mode_16_64 3
		.amdhsa_fp16_overflow 0
		.amdhsa_memory_ordered 1
		.amdhsa_forward_progress 1
		.amdhsa_inst_pref_size 13
		.amdhsa_round_robin_scheduling 0
		.amdhsa_exception_fp_ieee_invalid_op 0
		.amdhsa_exception_fp_denorm_src 0
		.amdhsa_exception_fp_ieee_div_zero 0
		.amdhsa_exception_fp_ieee_overflow 0
		.amdhsa_exception_fp_ieee_underflow 0
		.amdhsa_exception_fp_ieee_inexact 0
		.amdhsa_exception_int_div_zero 0
	.end_amdhsa_kernel
	.section	.text._ZL29rocblas_internal_gemmt_kernelIlLi16ELi32ELi8ELc84ELc67ELc85ELb0ELb0EddPKPKdPKPdEviT_T9_T10_S7_lS9_S7_lS8_T11_S7_li,"axG",@progbits,_ZL29rocblas_internal_gemmt_kernelIlLi16ELi32ELi8ELc84ELc67ELc85ELb0ELb0EddPKPKdPKPdEviT_T9_T10_S7_lS9_S7_lS8_T11_S7_li,comdat
.Lfunc_end491:
	.size	_ZL29rocblas_internal_gemmt_kernelIlLi16ELi32ELi8ELc84ELc67ELc85ELb0ELb0EddPKPKdPKPdEviT_T9_T10_S7_lS9_S7_lS8_T11_S7_li, .Lfunc_end491-_ZL29rocblas_internal_gemmt_kernelIlLi16ELi32ELi8ELc84ELc67ELc85ELb0ELb0EddPKPKdPKPdEviT_T9_T10_S7_lS9_S7_lS8_T11_S7_li
                                        ; -- End function
	.set _ZL29rocblas_internal_gemmt_kernelIlLi16ELi32ELi8ELc84ELc67ELc85ELb0ELb0EddPKPKdPKPdEviT_T9_T10_S7_lS9_S7_lS8_T11_S7_li.num_vgpr, 54
	.set _ZL29rocblas_internal_gemmt_kernelIlLi16ELi32ELi8ELc84ELc67ELc85ELb0ELb0EddPKPKdPKPdEviT_T9_T10_S7_lS9_S7_lS8_T11_S7_li.num_agpr, 0
	.set _ZL29rocblas_internal_gemmt_kernelIlLi16ELi32ELi8ELc84ELc67ELc85ELb0ELb0EddPKPKdPKPdEviT_T9_T10_S7_lS9_S7_lS8_T11_S7_li.numbered_sgpr, 38
	.set _ZL29rocblas_internal_gemmt_kernelIlLi16ELi32ELi8ELc84ELc67ELc85ELb0ELb0EddPKPKdPKPdEviT_T9_T10_S7_lS9_S7_lS8_T11_S7_li.num_named_barrier, 0
	.set _ZL29rocblas_internal_gemmt_kernelIlLi16ELi32ELi8ELc84ELc67ELc85ELb0ELb0EddPKPKdPKPdEviT_T9_T10_S7_lS9_S7_lS8_T11_S7_li.private_seg_size, 0
	.set _ZL29rocblas_internal_gemmt_kernelIlLi16ELi32ELi8ELc84ELc67ELc85ELb0ELb0EddPKPKdPKPdEviT_T9_T10_S7_lS9_S7_lS8_T11_S7_li.uses_vcc, 1
	.set _ZL29rocblas_internal_gemmt_kernelIlLi16ELi32ELi8ELc84ELc67ELc85ELb0ELb0EddPKPKdPKPdEviT_T9_T10_S7_lS9_S7_lS8_T11_S7_li.uses_flat_scratch, 0
	.set _ZL29rocblas_internal_gemmt_kernelIlLi16ELi32ELi8ELc84ELc67ELc85ELb0ELb0EddPKPKdPKPdEviT_T9_T10_S7_lS9_S7_lS8_T11_S7_li.has_dyn_sized_stack, 0
	.set _ZL29rocblas_internal_gemmt_kernelIlLi16ELi32ELi8ELc84ELc67ELc85ELb0ELb0EddPKPKdPKPdEviT_T9_T10_S7_lS9_S7_lS8_T11_S7_li.has_recursion, 0
	.set _ZL29rocblas_internal_gemmt_kernelIlLi16ELi32ELi8ELc84ELc67ELc85ELb0ELb0EddPKPKdPKPdEviT_T9_T10_S7_lS9_S7_lS8_T11_S7_li.has_indirect_call, 0
	.section	.AMDGPU.csdata,"",@progbits
; Kernel info:
; codeLenInByte = 1656
; TotalNumSgprs: 40
; NumVgprs: 54
; ScratchSize: 0
; MemoryBound: 0
; FloatMode: 240
; IeeeMode: 1
; LDSByteSize: 4096 bytes/workgroup (compile time only)
; SGPRBlocks: 0
; VGPRBlocks: 3
; NumSGPRsForWavesPerEU: 40
; NumVGPRsForWavesPerEU: 54
; NamedBarCnt: 0
; Occupancy: 16
; WaveLimiterHint : 1
; COMPUTE_PGM_RSRC2:SCRATCH_EN: 0
; COMPUTE_PGM_RSRC2:USER_SGPR: 2
; COMPUTE_PGM_RSRC2:TRAP_HANDLER: 0
; COMPUTE_PGM_RSRC2:TGID_X_EN: 1
; COMPUTE_PGM_RSRC2:TGID_Y_EN: 1
; COMPUTE_PGM_RSRC2:TGID_Z_EN: 1
; COMPUTE_PGM_RSRC2:TIDIG_COMP_CNT: 1
	.section	.text._ZL29rocblas_internal_gemmt_kernelIlLi16ELi32ELi8ELc67ELc78ELc85ELb0ELb0EddPKPKdPKPdEviT_T9_T10_S7_lS9_S7_lS8_T11_S7_li,"axG",@progbits,_ZL29rocblas_internal_gemmt_kernelIlLi16ELi32ELi8ELc67ELc78ELc85ELb0ELb0EddPKPKdPKPdEviT_T9_T10_S7_lS9_S7_lS8_T11_S7_li,comdat
	.globl	_ZL29rocblas_internal_gemmt_kernelIlLi16ELi32ELi8ELc67ELc78ELc85ELb0ELb0EddPKPKdPKPdEviT_T9_T10_S7_lS9_S7_lS8_T11_S7_li ; -- Begin function _ZL29rocblas_internal_gemmt_kernelIlLi16ELi32ELi8ELc67ELc78ELc85ELb0ELb0EddPKPKdPKPdEviT_T9_T10_S7_lS9_S7_lS8_T11_S7_li
	.p2align	8
	.type	_ZL29rocblas_internal_gemmt_kernelIlLi16ELi32ELi8ELc67ELc78ELc85ELb0ELb0EddPKPKdPKPdEviT_T9_T10_S7_lS9_S7_lS8_T11_S7_li,@function
_ZL29rocblas_internal_gemmt_kernelIlLi16ELi32ELi8ELc67ELc78ELc85ELb0ELb0EddPKPKdPKPdEviT_T9_T10_S7_lS9_S7_lS8_T11_S7_li: ; @_ZL29rocblas_internal_gemmt_kernelIlLi16ELi32ELi8ELc67ELc78ELc85ELb0ELb0EddPKPKdPKPdEviT_T9_T10_S7_lS9_S7_lS8_T11_S7_li
; %bb.0:
	s_clause 0x1
	s_load_b256 s[24:31], s[0:1], 0x48
	s_load_b512 s[8:23], s[0:1], 0x8
	s_wait_kmcnt 0x0
	v_cmp_neq_f64_e64 s2, s[24:25], 1.0
	s_and_b32 vcc_lo, exec_lo, s2
	s_cbranch_vccnz .LBB492_2
; %bb.1:
	v_cmp_neq_f64_e64 s2, s[10:11], 0
	s_cmp_lg_u64 s[8:9], 0
	s_cselect_b32 s3, -1, 0
	s_delay_alu instid0(SALU_CYCLE_1)
	s_and_b32 s2, s3, s2
.LBB492_2:
	s_delay_alu instid0(SALU_CYCLE_1)
	s_and_not1_b32 vcc_lo, exec_lo, s2
	s_cbranch_vccnz .LBB492_35
; %bb.3:
	s_load_b32 s33, s[0:1], 0x68
	s_bfe_u32 s2, ttmp6, 0x40014
	s_lshr_b32 s3, ttmp7, 16
	s_add_co_i32 s2, s2, 1
	s_bfe_u32 s5, ttmp6, 0x40008
	s_mul_i32 s4, s3, s2
	s_getreg_b32 s2, hwreg(HW_REG_IB_STS2, 6, 4)
	s_add_co_i32 s5, s5, s4
	s_cmp_eq_u32 s2, 0
	s_mov_b32 s7, 0
	s_cselect_b32 s6, s3, s5
	s_wait_kmcnt 0x0
	s_cmp_ge_u32 s6, s33
	s_cbranch_scc1 .LBB492_35
; %bb.4:
	s_load_b32 s3, s[0:1], 0x0
	s_wait_xcnt 0x0
	s_bfe_u32 s1, ttmp6, 0x4000c
	s_bfe_u32 s5, ttmp6, 0x40010
	s_and_b32 s4, ttmp7, 0xffff
	s_add_co_i32 s1, s1, 1
	s_add_co_i32 s5, s5, 1
	v_and_b32_e32 v20, 0x3ff, v0
	v_bfe_u32 v21, v0, 10, 10
	s_and_b32 s0, ttmp6, 15
	s_mul_i32 s1, ttmp9, s1
	s_mul_i32 s5, s4, s5
	s_bfe_u32 s34, ttmp6, 0x40004
	s_add_co_i32 s0, s0, s1
	s_add_co_i32 s34, s34, s5
	s_cmp_eq_u32 s2, 0
	v_lshl_add_u32 v1, v21, 4, v20
	s_cselect_b32 s1, s4, s34
	s_cselect_b32 s0, ttmp9, s0
	s_lshl_b32 s1, s1, 5
	s_lshl_b32 s2, s0, 5
	v_dual_lshrrev_b32 v3, 3, v1 :: v_dual_bitop2_b32 v22, 31, v1 bitop3:0x40
	v_add_nc_u32_e32 v16, s1, v21
	v_lshrrev_b32_e32 v2, 5, v1
	v_cmp_neq_f64_e64 s35, s[10:11], 0
	s_delay_alu instid0(VALU_DEP_4) | instskip(NEXT) | instid1(VALU_DEP_4)
	v_dual_add_nc_u32 v14, s1, v3 :: v_dual_bitop2_b32 v12, s2, v22 bitop3:0x54
	v_dual_add_nc_u32 v18, 16, v16 :: v_dual_ashrrev_i32 v17, 31, v16
	s_delay_alu instid0(VALU_DEP_2) | instskip(NEXT) | instid1(VALU_DEP_2)
	v_dual_ashrrev_i32 v15, 31, v14 :: v_dual_bitop2_b32 v0, 7, v0 bitop3:0x40
	v_dual_ashrrev_i32 v13, 31, v12 :: v_dual_ashrrev_i32 v19, 31, v18
	s_delay_alu instid0(VALU_DEP_3)
	v_mul_u64_e32 v[8:9], s[28:29], v[16:17]
	s_wait_kmcnt 0x0
	v_cmp_gt_i32_e64 s0, s3, v12
	v_mul_u64_e32 v[6:7], s[20:21], v[14:15]
	v_mul_u64_e32 v[4:5], s[14:15], v[12:13]
	v_cmp_neq_f64_e64 s20, s[24:25], 0
	v_mul_u64_e32 v[10:11], s[28:29], v[18:19]
	v_dual_add_nc_u32 v12, s2, v20 :: v_dual_lshlrev_b32 v36, 3, v20
	v_dual_lshlrev_b32 v1, 3, v22 :: v_dual_lshlrev_b32 v13, 3, v0
	v_cmp_gt_i32_e64 s1, s3, v14
	v_cmp_gt_i32_e32 vcc_lo, s3, v16
	s_delay_alu instid0(VALU_DEP_4)
	v_cmp_le_i32_e64 s2, v12, v16
	v_add_nc_u32_e32 v14, 16, v12
	v_lshl_or_b32 v3, v3, 6, v13
	v_cmp_gt_i64_e64 s14, s[8:9], 0
	v_cmp_gt_i32_e64 s3, s3, v18
	s_and_b32 s21, vcc_lo, s2
	v_cmp_le_i32_e64 s4, v12, v18
	v_ashrrev_i32_e32 v13, 31, v12
	v_cmp_le_i32_e64 s2, v14, v16
	v_cmp_le_i32_e64 s5, v14, v18
	v_lshl_or_b32 v1, v2, 8, v1
	v_add_nc_u32_e32 v3, 0x800, v3
	v_lshl_add_u32 v37, v21, 6, 0x800
	v_dual_ashrrev_i32 v15, 31, v14 :: v_dual_mov_b32 v17, 0
	s_and_b32 s28, vcc_lo, s2
	s_and_b32 s29, s3, s4
	s_and_b32 s34, s3, s5
	;; [unrolled: 1-line block ×3, first 2 shown]
	s_lshl_b64 s[2:3], s[22:23], 3
	s_lshl_b64 s[4:5], s[16:17], 3
	;; [unrolled: 1-line block ×3, first 2 shown]
	s_branch .LBB492_6
.LBB492_5:                              ;   in Loop: Header=BB492_6 Depth=1
	s_wait_xcnt 0x0
	s_or_b32 exec_lo, exec_lo, s16
	s_add_co_i32 s6, s6, 0x10000
	s_delay_alu instid0(SALU_CYCLE_1)
	s_cmp_lt_u32 s6, s33
	s_cbranch_scc0 .LBB492_35
.LBB492_6:                              ; =>This Loop Header: Depth=1
                                        ;     Child Loop BB492_9 Depth 2
	v_mov_b32_e32 v16, s6
	v_mov_b64_e32 v[26:27], 0
	v_mov_b64_e32 v[22:23], 0
	;; [unrolled: 1-line block ×4, first 2 shown]
	global_load_b64 v[24:25], v16, s[26:27] scale_offset
	s_and_not1_b32 vcc_lo, exec_lo, s35
	s_cbranch_vccnz .LBB492_15
; %bb.7:                                ;   in Loop: Header=BB492_6 Depth=1
	s_lshl_b64 s[16:17], s[6:7], 3
	v_mov_b64_e32 v[22:23], 0
	s_add_nc_u64 s[22:23], s[12:13], s[16:17]
	s_add_nc_u64 s[16:17], s[18:19], s[16:17]
	s_clause 0x1
	global_load_b64 v[18:19], v17, s[22:23]
	global_load_b64 v[20:21], v17, s[16:17]
	v_mov_b64_e32 v[26:27], 0
	s_wait_xcnt 0x0
	s_mov_b64 s[16:17], 0
	s_wait_loadcnt 0x1
	v_add_nc_u64_e32 v[28:29], s[4:5], v[18:19]
	s_wait_loadcnt 0x0
	v_add_nc_u64_e32 v[30:31], s[2:3], v[20:21]
	v_mov_b64_e32 v[18:19], 0
	v_mov_b64_e32 v[20:21], 0
	s_delay_alu instid0(VALU_DEP_4) | instskip(NEXT) | instid1(VALU_DEP_4)
	v_lshl_add_u64 v[28:29], v[4:5], 3, v[28:29]
	v_lshl_add_u64 v[30:31], v[6:7], 3, v[30:31]
	s_branch .LBB492_9
.LBB492_8:                              ;   in Loop: Header=BB492_9 Depth=2
	s_wait_xcnt 0x0
	s_or_b32 exec_lo, exec_lo, s22
	s_wait_loadcnt_dscnt 0x0
	ds_store_b64 v3, v[34:35]
	s_wait_dscnt 0x0
	s_barrier_signal -1
	s_barrier_wait -1
	ds_load_b128 v[32:35], v37
	ds_load_2addr_b64 v[38:41], v36 offset1:16
	ds_load_b128 v[42:45], v37 offset:1024
	ds_load_b128 v[46:49], v37 offset:16
	ds_load_b128 v[50:53], v37 offset:1040
	s_add_nc_u64 s[16:17], s[16:17], 8
	s_delay_alu instid0(SALU_CYCLE_1)
	v_cmp_gt_i64_e64 s22, s[8:9], s[16:17]
	s_and_b32 vcc_lo, exec_lo, s22
	s_wait_dscnt 0x3
	v_fmac_f64_e32 v[26:27], v[38:39], v[32:33]
	v_fmac_f64_e32 v[22:23], v[40:41], v[32:33]
	s_wait_dscnt 0x2
	v_fmac_f64_e32 v[20:21], v[38:39], v[42:43]
	v_fmac_f64_e32 v[18:19], v[40:41], v[42:43]
	ds_load_2addr_b64 v[38:41], v36 offset0:32 offset1:48
	s_wait_dscnt 0x0
	v_fmac_f64_e32 v[26:27], v[38:39], v[34:35]
	v_fmac_f64_e32 v[22:23], v[40:41], v[34:35]
	v_fmac_f64_e32 v[20:21], v[38:39], v[44:45]
	v_fmac_f64_e32 v[18:19], v[40:41], v[44:45]
	ds_load_2addr_b64 v[32:35], v36 offset0:64 offset1:80
	s_wait_dscnt 0x0
	v_fmac_f64_e32 v[26:27], v[32:33], v[46:47]
	v_fmac_f64_e32 v[22:23], v[34:35], v[46:47]
	;; [unrolled: 6-line block ×3, first 2 shown]
	v_fmac_f64_e32 v[20:21], v[32:33], v[52:53]
	v_fmac_f64_e32 v[18:19], v[34:35], v[52:53]
	ds_load_b128 v[32:35], v37 offset:32
	ds_load_2addr_b64 v[38:41], v36 offset0:128 offset1:144
	ds_load_b128 v[42:45], v37 offset:1056
	ds_load_b128 v[46:49], v37 offset:48
	;; [unrolled: 1-line block ×3, first 2 shown]
	s_wait_dscnt 0x3
	v_fmac_f64_e32 v[26:27], v[38:39], v[32:33]
	v_fmac_f64_e32 v[22:23], v[40:41], v[32:33]
	s_wait_dscnt 0x2
	v_fmac_f64_e32 v[20:21], v[38:39], v[42:43]
	v_fmac_f64_e32 v[18:19], v[40:41], v[42:43]
	ds_load_2addr_b64 v[38:41], v36 offset0:160 offset1:176
	s_wait_dscnt 0x0
	v_fmac_f64_e32 v[26:27], v[38:39], v[34:35]
	v_fmac_f64_e32 v[22:23], v[40:41], v[34:35]
	;; [unrolled: 1-line block ×4, first 2 shown]
	ds_load_2addr_b64 v[32:35], v36 offset0:192 offset1:208
	s_wait_dscnt 0x0
	v_fmac_f64_e32 v[26:27], v[32:33], v[46:47]
	v_fmac_f64_e32 v[22:23], v[34:35], v[46:47]
	;; [unrolled: 1-line block ×4, first 2 shown]
	ds_load_2addr_b64 v[32:35], v36 offset0:224 offset1:240
	s_wait_dscnt 0x0
	s_barrier_signal -1
	s_barrier_wait -1
	v_fmac_f64_e32 v[26:27], v[32:33], v[48:49]
	v_fmac_f64_e32 v[22:23], v[34:35], v[48:49]
	;; [unrolled: 1-line block ×4, first 2 shown]
	s_cbranch_vccz .LBB492_15
.LBB492_9:                              ;   Parent Loop BB492_6 Depth=1
                                        ; =>  This Inner Loop Header: Depth=2
	v_mov_b64_e32 v[32:33], 0
	s_and_saveexec_b32 s22, s0
	s_cbranch_execz .LBB492_13
; %bb.10:                               ;   in Loop: Header=BB492_9 Depth=2
	v_mov_b64_e32 v[32:33], 0
	v_add_nc_u32_e32 v16, s16, v2
	s_mov_b32 s23, exec_lo
	s_delay_alu instid0(VALU_DEP_1)
	v_cmpx_gt_u64_e64 s[8:9], v[16:17]
	s_cbranch_execz .LBB492_12
; %bb.11:                               ;   in Loop: Header=BB492_9 Depth=2
	v_lshl_add_u64 v[32:33], v[16:17], 3, v[28:29]
	flat_load_b64 v[32:33], v[32:33]
.LBB492_12:                             ;   in Loop: Header=BB492_9 Depth=2
	s_wait_xcnt 0x0
	s_or_b32 exec_lo, exec_lo, s23
.LBB492_13:                             ;   in Loop: Header=BB492_9 Depth=2
	s_delay_alu instid0(SALU_CYCLE_1)
	s_or_b32 exec_lo, exec_lo, s22
	v_add_nc_u32_e32 v16, s16, v0
	v_mov_b64_e32 v[34:35], 0
	s_wait_loadcnt_dscnt 0x0
	ds_store_b64 v1, v[32:33]
	v_cmp_gt_u64_e32 vcc_lo, s[8:9], v[16:17]
	s_and_b32 s23, vcc_lo, s1
	s_delay_alu instid0(SALU_CYCLE_1)
	s_and_saveexec_b32 s22, s23
	s_cbranch_execz .LBB492_8
; %bb.14:                               ;   in Loop: Header=BB492_9 Depth=2
	v_lshl_add_u64 v[32:33], v[16:17], 3, v[30:31]
	flat_load_b64 v[34:35], v[32:33]
	s_branch .LBB492_8
.LBB492_15:                             ;   in Loop: Header=BB492_6 Depth=1
	s_wait_loadcnt 0x0
	v_add_nc_u64_e32 v[24:25], s[14:15], v[24:25]
	s_delay_alu instid0(VALU_DEP_1)
	v_lshl_add_u64 v[28:29], v[8:9], 3, v[24:25]
	s_wait_xcnt 0x0
	s_and_saveexec_b32 s16, s21
	s_cbranch_execz .LBB492_19
; %bb.16:                               ;   in Loop: Header=BB492_6 Depth=1
	v_mul_f64_e32 v[26:27], s[10:11], v[26:27]
	v_lshl_add_u64 v[30:31], v[12:13], 3, v[28:29]
	s_and_b32 vcc_lo, exec_lo, s20
	s_cbranch_vccz .LBB492_30
; %bb.17:                               ;   in Loop: Header=BB492_6 Depth=1
	flat_load_b64 v[32:33], v[30:31]
	s_wait_loadcnt_dscnt 0x0
	v_fma_f64 v[32:33], s[24:25], v[32:33], v[26:27]
	flat_store_b64 v[30:31], v[32:33]
	s_cbranch_execnz .LBB492_19
.LBB492_18:                             ;   in Loop: Header=BB492_6 Depth=1
	flat_store_b64 v[30:31], v[26:27]
.LBB492_19:                             ;   in Loop: Header=BB492_6 Depth=1
	s_wait_xcnt 0x0
	s_or_b32 exec_lo, exec_lo, s16
	s_and_saveexec_b32 s16, s28
	s_cbranch_execz .LBB492_23
; %bb.20:                               ;   in Loop: Header=BB492_6 Depth=1
	v_mul_f64_e32 v[22:23], s[10:11], v[22:23]
	v_lshl_add_u64 v[26:27], v[14:15], 3, v[28:29]
	s_and_not1_b32 vcc_lo, exec_lo, s20
	s_cbranch_vccnz .LBB492_31
; %bb.21:                               ;   in Loop: Header=BB492_6 Depth=1
	flat_load_b64 v[28:29], v[26:27]
	s_wait_loadcnt_dscnt 0x0
	v_fma_f64 v[28:29], s[24:25], v[28:29], v[22:23]
	flat_store_b64 v[26:27], v[28:29]
	s_cbranch_execnz .LBB492_23
.LBB492_22:                             ;   in Loop: Header=BB492_6 Depth=1
	flat_store_b64 v[26:27], v[22:23]
.LBB492_23:                             ;   in Loop: Header=BB492_6 Depth=1
	s_wait_xcnt 0x0
	s_or_b32 exec_lo, exec_lo, s16
	v_lshl_add_u64 v[22:23], v[10:11], 3, v[24:25]
	s_and_saveexec_b32 s16, s29
	s_cbranch_execz .LBB492_27
; %bb.24:                               ;   in Loop: Header=BB492_6 Depth=1
	v_mul_f64_e32 v[20:21], s[10:11], v[20:21]
	s_delay_alu instid0(VALU_DEP_2)
	v_lshl_add_u64 v[24:25], v[12:13], 3, v[22:23]
	s_and_not1_b32 vcc_lo, exec_lo, s20
	s_cbranch_vccnz .LBB492_32
; %bb.25:                               ;   in Loop: Header=BB492_6 Depth=1
	flat_load_b64 v[26:27], v[24:25]
	s_wait_loadcnt_dscnt 0x0
	v_fma_f64 v[26:27], s[24:25], v[26:27], v[20:21]
	flat_store_b64 v[24:25], v[26:27]
	s_cbranch_execnz .LBB492_27
.LBB492_26:                             ;   in Loop: Header=BB492_6 Depth=1
	flat_store_b64 v[24:25], v[20:21]
.LBB492_27:                             ;   in Loop: Header=BB492_6 Depth=1
	s_wait_xcnt 0x0
	s_or_b32 exec_lo, exec_lo, s16
	s_and_saveexec_b32 s16, s34
	s_cbranch_execz .LBB492_5
; %bb.28:                               ;   in Loop: Header=BB492_6 Depth=1
	s_delay_alu instid0(VALU_DEP_4)
	v_mul_f64_e32 v[18:19], s[10:11], v[18:19]
	v_lshl_add_u64 v[20:21], v[14:15], 3, v[22:23]
	s_and_not1_b32 vcc_lo, exec_lo, s20
	s_cbranch_vccnz .LBB492_33
; %bb.29:                               ;   in Loop: Header=BB492_6 Depth=1
	flat_load_b64 v[22:23], v[20:21]
	s_wait_loadcnt_dscnt 0x0
	v_fma_f64 v[22:23], s[24:25], v[22:23], v[18:19]
	flat_store_b64 v[20:21], v[22:23]
	s_cbranch_execnz .LBB492_5
	s_branch .LBB492_34
.LBB492_30:                             ;   in Loop: Header=BB492_6 Depth=1
	s_branch .LBB492_18
.LBB492_31:                             ;   in Loop: Header=BB492_6 Depth=1
	s_branch .LBB492_22
.LBB492_32:                             ;   in Loop: Header=BB492_6 Depth=1
	s_branch .LBB492_26
.LBB492_33:                             ;   in Loop: Header=BB492_6 Depth=1
.LBB492_34:                             ;   in Loop: Header=BB492_6 Depth=1
	flat_store_b64 v[20:21], v[18:19]
	s_branch .LBB492_5
.LBB492_35:
	s_endpgm
	.section	.rodata,"a",@progbits
	.p2align	6, 0x0
	.amdhsa_kernel _ZL29rocblas_internal_gemmt_kernelIlLi16ELi32ELi8ELc67ELc78ELc85ELb0ELb0EddPKPKdPKPdEviT_T9_T10_S7_lS9_S7_lS8_T11_S7_li
		.amdhsa_group_segment_fixed_size 4096
		.amdhsa_private_segment_fixed_size 0
		.amdhsa_kernarg_size 108
		.amdhsa_user_sgpr_count 2
		.amdhsa_user_sgpr_dispatch_ptr 0
		.amdhsa_user_sgpr_queue_ptr 0
		.amdhsa_user_sgpr_kernarg_segment_ptr 1
		.amdhsa_user_sgpr_dispatch_id 0
		.amdhsa_user_sgpr_kernarg_preload_length 0
		.amdhsa_user_sgpr_kernarg_preload_offset 0
		.amdhsa_user_sgpr_private_segment_size 0
		.amdhsa_wavefront_size32 1
		.amdhsa_uses_dynamic_stack 0
		.amdhsa_enable_private_segment 0
		.amdhsa_system_sgpr_workgroup_id_x 1
		.amdhsa_system_sgpr_workgroup_id_y 1
		.amdhsa_system_sgpr_workgroup_id_z 1
		.amdhsa_system_sgpr_workgroup_info 0
		.amdhsa_system_vgpr_workitem_id 1
		.amdhsa_next_free_vgpr 54
		.amdhsa_next_free_sgpr 36
		.amdhsa_named_barrier_count 0
		.amdhsa_reserve_vcc 1
		.amdhsa_float_round_mode_32 0
		.amdhsa_float_round_mode_16_64 0
		.amdhsa_float_denorm_mode_32 3
		.amdhsa_float_denorm_mode_16_64 3
		.amdhsa_fp16_overflow 0
		.amdhsa_memory_ordered 1
		.amdhsa_forward_progress 1
		.amdhsa_inst_pref_size 13
		.amdhsa_round_robin_scheduling 0
		.amdhsa_exception_fp_ieee_invalid_op 0
		.amdhsa_exception_fp_denorm_src 0
		.amdhsa_exception_fp_ieee_div_zero 0
		.amdhsa_exception_fp_ieee_overflow 0
		.amdhsa_exception_fp_ieee_underflow 0
		.amdhsa_exception_fp_ieee_inexact 0
		.amdhsa_exception_int_div_zero 0
	.end_amdhsa_kernel
	.section	.text._ZL29rocblas_internal_gemmt_kernelIlLi16ELi32ELi8ELc67ELc78ELc85ELb0ELb0EddPKPKdPKPdEviT_T9_T10_S7_lS9_S7_lS8_T11_S7_li,"axG",@progbits,_ZL29rocblas_internal_gemmt_kernelIlLi16ELi32ELi8ELc67ELc78ELc85ELb0ELb0EddPKPKdPKPdEviT_T9_T10_S7_lS9_S7_lS8_T11_S7_li,comdat
.Lfunc_end492:
	.size	_ZL29rocblas_internal_gemmt_kernelIlLi16ELi32ELi8ELc67ELc78ELc85ELb0ELb0EddPKPKdPKPdEviT_T9_T10_S7_lS9_S7_lS8_T11_S7_li, .Lfunc_end492-_ZL29rocblas_internal_gemmt_kernelIlLi16ELi32ELi8ELc67ELc78ELc85ELb0ELb0EddPKPKdPKPdEviT_T9_T10_S7_lS9_S7_lS8_T11_S7_li
                                        ; -- End function
	.set _ZL29rocblas_internal_gemmt_kernelIlLi16ELi32ELi8ELc67ELc78ELc85ELb0ELb0EddPKPKdPKPdEviT_T9_T10_S7_lS9_S7_lS8_T11_S7_li.num_vgpr, 54
	.set _ZL29rocblas_internal_gemmt_kernelIlLi16ELi32ELi8ELc67ELc78ELc85ELb0ELb0EddPKPKdPKPdEviT_T9_T10_S7_lS9_S7_lS8_T11_S7_li.num_agpr, 0
	.set _ZL29rocblas_internal_gemmt_kernelIlLi16ELi32ELi8ELc67ELc78ELc85ELb0ELb0EddPKPKdPKPdEviT_T9_T10_S7_lS9_S7_lS8_T11_S7_li.numbered_sgpr, 36
	.set _ZL29rocblas_internal_gemmt_kernelIlLi16ELi32ELi8ELc67ELc78ELc85ELb0ELb0EddPKPKdPKPdEviT_T9_T10_S7_lS9_S7_lS8_T11_S7_li.num_named_barrier, 0
	.set _ZL29rocblas_internal_gemmt_kernelIlLi16ELi32ELi8ELc67ELc78ELc85ELb0ELb0EddPKPKdPKPdEviT_T9_T10_S7_lS9_S7_lS8_T11_S7_li.private_seg_size, 0
	.set _ZL29rocblas_internal_gemmt_kernelIlLi16ELi32ELi8ELc67ELc78ELc85ELb0ELb0EddPKPKdPKPdEviT_T9_T10_S7_lS9_S7_lS8_T11_S7_li.uses_vcc, 1
	.set _ZL29rocblas_internal_gemmt_kernelIlLi16ELi32ELi8ELc67ELc78ELc85ELb0ELb0EddPKPKdPKPdEviT_T9_T10_S7_lS9_S7_lS8_T11_S7_li.uses_flat_scratch, 0
	.set _ZL29rocblas_internal_gemmt_kernelIlLi16ELi32ELi8ELc67ELc78ELc85ELb0ELb0EddPKPKdPKPdEviT_T9_T10_S7_lS9_S7_lS8_T11_S7_li.has_dyn_sized_stack, 0
	.set _ZL29rocblas_internal_gemmt_kernelIlLi16ELi32ELi8ELc67ELc78ELc85ELb0ELb0EddPKPKdPKPdEviT_T9_T10_S7_lS9_S7_lS8_T11_S7_li.has_recursion, 0
	.set _ZL29rocblas_internal_gemmt_kernelIlLi16ELi32ELi8ELc67ELc78ELc85ELb0ELb0EddPKPKdPKPdEviT_T9_T10_S7_lS9_S7_lS8_T11_S7_li.has_indirect_call, 0
	.section	.AMDGPU.csdata,"",@progbits
; Kernel info:
; codeLenInByte = 1644
; TotalNumSgprs: 38
; NumVgprs: 54
; ScratchSize: 0
; MemoryBound: 0
; FloatMode: 240
; IeeeMode: 1
; LDSByteSize: 4096 bytes/workgroup (compile time only)
; SGPRBlocks: 0
; VGPRBlocks: 3
; NumSGPRsForWavesPerEU: 38
; NumVGPRsForWavesPerEU: 54
; NamedBarCnt: 0
; Occupancy: 16
; WaveLimiterHint : 1
; COMPUTE_PGM_RSRC2:SCRATCH_EN: 0
; COMPUTE_PGM_RSRC2:USER_SGPR: 2
; COMPUTE_PGM_RSRC2:TRAP_HANDLER: 0
; COMPUTE_PGM_RSRC2:TGID_X_EN: 1
; COMPUTE_PGM_RSRC2:TGID_Y_EN: 1
; COMPUTE_PGM_RSRC2:TGID_Z_EN: 1
; COMPUTE_PGM_RSRC2:TIDIG_COMP_CNT: 1
	.section	.text._ZL29rocblas_internal_gemmt_kernelIlLi16ELi32ELi8ELc67ELc84ELc85ELb0ELb0EddPKPKdPKPdEviT_T9_T10_S7_lS9_S7_lS8_T11_S7_li,"axG",@progbits,_ZL29rocblas_internal_gemmt_kernelIlLi16ELi32ELi8ELc67ELc84ELc85ELb0ELb0EddPKPKdPKPdEviT_T9_T10_S7_lS9_S7_lS8_T11_S7_li,comdat
	.globl	_ZL29rocblas_internal_gemmt_kernelIlLi16ELi32ELi8ELc67ELc84ELc85ELb0ELb0EddPKPKdPKPdEviT_T9_T10_S7_lS9_S7_lS8_T11_S7_li ; -- Begin function _ZL29rocblas_internal_gemmt_kernelIlLi16ELi32ELi8ELc67ELc84ELc85ELb0ELb0EddPKPKdPKPdEviT_T9_T10_S7_lS9_S7_lS8_T11_S7_li
	.p2align	8
	.type	_ZL29rocblas_internal_gemmt_kernelIlLi16ELi32ELi8ELc67ELc84ELc85ELb0ELb0EddPKPKdPKPdEviT_T9_T10_S7_lS9_S7_lS8_T11_S7_li,@function
_ZL29rocblas_internal_gemmt_kernelIlLi16ELi32ELi8ELc67ELc84ELc85ELb0ELb0EddPKPKdPKPdEviT_T9_T10_S7_lS9_S7_lS8_T11_S7_li: ; @_ZL29rocblas_internal_gemmt_kernelIlLi16ELi32ELi8ELc67ELc84ELc85ELb0ELb0EddPKPKdPKPdEviT_T9_T10_S7_lS9_S7_lS8_T11_S7_li
; %bb.0:
	s_clause 0x1
	s_load_b256 s[24:31], s[0:1], 0x48
	s_load_b512 s[8:23], s[0:1], 0x8
	s_wait_kmcnt 0x0
	v_cmp_neq_f64_e64 s2, s[24:25], 1.0
	s_and_b32 vcc_lo, exec_lo, s2
	s_cbranch_vccnz .LBB493_2
; %bb.1:
	v_cmp_neq_f64_e64 s2, s[10:11], 0
	s_cmp_lg_u64 s[8:9], 0
	s_cselect_b32 s3, -1, 0
	s_delay_alu instid0(SALU_CYCLE_1)
	s_and_b32 s2, s3, s2
.LBB493_2:
	s_delay_alu instid0(SALU_CYCLE_1)
	s_and_not1_b32 vcc_lo, exec_lo, s2
	s_cbranch_vccnz .LBB493_35
; %bb.3:
	s_load_b32 s33, s[0:1], 0x68
	s_bfe_u32 s2, ttmp6, 0x40014
	s_lshr_b32 s3, ttmp7, 16
	s_add_co_i32 s2, s2, 1
	s_bfe_u32 s5, ttmp6, 0x40008
	s_mul_i32 s4, s3, s2
	s_getreg_b32 s2, hwreg(HW_REG_IB_STS2, 6, 4)
	s_add_co_i32 s5, s5, s4
	s_cmp_eq_u32 s2, 0
	s_mov_b32 s7, 0
	s_cselect_b32 s6, s3, s5
	s_wait_kmcnt 0x0
	s_cmp_ge_u32 s6, s33
	s_cbranch_scc1 .LBB493_35
; %bb.4:
	s_load_b32 s3, s[0:1], 0x0
	s_wait_xcnt 0x0
	s_bfe_u32 s1, ttmp6, 0x4000c
	s_bfe_u32 s4, ttmp6, 0x40010
	s_add_co_i32 s1, s1, 1
	s_and_b32 s5, ttmp7, 0xffff
	s_add_co_i32 s4, s4, 1
	v_and_b32_e32 v15, 0x3ff, v0
	v_bfe_u32 v20, v0, 10, 10
	s_and_b32 s0, ttmp6, 15
	s_mul_i32 s1, ttmp9, s1
	s_mul_i32 s4, s5, s4
	s_bfe_u32 s34, ttmp6, 0x40004
	s_add_co_i32 s0, s0, s1
	s_add_co_i32 s34, s34, s4
	s_cmp_eq_u32 s2, 0
	v_lshl_add_u32 v1, v20, 4, v15
	s_cselect_b32 s1, s5, s34
	s_cselect_b32 s0, ttmp9, s0
	s_lshl_b32 s1, s1, 5
	s_lshl_b32 s2, s0, 5
	v_dual_add_nc_u32 v16, s1, v20 :: v_dual_bitop2_b32 v3, 31, v1 bitop3:0x40
	v_lshrrev_b32_e32 v5, 3, v1
	v_cmp_neq_f64_e64 s37, s[10:11], 0
	v_cmp_neq_f64_e64 s34, s[24:25], 0
	s_delay_alu instid0(VALU_DEP_4) | instskip(NEXT) | instid1(VALU_DEP_4)
	v_dual_add_nc_u32 v18, 16, v16 :: v_dual_bitop2_b32 v12, s2, v3 bitop3:0x54
	v_dual_add_nc_u32 v4, s1, v5 :: v_dual_ashrrev_i32 v17, 31, v16
	s_delay_alu instid0(VALU_DEP_2) | instskip(NEXT) | instid1(VALU_DEP_3)
	v_dual_lshlrev_b32 v3, 3, v3 :: v_dual_ashrrev_i32 v13, 31, v12
	v_dual_ashrrev_i32 v19, 31, v18 :: v_dual_lshrrev_b32 v2, 5, v1
	v_and_b32_e32 v0, 7, v0
	s_delay_alu instid0(VALU_DEP_4) | instskip(NEXT) | instid1(VALU_DEP_4)
	v_mul_u64_e32 v[8:9], s[28:29], v[16:17]
	v_mul_u64_e32 v[6:7], s[14:15], v[12:13]
	s_delay_alu instid0(VALU_DEP_4)
	v_mul_u64_e32 v[10:11], s[28:29], v[18:19]
	s_wait_kmcnt 0x0
	v_cmp_gt_i32_e64 s0, s3, v12
	v_dual_lshlrev_b32 v1, 3, v0 :: v_dual_add_nc_u32 v12, s2, v15
	v_cmp_gt_i32_e32 vcc_lo, s3, v16
	v_cmp_gt_i64_e64 s14, s[8:9], 0
	v_cmp_gt_i32_e64 s1, s3, v4
	s_delay_alu instid0(VALU_DEP_4)
	v_lshl_or_b32 v5, v5, 6, v1
	v_cmp_le_i32_e64 s2, v12, v16
	v_dual_add_nc_u32 v14, 16, v12 :: v_dual_lshlrev_b32 v36, 3, v15
	v_cmp_gt_i32_e64 s3, s3, v18
	v_cmp_le_i32_e64 s4, v12, v18
	s_and_b32 s28, vcc_lo, s2
	v_cmp_le_i32_e64 s2, v14, v16
	v_cmp_le_i32_e64 s5, v14, v18
	v_lshl_or_b32 v1, v2, 8, v3
	v_add_nc_u32_e32 v3, 0x800, v5
	v_dual_ashrrev_i32 v5, 31, v4 :: v_dual_ashrrev_i32 v15, 31, v14
	v_lshl_add_u32 v37, v20, 6, 0x800
	v_dual_ashrrev_i32 v13, 31, v12 :: v_dual_mov_b32 v17, 0
	s_and_b32 s29, vcc_lo, s2
	s_and_b32 s35, s3, s4
	s_and_b32 s36, s3, s5
	;; [unrolled: 1-line block ×3, first 2 shown]
	s_lshl_b64 s[2:3], s[22:23], 3
	s_lshl_b64 s[4:5], s[16:17], 3
	;; [unrolled: 1-line block ×3, first 2 shown]
	s_branch .LBB493_6
.LBB493_5:                              ;   in Loop: Header=BB493_6 Depth=1
	s_wait_xcnt 0x0
	s_or_b32 exec_lo, exec_lo, s16
	s_add_co_i32 s6, s6, 0x10000
	s_delay_alu instid0(SALU_CYCLE_1)
	s_cmp_lt_u32 s6, s33
	s_cbranch_scc0 .LBB493_35
.LBB493_6:                              ; =>This Loop Header: Depth=1
                                        ;     Child Loop BB493_9 Depth 2
	v_mov_b32_e32 v16, s6
	v_mov_b64_e32 v[26:27], 0
	v_mov_b64_e32 v[22:23], 0
	;; [unrolled: 1-line block ×4, first 2 shown]
	global_load_b64 v[24:25], v16, s[26:27] scale_offset
	s_and_not1_b32 vcc_lo, exec_lo, s37
	s_cbranch_vccnz .LBB493_15
; %bb.7:                                ;   in Loop: Header=BB493_6 Depth=1
	s_lshl_b64 s[16:17], s[6:7], 3
	v_mov_b64_e32 v[22:23], 0
	s_add_nc_u64 s[22:23], s[12:13], s[16:17]
	s_add_nc_u64 s[16:17], s[18:19], s[16:17]
	s_clause 0x1
	global_load_b64 v[18:19], v17, s[22:23]
	global_load_b64 v[20:21], v17, s[16:17]
	v_mov_b64_e32 v[26:27], 0
	s_wait_xcnt 0x0
	s_mov_b64 s[16:17], 0
	s_wait_loadcnt 0x1
	v_add_nc_u64_e32 v[28:29], s[4:5], v[18:19]
	s_wait_loadcnt 0x0
	v_add_nc_u64_e32 v[30:31], s[2:3], v[20:21]
	v_mov_b64_e32 v[18:19], 0
	v_mov_b64_e32 v[20:21], 0
	s_delay_alu instid0(VALU_DEP_4) | instskip(NEXT) | instid1(VALU_DEP_4)
	v_lshl_add_u64 v[28:29], v[6:7], 3, v[28:29]
	v_lshl_add_u64 v[30:31], v[4:5], 3, v[30:31]
	s_branch .LBB493_9
.LBB493_8:                              ;   in Loop: Header=BB493_9 Depth=2
	s_wait_xcnt 0x0
	s_or_b32 exec_lo, exec_lo, s22
	s_wait_loadcnt_dscnt 0x0
	ds_store_b64 v3, v[34:35]
	s_wait_dscnt 0x0
	s_barrier_signal -1
	s_barrier_wait -1
	ds_load_b128 v[32:35], v37
	ds_load_2addr_b64 v[38:41], v36 offset1:16
	ds_load_b128 v[42:45], v37 offset:1024
	ds_load_b128 v[46:49], v37 offset:16
	;; [unrolled: 1-line block ×3, first 2 shown]
	s_add_nc_u64 s[16:17], s[16:17], 8
	s_delay_alu instid0(SALU_CYCLE_1)
	v_cmp_gt_i64_e64 s22, s[8:9], s[16:17]
	s_and_b32 vcc_lo, exec_lo, s22
	s_wait_dscnt 0x3
	v_fmac_f64_e32 v[26:27], v[38:39], v[32:33]
	v_fmac_f64_e32 v[22:23], v[40:41], v[32:33]
	s_wait_dscnt 0x2
	v_fmac_f64_e32 v[20:21], v[38:39], v[42:43]
	v_fmac_f64_e32 v[18:19], v[40:41], v[42:43]
	ds_load_2addr_b64 v[38:41], v36 offset0:32 offset1:48
	s_wait_dscnt 0x0
	v_fmac_f64_e32 v[26:27], v[38:39], v[34:35]
	v_fmac_f64_e32 v[22:23], v[40:41], v[34:35]
	v_fmac_f64_e32 v[20:21], v[38:39], v[44:45]
	v_fmac_f64_e32 v[18:19], v[40:41], v[44:45]
	ds_load_2addr_b64 v[32:35], v36 offset0:64 offset1:80
	s_wait_dscnt 0x0
	v_fmac_f64_e32 v[26:27], v[32:33], v[46:47]
	v_fmac_f64_e32 v[22:23], v[34:35], v[46:47]
	;; [unrolled: 6-line block ×3, first 2 shown]
	v_fmac_f64_e32 v[20:21], v[32:33], v[52:53]
	v_fmac_f64_e32 v[18:19], v[34:35], v[52:53]
	ds_load_b128 v[32:35], v37 offset:32
	ds_load_2addr_b64 v[38:41], v36 offset0:128 offset1:144
	ds_load_b128 v[42:45], v37 offset:1056
	ds_load_b128 v[46:49], v37 offset:48
	;; [unrolled: 1-line block ×3, first 2 shown]
	s_wait_dscnt 0x3
	v_fmac_f64_e32 v[26:27], v[38:39], v[32:33]
	v_fmac_f64_e32 v[22:23], v[40:41], v[32:33]
	s_wait_dscnt 0x2
	v_fmac_f64_e32 v[20:21], v[38:39], v[42:43]
	v_fmac_f64_e32 v[18:19], v[40:41], v[42:43]
	ds_load_2addr_b64 v[38:41], v36 offset0:160 offset1:176
	s_wait_dscnt 0x0
	v_fmac_f64_e32 v[26:27], v[38:39], v[34:35]
	v_fmac_f64_e32 v[22:23], v[40:41], v[34:35]
	;; [unrolled: 1-line block ×4, first 2 shown]
	ds_load_2addr_b64 v[32:35], v36 offset0:192 offset1:208
	s_wait_dscnt 0x0
	v_fmac_f64_e32 v[26:27], v[32:33], v[46:47]
	v_fmac_f64_e32 v[22:23], v[34:35], v[46:47]
	;; [unrolled: 1-line block ×4, first 2 shown]
	ds_load_2addr_b64 v[32:35], v36 offset0:224 offset1:240
	s_wait_dscnt 0x0
	s_barrier_signal -1
	s_barrier_wait -1
	v_fmac_f64_e32 v[26:27], v[32:33], v[48:49]
	v_fmac_f64_e32 v[22:23], v[34:35], v[48:49]
	;; [unrolled: 1-line block ×4, first 2 shown]
	s_cbranch_vccz .LBB493_15
.LBB493_9:                              ;   Parent Loop BB493_6 Depth=1
                                        ; =>  This Inner Loop Header: Depth=2
	v_mov_b64_e32 v[32:33], 0
	s_and_saveexec_b32 s22, s0
	s_cbranch_execz .LBB493_13
; %bb.10:                               ;   in Loop: Header=BB493_9 Depth=2
	v_mov_b64_e32 v[32:33], 0
	v_add_nc_u32_e32 v16, s16, v2
	s_mov_b32 s23, exec_lo
	s_delay_alu instid0(VALU_DEP_1)
	v_cmpx_gt_u64_e64 s[8:9], v[16:17]
	s_cbranch_execz .LBB493_12
; %bb.11:                               ;   in Loop: Header=BB493_9 Depth=2
	v_lshl_add_u64 v[32:33], v[16:17], 3, v[28:29]
	flat_load_b64 v[32:33], v[32:33]
.LBB493_12:                             ;   in Loop: Header=BB493_9 Depth=2
	s_wait_xcnt 0x0
	s_or_b32 exec_lo, exec_lo, s23
.LBB493_13:                             ;   in Loop: Header=BB493_9 Depth=2
	s_delay_alu instid0(SALU_CYCLE_1)
	s_or_b32 exec_lo, exec_lo, s22
	v_add_nc_u32_e32 v16, s16, v0
	v_mov_b64_e32 v[34:35], 0
	s_wait_loadcnt_dscnt 0x0
	ds_store_b64 v1, v[32:33]
	v_cmp_gt_u64_e32 vcc_lo, s[8:9], v[16:17]
	s_and_b32 s23, vcc_lo, s1
	s_delay_alu instid0(SALU_CYCLE_1)
	s_and_saveexec_b32 s22, s23
	s_cbranch_execz .LBB493_8
; %bb.14:                               ;   in Loop: Header=BB493_9 Depth=2
	v_mul_u64_e32 v[32:33], s[20:21], v[16:17]
	s_delay_alu instid0(VALU_DEP_1)
	v_lshl_add_u64 v[32:33], v[32:33], 3, v[30:31]
	flat_load_b64 v[34:35], v[32:33]
	s_branch .LBB493_8
.LBB493_15:                             ;   in Loop: Header=BB493_6 Depth=1
	s_wait_loadcnt 0x0
	v_add_nc_u64_e32 v[24:25], s[14:15], v[24:25]
	s_delay_alu instid0(VALU_DEP_1)
	v_lshl_add_u64 v[28:29], v[8:9], 3, v[24:25]
	s_wait_xcnt 0x0
	s_and_saveexec_b32 s16, s28
	s_cbranch_execz .LBB493_19
; %bb.16:                               ;   in Loop: Header=BB493_6 Depth=1
	v_mul_f64_e32 v[26:27], s[10:11], v[26:27]
	v_lshl_add_u64 v[30:31], v[12:13], 3, v[28:29]
	s_and_b32 vcc_lo, exec_lo, s34
	s_cbranch_vccz .LBB493_30
; %bb.17:                               ;   in Loop: Header=BB493_6 Depth=1
	flat_load_b64 v[32:33], v[30:31]
	s_wait_loadcnt_dscnt 0x0
	v_fma_f64 v[32:33], s[24:25], v[32:33], v[26:27]
	flat_store_b64 v[30:31], v[32:33]
	s_cbranch_execnz .LBB493_19
.LBB493_18:                             ;   in Loop: Header=BB493_6 Depth=1
	flat_store_b64 v[30:31], v[26:27]
.LBB493_19:                             ;   in Loop: Header=BB493_6 Depth=1
	s_wait_xcnt 0x0
	s_or_b32 exec_lo, exec_lo, s16
	s_and_saveexec_b32 s16, s29
	s_cbranch_execz .LBB493_23
; %bb.20:                               ;   in Loop: Header=BB493_6 Depth=1
	v_mul_f64_e32 v[22:23], s[10:11], v[22:23]
	v_lshl_add_u64 v[26:27], v[14:15], 3, v[28:29]
	s_and_not1_b32 vcc_lo, exec_lo, s34
	s_cbranch_vccnz .LBB493_31
; %bb.21:                               ;   in Loop: Header=BB493_6 Depth=1
	flat_load_b64 v[28:29], v[26:27]
	s_wait_loadcnt_dscnt 0x0
	v_fma_f64 v[28:29], s[24:25], v[28:29], v[22:23]
	flat_store_b64 v[26:27], v[28:29]
	s_cbranch_execnz .LBB493_23
.LBB493_22:                             ;   in Loop: Header=BB493_6 Depth=1
	flat_store_b64 v[26:27], v[22:23]
.LBB493_23:                             ;   in Loop: Header=BB493_6 Depth=1
	s_wait_xcnt 0x0
	s_or_b32 exec_lo, exec_lo, s16
	v_lshl_add_u64 v[22:23], v[10:11], 3, v[24:25]
	s_and_saveexec_b32 s16, s35
	s_cbranch_execz .LBB493_27
; %bb.24:                               ;   in Loop: Header=BB493_6 Depth=1
	v_mul_f64_e32 v[20:21], s[10:11], v[20:21]
	s_delay_alu instid0(VALU_DEP_2)
	v_lshl_add_u64 v[24:25], v[12:13], 3, v[22:23]
	s_and_not1_b32 vcc_lo, exec_lo, s34
	s_cbranch_vccnz .LBB493_32
; %bb.25:                               ;   in Loop: Header=BB493_6 Depth=1
	flat_load_b64 v[26:27], v[24:25]
	s_wait_loadcnt_dscnt 0x0
	v_fma_f64 v[26:27], s[24:25], v[26:27], v[20:21]
	flat_store_b64 v[24:25], v[26:27]
	s_cbranch_execnz .LBB493_27
.LBB493_26:                             ;   in Loop: Header=BB493_6 Depth=1
	flat_store_b64 v[24:25], v[20:21]
.LBB493_27:                             ;   in Loop: Header=BB493_6 Depth=1
	s_wait_xcnt 0x0
	s_or_b32 exec_lo, exec_lo, s16
	s_and_saveexec_b32 s16, s36
	s_cbranch_execz .LBB493_5
; %bb.28:                               ;   in Loop: Header=BB493_6 Depth=1
	s_delay_alu instid0(VALU_DEP_4)
	v_mul_f64_e32 v[18:19], s[10:11], v[18:19]
	v_lshl_add_u64 v[20:21], v[14:15], 3, v[22:23]
	s_and_not1_b32 vcc_lo, exec_lo, s34
	s_cbranch_vccnz .LBB493_33
; %bb.29:                               ;   in Loop: Header=BB493_6 Depth=1
	flat_load_b64 v[22:23], v[20:21]
	s_wait_loadcnt_dscnt 0x0
	v_fma_f64 v[22:23], s[24:25], v[22:23], v[18:19]
	flat_store_b64 v[20:21], v[22:23]
	s_cbranch_execnz .LBB493_5
	s_branch .LBB493_34
.LBB493_30:                             ;   in Loop: Header=BB493_6 Depth=1
	s_branch .LBB493_18
.LBB493_31:                             ;   in Loop: Header=BB493_6 Depth=1
	s_branch .LBB493_22
.LBB493_32:                             ;   in Loop: Header=BB493_6 Depth=1
	s_branch .LBB493_26
.LBB493_33:                             ;   in Loop: Header=BB493_6 Depth=1
.LBB493_34:                             ;   in Loop: Header=BB493_6 Depth=1
	flat_store_b64 v[20:21], v[18:19]
	s_branch .LBB493_5
.LBB493_35:
	s_endpgm
	.section	.rodata,"a",@progbits
	.p2align	6, 0x0
	.amdhsa_kernel _ZL29rocblas_internal_gemmt_kernelIlLi16ELi32ELi8ELc67ELc84ELc85ELb0ELb0EddPKPKdPKPdEviT_T9_T10_S7_lS9_S7_lS8_T11_S7_li
		.amdhsa_group_segment_fixed_size 4096
		.amdhsa_private_segment_fixed_size 0
		.amdhsa_kernarg_size 108
		.amdhsa_user_sgpr_count 2
		.amdhsa_user_sgpr_dispatch_ptr 0
		.amdhsa_user_sgpr_queue_ptr 0
		.amdhsa_user_sgpr_kernarg_segment_ptr 1
		.amdhsa_user_sgpr_dispatch_id 0
		.amdhsa_user_sgpr_kernarg_preload_length 0
		.amdhsa_user_sgpr_kernarg_preload_offset 0
		.amdhsa_user_sgpr_private_segment_size 0
		.amdhsa_wavefront_size32 1
		.amdhsa_uses_dynamic_stack 0
		.amdhsa_enable_private_segment 0
		.amdhsa_system_sgpr_workgroup_id_x 1
		.amdhsa_system_sgpr_workgroup_id_y 1
		.amdhsa_system_sgpr_workgroup_id_z 1
		.amdhsa_system_sgpr_workgroup_info 0
		.amdhsa_system_vgpr_workitem_id 1
		.amdhsa_next_free_vgpr 54
		.amdhsa_next_free_sgpr 38
		.amdhsa_named_barrier_count 0
		.amdhsa_reserve_vcc 1
		.amdhsa_float_round_mode_32 0
		.amdhsa_float_round_mode_16_64 0
		.amdhsa_float_denorm_mode_32 3
		.amdhsa_float_denorm_mode_16_64 3
		.amdhsa_fp16_overflow 0
		.amdhsa_memory_ordered 1
		.amdhsa_forward_progress 1
		.amdhsa_inst_pref_size 13
		.amdhsa_round_robin_scheduling 0
		.amdhsa_exception_fp_ieee_invalid_op 0
		.amdhsa_exception_fp_denorm_src 0
		.amdhsa_exception_fp_ieee_div_zero 0
		.amdhsa_exception_fp_ieee_overflow 0
		.amdhsa_exception_fp_ieee_underflow 0
		.amdhsa_exception_fp_ieee_inexact 0
		.amdhsa_exception_int_div_zero 0
	.end_amdhsa_kernel
	.section	.text._ZL29rocblas_internal_gemmt_kernelIlLi16ELi32ELi8ELc67ELc84ELc85ELb0ELb0EddPKPKdPKPdEviT_T9_T10_S7_lS9_S7_lS8_T11_S7_li,"axG",@progbits,_ZL29rocblas_internal_gemmt_kernelIlLi16ELi32ELi8ELc67ELc84ELc85ELb0ELb0EddPKPKdPKPdEviT_T9_T10_S7_lS9_S7_lS8_T11_S7_li,comdat
.Lfunc_end493:
	.size	_ZL29rocblas_internal_gemmt_kernelIlLi16ELi32ELi8ELc67ELc84ELc85ELb0ELb0EddPKPKdPKPdEviT_T9_T10_S7_lS9_S7_lS8_T11_S7_li, .Lfunc_end493-_ZL29rocblas_internal_gemmt_kernelIlLi16ELi32ELi8ELc67ELc84ELc85ELb0ELb0EddPKPKdPKPdEviT_T9_T10_S7_lS9_S7_lS8_T11_S7_li
                                        ; -- End function
	.set _ZL29rocblas_internal_gemmt_kernelIlLi16ELi32ELi8ELc67ELc84ELc85ELb0ELb0EddPKPKdPKPdEviT_T9_T10_S7_lS9_S7_lS8_T11_S7_li.num_vgpr, 54
	.set _ZL29rocblas_internal_gemmt_kernelIlLi16ELi32ELi8ELc67ELc84ELc85ELb0ELb0EddPKPKdPKPdEviT_T9_T10_S7_lS9_S7_lS8_T11_S7_li.num_agpr, 0
	.set _ZL29rocblas_internal_gemmt_kernelIlLi16ELi32ELi8ELc67ELc84ELc85ELb0ELb0EddPKPKdPKPdEviT_T9_T10_S7_lS9_S7_lS8_T11_S7_li.numbered_sgpr, 38
	.set _ZL29rocblas_internal_gemmt_kernelIlLi16ELi32ELi8ELc67ELc84ELc85ELb0ELb0EddPKPKdPKPdEviT_T9_T10_S7_lS9_S7_lS8_T11_S7_li.num_named_barrier, 0
	.set _ZL29rocblas_internal_gemmt_kernelIlLi16ELi32ELi8ELc67ELc84ELc85ELb0ELb0EddPKPKdPKPdEviT_T9_T10_S7_lS9_S7_lS8_T11_S7_li.private_seg_size, 0
	.set _ZL29rocblas_internal_gemmt_kernelIlLi16ELi32ELi8ELc67ELc84ELc85ELb0ELb0EddPKPKdPKPdEviT_T9_T10_S7_lS9_S7_lS8_T11_S7_li.uses_vcc, 1
	.set _ZL29rocblas_internal_gemmt_kernelIlLi16ELi32ELi8ELc67ELc84ELc85ELb0ELb0EddPKPKdPKPdEviT_T9_T10_S7_lS9_S7_lS8_T11_S7_li.uses_flat_scratch, 0
	.set _ZL29rocblas_internal_gemmt_kernelIlLi16ELi32ELi8ELc67ELc84ELc85ELb0ELb0EddPKPKdPKPdEviT_T9_T10_S7_lS9_S7_lS8_T11_S7_li.has_dyn_sized_stack, 0
	.set _ZL29rocblas_internal_gemmt_kernelIlLi16ELi32ELi8ELc67ELc84ELc85ELb0ELb0EddPKPKdPKPdEviT_T9_T10_S7_lS9_S7_lS8_T11_S7_li.has_recursion, 0
	.set _ZL29rocblas_internal_gemmt_kernelIlLi16ELi32ELi8ELc67ELc84ELc85ELb0ELb0EddPKPKdPKPdEviT_T9_T10_S7_lS9_S7_lS8_T11_S7_li.has_indirect_call, 0
	.section	.AMDGPU.csdata,"",@progbits
; Kernel info:
; codeLenInByte = 1656
; TotalNumSgprs: 40
; NumVgprs: 54
; ScratchSize: 0
; MemoryBound: 0
; FloatMode: 240
; IeeeMode: 1
; LDSByteSize: 4096 bytes/workgroup (compile time only)
; SGPRBlocks: 0
; VGPRBlocks: 3
; NumSGPRsForWavesPerEU: 40
; NumVGPRsForWavesPerEU: 54
; NamedBarCnt: 0
; Occupancy: 16
; WaveLimiterHint : 1
; COMPUTE_PGM_RSRC2:SCRATCH_EN: 0
; COMPUTE_PGM_RSRC2:USER_SGPR: 2
; COMPUTE_PGM_RSRC2:TRAP_HANDLER: 0
; COMPUTE_PGM_RSRC2:TGID_X_EN: 1
; COMPUTE_PGM_RSRC2:TGID_Y_EN: 1
; COMPUTE_PGM_RSRC2:TGID_Z_EN: 1
; COMPUTE_PGM_RSRC2:TIDIG_COMP_CNT: 1
	.section	.text._ZL29rocblas_internal_gemmt_kernelIlLi16ELi32ELi8ELc67ELc67ELc85ELb0ELb0EddPKPKdPKPdEviT_T9_T10_S7_lS9_S7_lS8_T11_S7_li,"axG",@progbits,_ZL29rocblas_internal_gemmt_kernelIlLi16ELi32ELi8ELc67ELc67ELc85ELb0ELb0EddPKPKdPKPdEviT_T9_T10_S7_lS9_S7_lS8_T11_S7_li,comdat
	.globl	_ZL29rocblas_internal_gemmt_kernelIlLi16ELi32ELi8ELc67ELc67ELc85ELb0ELb0EddPKPKdPKPdEviT_T9_T10_S7_lS9_S7_lS8_T11_S7_li ; -- Begin function _ZL29rocblas_internal_gemmt_kernelIlLi16ELi32ELi8ELc67ELc67ELc85ELb0ELb0EddPKPKdPKPdEviT_T9_T10_S7_lS9_S7_lS8_T11_S7_li
	.p2align	8
	.type	_ZL29rocblas_internal_gemmt_kernelIlLi16ELi32ELi8ELc67ELc67ELc85ELb0ELb0EddPKPKdPKPdEviT_T9_T10_S7_lS9_S7_lS8_T11_S7_li,@function
_ZL29rocblas_internal_gemmt_kernelIlLi16ELi32ELi8ELc67ELc67ELc85ELb0ELb0EddPKPKdPKPdEviT_T9_T10_S7_lS9_S7_lS8_T11_S7_li: ; @_ZL29rocblas_internal_gemmt_kernelIlLi16ELi32ELi8ELc67ELc67ELc85ELb0ELb0EddPKPKdPKPdEviT_T9_T10_S7_lS9_S7_lS8_T11_S7_li
; %bb.0:
	s_clause 0x1
	s_load_b256 s[24:31], s[0:1], 0x48
	s_load_b512 s[8:23], s[0:1], 0x8
	s_wait_kmcnt 0x0
	v_cmp_neq_f64_e64 s2, s[24:25], 1.0
	s_and_b32 vcc_lo, exec_lo, s2
	s_cbranch_vccnz .LBB494_2
; %bb.1:
	v_cmp_neq_f64_e64 s2, s[10:11], 0
	s_cmp_lg_u64 s[8:9], 0
	s_cselect_b32 s3, -1, 0
	s_delay_alu instid0(SALU_CYCLE_1)
	s_and_b32 s2, s3, s2
.LBB494_2:
	s_delay_alu instid0(SALU_CYCLE_1)
	s_and_not1_b32 vcc_lo, exec_lo, s2
	s_cbranch_vccnz .LBB494_35
; %bb.3:
	s_load_b32 s33, s[0:1], 0x68
	s_bfe_u32 s2, ttmp6, 0x40014
	s_lshr_b32 s3, ttmp7, 16
	s_add_co_i32 s2, s2, 1
	s_bfe_u32 s5, ttmp6, 0x40008
	s_mul_i32 s4, s3, s2
	s_getreg_b32 s2, hwreg(HW_REG_IB_STS2, 6, 4)
	s_add_co_i32 s5, s5, s4
	s_cmp_eq_u32 s2, 0
	s_mov_b32 s7, 0
	s_cselect_b32 s6, s3, s5
	s_wait_kmcnt 0x0
	s_cmp_ge_u32 s6, s33
	s_cbranch_scc1 .LBB494_35
; %bb.4:
	s_load_b32 s3, s[0:1], 0x0
	s_wait_xcnt 0x0
	s_bfe_u32 s1, ttmp6, 0x4000c
	s_bfe_u32 s4, ttmp6, 0x40010
	s_add_co_i32 s1, s1, 1
	s_and_b32 s5, ttmp7, 0xffff
	s_add_co_i32 s4, s4, 1
	v_and_b32_e32 v15, 0x3ff, v0
	v_bfe_u32 v20, v0, 10, 10
	s_and_b32 s0, ttmp6, 15
	s_mul_i32 s1, ttmp9, s1
	s_mul_i32 s4, s5, s4
	s_bfe_u32 s34, ttmp6, 0x40004
	s_add_co_i32 s0, s0, s1
	s_add_co_i32 s34, s34, s4
	s_cmp_eq_u32 s2, 0
	v_lshl_add_u32 v1, v20, 4, v15
	s_cselect_b32 s1, s5, s34
	s_cselect_b32 s0, ttmp9, s0
	s_lshl_b32 s1, s1, 5
	s_lshl_b32 s2, s0, 5
	v_dual_add_nc_u32 v16, s1, v20 :: v_dual_bitop2_b32 v3, 31, v1 bitop3:0x40
	v_lshrrev_b32_e32 v5, 3, v1
	v_cmp_neq_f64_e64 s37, s[10:11], 0
	v_cmp_neq_f64_e64 s34, s[24:25], 0
	s_delay_alu instid0(VALU_DEP_4) | instskip(NEXT) | instid1(VALU_DEP_4)
	v_dual_add_nc_u32 v18, 16, v16 :: v_dual_bitop2_b32 v12, s2, v3 bitop3:0x54
	v_dual_add_nc_u32 v4, s1, v5 :: v_dual_ashrrev_i32 v17, 31, v16
	s_delay_alu instid0(VALU_DEP_2) | instskip(NEXT) | instid1(VALU_DEP_3)
	v_dual_lshlrev_b32 v3, 3, v3 :: v_dual_ashrrev_i32 v13, 31, v12
	v_dual_ashrrev_i32 v19, 31, v18 :: v_dual_lshrrev_b32 v2, 5, v1
	v_and_b32_e32 v0, 7, v0
	s_delay_alu instid0(VALU_DEP_4) | instskip(NEXT) | instid1(VALU_DEP_4)
	v_mul_u64_e32 v[8:9], s[28:29], v[16:17]
	v_mul_u64_e32 v[6:7], s[14:15], v[12:13]
	s_delay_alu instid0(VALU_DEP_4)
	v_mul_u64_e32 v[10:11], s[28:29], v[18:19]
	s_wait_kmcnt 0x0
	v_cmp_gt_i32_e64 s0, s3, v12
	v_dual_lshlrev_b32 v1, 3, v0 :: v_dual_add_nc_u32 v12, s2, v15
	v_cmp_gt_i32_e32 vcc_lo, s3, v16
	v_cmp_gt_i64_e64 s14, s[8:9], 0
	v_cmp_gt_i32_e64 s1, s3, v4
	s_delay_alu instid0(VALU_DEP_4)
	v_lshl_or_b32 v5, v5, 6, v1
	v_cmp_le_i32_e64 s2, v12, v16
	v_dual_add_nc_u32 v14, 16, v12 :: v_dual_lshlrev_b32 v36, 3, v15
	v_cmp_gt_i32_e64 s3, s3, v18
	v_cmp_le_i32_e64 s4, v12, v18
	s_and_b32 s28, vcc_lo, s2
	v_cmp_le_i32_e64 s2, v14, v16
	v_cmp_le_i32_e64 s5, v14, v18
	v_lshl_or_b32 v1, v2, 8, v3
	v_add_nc_u32_e32 v3, 0x800, v5
	v_dual_ashrrev_i32 v5, 31, v4 :: v_dual_ashrrev_i32 v15, 31, v14
	v_lshl_add_u32 v37, v20, 6, 0x800
	v_dual_ashrrev_i32 v13, 31, v12 :: v_dual_mov_b32 v17, 0
	s_and_b32 s29, vcc_lo, s2
	s_and_b32 s35, s3, s4
	s_and_b32 s36, s3, s5
	s_and_b32 s37, s37, s14
	s_lshl_b64 s[2:3], s[22:23], 3
	s_lshl_b64 s[4:5], s[16:17], 3
	;; [unrolled: 1-line block ×3, first 2 shown]
	s_branch .LBB494_6
.LBB494_5:                              ;   in Loop: Header=BB494_6 Depth=1
	s_wait_xcnt 0x0
	s_or_b32 exec_lo, exec_lo, s16
	s_add_co_i32 s6, s6, 0x10000
	s_delay_alu instid0(SALU_CYCLE_1)
	s_cmp_lt_u32 s6, s33
	s_cbranch_scc0 .LBB494_35
.LBB494_6:                              ; =>This Loop Header: Depth=1
                                        ;     Child Loop BB494_9 Depth 2
	v_mov_b32_e32 v16, s6
	v_mov_b64_e32 v[26:27], 0
	v_mov_b64_e32 v[22:23], 0
	;; [unrolled: 1-line block ×4, first 2 shown]
	global_load_b64 v[24:25], v16, s[26:27] scale_offset
	s_and_not1_b32 vcc_lo, exec_lo, s37
	s_cbranch_vccnz .LBB494_15
; %bb.7:                                ;   in Loop: Header=BB494_6 Depth=1
	s_lshl_b64 s[16:17], s[6:7], 3
	v_mov_b64_e32 v[22:23], 0
	s_add_nc_u64 s[22:23], s[12:13], s[16:17]
	s_add_nc_u64 s[16:17], s[18:19], s[16:17]
	s_clause 0x1
	global_load_b64 v[18:19], v17, s[22:23]
	global_load_b64 v[20:21], v17, s[16:17]
	v_mov_b64_e32 v[26:27], 0
	s_wait_xcnt 0x0
	s_mov_b64 s[16:17], 0
	s_wait_loadcnt 0x1
	v_add_nc_u64_e32 v[28:29], s[4:5], v[18:19]
	s_wait_loadcnt 0x0
	v_add_nc_u64_e32 v[30:31], s[2:3], v[20:21]
	v_mov_b64_e32 v[18:19], 0
	v_mov_b64_e32 v[20:21], 0
	s_delay_alu instid0(VALU_DEP_4) | instskip(NEXT) | instid1(VALU_DEP_4)
	v_lshl_add_u64 v[28:29], v[6:7], 3, v[28:29]
	v_lshl_add_u64 v[30:31], v[4:5], 3, v[30:31]
	s_branch .LBB494_9
.LBB494_8:                              ;   in Loop: Header=BB494_9 Depth=2
	s_wait_xcnt 0x0
	s_or_b32 exec_lo, exec_lo, s22
	s_wait_loadcnt_dscnt 0x0
	ds_store_b64 v3, v[34:35]
	s_wait_dscnt 0x0
	s_barrier_signal -1
	s_barrier_wait -1
	ds_load_b128 v[32:35], v37
	ds_load_2addr_b64 v[38:41], v36 offset1:16
	ds_load_b128 v[42:45], v37 offset:1024
	ds_load_b128 v[46:49], v37 offset:16
	;; [unrolled: 1-line block ×3, first 2 shown]
	s_add_nc_u64 s[16:17], s[16:17], 8
	s_delay_alu instid0(SALU_CYCLE_1)
	v_cmp_gt_i64_e64 s22, s[8:9], s[16:17]
	s_and_b32 vcc_lo, exec_lo, s22
	s_wait_dscnt 0x3
	v_fmac_f64_e32 v[26:27], v[38:39], v[32:33]
	v_fmac_f64_e32 v[22:23], v[40:41], v[32:33]
	s_wait_dscnt 0x2
	v_fmac_f64_e32 v[20:21], v[38:39], v[42:43]
	v_fmac_f64_e32 v[18:19], v[40:41], v[42:43]
	ds_load_2addr_b64 v[38:41], v36 offset0:32 offset1:48
	s_wait_dscnt 0x0
	v_fmac_f64_e32 v[26:27], v[38:39], v[34:35]
	v_fmac_f64_e32 v[22:23], v[40:41], v[34:35]
	v_fmac_f64_e32 v[20:21], v[38:39], v[44:45]
	v_fmac_f64_e32 v[18:19], v[40:41], v[44:45]
	ds_load_2addr_b64 v[32:35], v36 offset0:64 offset1:80
	s_wait_dscnt 0x0
	v_fmac_f64_e32 v[26:27], v[32:33], v[46:47]
	v_fmac_f64_e32 v[22:23], v[34:35], v[46:47]
	;; [unrolled: 6-line block ×3, first 2 shown]
	v_fmac_f64_e32 v[20:21], v[32:33], v[52:53]
	v_fmac_f64_e32 v[18:19], v[34:35], v[52:53]
	ds_load_b128 v[32:35], v37 offset:32
	ds_load_2addr_b64 v[38:41], v36 offset0:128 offset1:144
	ds_load_b128 v[42:45], v37 offset:1056
	ds_load_b128 v[46:49], v37 offset:48
	;; [unrolled: 1-line block ×3, first 2 shown]
	s_wait_dscnt 0x3
	v_fmac_f64_e32 v[26:27], v[38:39], v[32:33]
	v_fmac_f64_e32 v[22:23], v[40:41], v[32:33]
	s_wait_dscnt 0x2
	v_fmac_f64_e32 v[20:21], v[38:39], v[42:43]
	v_fmac_f64_e32 v[18:19], v[40:41], v[42:43]
	ds_load_2addr_b64 v[38:41], v36 offset0:160 offset1:176
	s_wait_dscnt 0x0
	v_fmac_f64_e32 v[26:27], v[38:39], v[34:35]
	v_fmac_f64_e32 v[22:23], v[40:41], v[34:35]
	;; [unrolled: 1-line block ×4, first 2 shown]
	ds_load_2addr_b64 v[32:35], v36 offset0:192 offset1:208
	s_wait_dscnt 0x0
	v_fmac_f64_e32 v[26:27], v[32:33], v[46:47]
	v_fmac_f64_e32 v[22:23], v[34:35], v[46:47]
	;; [unrolled: 1-line block ×4, first 2 shown]
	ds_load_2addr_b64 v[32:35], v36 offset0:224 offset1:240
	s_wait_dscnt 0x0
	s_barrier_signal -1
	s_barrier_wait -1
	v_fmac_f64_e32 v[26:27], v[32:33], v[48:49]
	v_fmac_f64_e32 v[22:23], v[34:35], v[48:49]
	;; [unrolled: 1-line block ×4, first 2 shown]
	s_cbranch_vccz .LBB494_15
.LBB494_9:                              ;   Parent Loop BB494_6 Depth=1
                                        ; =>  This Inner Loop Header: Depth=2
	v_mov_b64_e32 v[32:33], 0
	s_and_saveexec_b32 s22, s0
	s_cbranch_execz .LBB494_13
; %bb.10:                               ;   in Loop: Header=BB494_9 Depth=2
	v_mov_b64_e32 v[32:33], 0
	v_add_nc_u32_e32 v16, s16, v2
	s_mov_b32 s23, exec_lo
	s_delay_alu instid0(VALU_DEP_1)
	v_cmpx_gt_u64_e64 s[8:9], v[16:17]
	s_cbranch_execz .LBB494_12
; %bb.11:                               ;   in Loop: Header=BB494_9 Depth=2
	v_lshl_add_u64 v[32:33], v[16:17], 3, v[28:29]
	flat_load_b64 v[32:33], v[32:33]
.LBB494_12:                             ;   in Loop: Header=BB494_9 Depth=2
	s_wait_xcnt 0x0
	s_or_b32 exec_lo, exec_lo, s23
.LBB494_13:                             ;   in Loop: Header=BB494_9 Depth=2
	s_delay_alu instid0(SALU_CYCLE_1)
	s_or_b32 exec_lo, exec_lo, s22
	v_add_nc_u32_e32 v16, s16, v0
	v_mov_b64_e32 v[34:35], 0
	s_wait_loadcnt_dscnt 0x0
	ds_store_b64 v1, v[32:33]
	v_cmp_gt_u64_e32 vcc_lo, s[8:9], v[16:17]
	s_and_b32 s23, vcc_lo, s1
	s_delay_alu instid0(SALU_CYCLE_1)
	s_and_saveexec_b32 s22, s23
	s_cbranch_execz .LBB494_8
; %bb.14:                               ;   in Loop: Header=BB494_9 Depth=2
	v_mul_u64_e32 v[32:33], s[20:21], v[16:17]
	s_delay_alu instid0(VALU_DEP_1)
	v_lshl_add_u64 v[32:33], v[32:33], 3, v[30:31]
	flat_load_b64 v[34:35], v[32:33]
	s_branch .LBB494_8
.LBB494_15:                             ;   in Loop: Header=BB494_6 Depth=1
	s_wait_loadcnt 0x0
	v_add_nc_u64_e32 v[24:25], s[14:15], v[24:25]
	s_delay_alu instid0(VALU_DEP_1)
	v_lshl_add_u64 v[28:29], v[8:9], 3, v[24:25]
	s_wait_xcnt 0x0
	s_and_saveexec_b32 s16, s28
	s_cbranch_execz .LBB494_19
; %bb.16:                               ;   in Loop: Header=BB494_6 Depth=1
	v_mul_f64_e32 v[26:27], s[10:11], v[26:27]
	v_lshl_add_u64 v[30:31], v[12:13], 3, v[28:29]
	s_and_b32 vcc_lo, exec_lo, s34
	s_cbranch_vccz .LBB494_30
; %bb.17:                               ;   in Loop: Header=BB494_6 Depth=1
	flat_load_b64 v[32:33], v[30:31]
	s_wait_loadcnt_dscnt 0x0
	v_fma_f64 v[32:33], s[24:25], v[32:33], v[26:27]
	flat_store_b64 v[30:31], v[32:33]
	s_cbranch_execnz .LBB494_19
.LBB494_18:                             ;   in Loop: Header=BB494_6 Depth=1
	flat_store_b64 v[30:31], v[26:27]
.LBB494_19:                             ;   in Loop: Header=BB494_6 Depth=1
	s_wait_xcnt 0x0
	s_or_b32 exec_lo, exec_lo, s16
	s_and_saveexec_b32 s16, s29
	s_cbranch_execz .LBB494_23
; %bb.20:                               ;   in Loop: Header=BB494_6 Depth=1
	v_mul_f64_e32 v[22:23], s[10:11], v[22:23]
	v_lshl_add_u64 v[26:27], v[14:15], 3, v[28:29]
	s_and_not1_b32 vcc_lo, exec_lo, s34
	s_cbranch_vccnz .LBB494_31
; %bb.21:                               ;   in Loop: Header=BB494_6 Depth=1
	flat_load_b64 v[28:29], v[26:27]
	s_wait_loadcnt_dscnt 0x0
	v_fma_f64 v[28:29], s[24:25], v[28:29], v[22:23]
	flat_store_b64 v[26:27], v[28:29]
	s_cbranch_execnz .LBB494_23
.LBB494_22:                             ;   in Loop: Header=BB494_6 Depth=1
	flat_store_b64 v[26:27], v[22:23]
.LBB494_23:                             ;   in Loop: Header=BB494_6 Depth=1
	s_wait_xcnt 0x0
	s_or_b32 exec_lo, exec_lo, s16
	v_lshl_add_u64 v[22:23], v[10:11], 3, v[24:25]
	s_and_saveexec_b32 s16, s35
	s_cbranch_execz .LBB494_27
; %bb.24:                               ;   in Loop: Header=BB494_6 Depth=1
	v_mul_f64_e32 v[20:21], s[10:11], v[20:21]
	s_delay_alu instid0(VALU_DEP_2)
	v_lshl_add_u64 v[24:25], v[12:13], 3, v[22:23]
	s_and_not1_b32 vcc_lo, exec_lo, s34
	s_cbranch_vccnz .LBB494_32
; %bb.25:                               ;   in Loop: Header=BB494_6 Depth=1
	flat_load_b64 v[26:27], v[24:25]
	s_wait_loadcnt_dscnt 0x0
	v_fma_f64 v[26:27], s[24:25], v[26:27], v[20:21]
	flat_store_b64 v[24:25], v[26:27]
	s_cbranch_execnz .LBB494_27
.LBB494_26:                             ;   in Loop: Header=BB494_6 Depth=1
	flat_store_b64 v[24:25], v[20:21]
.LBB494_27:                             ;   in Loop: Header=BB494_6 Depth=1
	s_wait_xcnt 0x0
	s_or_b32 exec_lo, exec_lo, s16
	s_and_saveexec_b32 s16, s36
	s_cbranch_execz .LBB494_5
; %bb.28:                               ;   in Loop: Header=BB494_6 Depth=1
	s_delay_alu instid0(VALU_DEP_4)
	v_mul_f64_e32 v[18:19], s[10:11], v[18:19]
	v_lshl_add_u64 v[20:21], v[14:15], 3, v[22:23]
	s_and_not1_b32 vcc_lo, exec_lo, s34
	s_cbranch_vccnz .LBB494_33
; %bb.29:                               ;   in Loop: Header=BB494_6 Depth=1
	flat_load_b64 v[22:23], v[20:21]
	s_wait_loadcnt_dscnt 0x0
	v_fma_f64 v[22:23], s[24:25], v[22:23], v[18:19]
	flat_store_b64 v[20:21], v[22:23]
	s_cbranch_execnz .LBB494_5
	s_branch .LBB494_34
.LBB494_30:                             ;   in Loop: Header=BB494_6 Depth=1
	s_branch .LBB494_18
.LBB494_31:                             ;   in Loop: Header=BB494_6 Depth=1
	s_branch .LBB494_22
.LBB494_32:                             ;   in Loop: Header=BB494_6 Depth=1
	s_branch .LBB494_26
.LBB494_33:                             ;   in Loop: Header=BB494_6 Depth=1
.LBB494_34:                             ;   in Loop: Header=BB494_6 Depth=1
	flat_store_b64 v[20:21], v[18:19]
	s_branch .LBB494_5
.LBB494_35:
	s_endpgm
	.section	.rodata,"a",@progbits
	.p2align	6, 0x0
	.amdhsa_kernel _ZL29rocblas_internal_gemmt_kernelIlLi16ELi32ELi8ELc67ELc67ELc85ELb0ELb0EddPKPKdPKPdEviT_T9_T10_S7_lS9_S7_lS8_T11_S7_li
		.amdhsa_group_segment_fixed_size 4096
		.amdhsa_private_segment_fixed_size 0
		.amdhsa_kernarg_size 108
		.amdhsa_user_sgpr_count 2
		.amdhsa_user_sgpr_dispatch_ptr 0
		.amdhsa_user_sgpr_queue_ptr 0
		.amdhsa_user_sgpr_kernarg_segment_ptr 1
		.amdhsa_user_sgpr_dispatch_id 0
		.amdhsa_user_sgpr_kernarg_preload_length 0
		.amdhsa_user_sgpr_kernarg_preload_offset 0
		.amdhsa_user_sgpr_private_segment_size 0
		.amdhsa_wavefront_size32 1
		.amdhsa_uses_dynamic_stack 0
		.amdhsa_enable_private_segment 0
		.amdhsa_system_sgpr_workgroup_id_x 1
		.amdhsa_system_sgpr_workgroup_id_y 1
		.amdhsa_system_sgpr_workgroup_id_z 1
		.amdhsa_system_sgpr_workgroup_info 0
		.amdhsa_system_vgpr_workitem_id 1
		.amdhsa_next_free_vgpr 54
		.amdhsa_next_free_sgpr 38
		.amdhsa_named_barrier_count 0
		.amdhsa_reserve_vcc 1
		.amdhsa_float_round_mode_32 0
		.amdhsa_float_round_mode_16_64 0
		.amdhsa_float_denorm_mode_32 3
		.amdhsa_float_denorm_mode_16_64 3
		.amdhsa_fp16_overflow 0
		.amdhsa_memory_ordered 1
		.amdhsa_forward_progress 1
		.amdhsa_inst_pref_size 13
		.amdhsa_round_robin_scheduling 0
		.amdhsa_exception_fp_ieee_invalid_op 0
		.amdhsa_exception_fp_denorm_src 0
		.amdhsa_exception_fp_ieee_div_zero 0
		.amdhsa_exception_fp_ieee_overflow 0
		.amdhsa_exception_fp_ieee_underflow 0
		.amdhsa_exception_fp_ieee_inexact 0
		.amdhsa_exception_int_div_zero 0
	.end_amdhsa_kernel
	.section	.text._ZL29rocblas_internal_gemmt_kernelIlLi16ELi32ELi8ELc67ELc67ELc85ELb0ELb0EddPKPKdPKPdEviT_T9_T10_S7_lS9_S7_lS8_T11_S7_li,"axG",@progbits,_ZL29rocblas_internal_gemmt_kernelIlLi16ELi32ELi8ELc67ELc67ELc85ELb0ELb0EddPKPKdPKPdEviT_T9_T10_S7_lS9_S7_lS8_T11_S7_li,comdat
.Lfunc_end494:
	.size	_ZL29rocblas_internal_gemmt_kernelIlLi16ELi32ELi8ELc67ELc67ELc85ELb0ELb0EddPKPKdPKPdEviT_T9_T10_S7_lS9_S7_lS8_T11_S7_li, .Lfunc_end494-_ZL29rocblas_internal_gemmt_kernelIlLi16ELi32ELi8ELc67ELc67ELc85ELb0ELb0EddPKPKdPKPdEviT_T9_T10_S7_lS9_S7_lS8_T11_S7_li
                                        ; -- End function
	.set _ZL29rocblas_internal_gemmt_kernelIlLi16ELi32ELi8ELc67ELc67ELc85ELb0ELb0EddPKPKdPKPdEviT_T9_T10_S7_lS9_S7_lS8_T11_S7_li.num_vgpr, 54
	.set _ZL29rocblas_internal_gemmt_kernelIlLi16ELi32ELi8ELc67ELc67ELc85ELb0ELb0EddPKPKdPKPdEviT_T9_T10_S7_lS9_S7_lS8_T11_S7_li.num_agpr, 0
	.set _ZL29rocblas_internal_gemmt_kernelIlLi16ELi32ELi8ELc67ELc67ELc85ELb0ELb0EddPKPKdPKPdEviT_T9_T10_S7_lS9_S7_lS8_T11_S7_li.numbered_sgpr, 38
	.set _ZL29rocblas_internal_gemmt_kernelIlLi16ELi32ELi8ELc67ELc67ELc85ELb0ELb0EddPKPKdPKPdEviT_T9_T10_S7_lS9_S7_lS8_T11_S7_li.num_named_barrier, 0
	.set _ZL29rocblas_internal_gemmt_kernelIlLi16ELi32ELi8ELc67ELc67ELc85ELb0ELb0EddPKPKdPKPdEviT_T9_T10_S7_lS9_S7_lS8_T11_S7_li.private_seg_size, 0
	.set _ZL29rocblas_internal_gemmt_kernelIlLi16ELi32ELi8ELc67ELc67ELc85ELb0ELb0EddPKPKdPKPdEviT_T9_T10_S7_lS9_S7_lS8_T11_S7_li.uses_vcc, 1
	.set _ZL29rocblas_internal_gemmt_kernelIlLi16ELi32ELi8ELc67ELc67ELc85ELb0ELb0EddPKPKdPKPdEviT_T9_T10_S7_lS9_S7_lS8_T11_S7_li.uses_flat_scratch, 0
	.set _ZL29rocblas_internal_gemmt_kernelIlLi16ELi32ELi8ELc67ELc67ELc85ELb0ELb0EddPKPKdPKPdEviT_T9_T10_S7_lS9_S7_lS8_T11_S7_li.has_dyn_sized_stack, 0
	.set _ZL29rocblas_internal_gemmt_kernelIlLi16ELi32ELi8ELc67ELc67ELc85ELb0ELb0EddPKPKdPKPdEviT_T9_T10_S7_lS9_S7_lS8_T11_S7_li.has_recursion, 0
	.set _ZL29rocblas_internal_gemmt_kernelIlLi16ELi32ELi8ELc67ELc67ELc85ELb0ELb0EddPKPKdPKPdEviT_T9_T10_S7_lS9_S7_lS8_T11_S7_li.has_indirect_call, 0
	.section	.AMDGPU.csdata,"",@progbits
; Kernel info:
; codeLenInByte = 1656
; TotalNumSgprs: 40
; NumVgprs: 54
; ScratchSize: 0
; MemoryBound: 0
; FloatMode: 240
; IeeeMode: 1
; LDSByteSize: 4096 bytes/workgroup (compile time only)
; SGPRBlocks: 0
; VGPRBlocks: 3
; NumSGPRsForWavesPerEU: 40
; NumVGPRsForWavesPerEU: 54
; NamedBarCnt: 0
; Occupancy: 16
; WaveLimiterHint : 1
; COMPUTE_PGM_RSRC2:SCRATCH_EN: 0
; COMPUTE_PGM_RSRC2:USER_SGPR: 2
; COMPUTE_PGM_RSRC2:TRAP_HANDLER: 0
; COMPUTE_PGM_RSRC2:TGID_X_EN: 1
; COMPUTE_PGM_RSRC2:TGID_Y_EN: 1
; COMPUTE_PGM_RSRC2:TGID_Z_EN: 1
; COMPUTE_PGM_RSRC2:TIDIG_COMP_CNT: 1
	.section	.text._ZL29rocblas_internal_gemmt_kernelIlLi16ELi32ELi8ELc78ELc78ELc76ELb0ELb0EddPKPKdPKPdEviT_T9_T10_S7_lS9_S7_lS8_T11_S7_li,"axG",@progbits,_ZL29rocblas_internal_gemmt_kernelIlLi16ELi32ELi8ELc78ELc78ELc76ELb0ELb0EddPKPKdPKPdEviT_T9_T10_S7_lS9_S7_lS8_T11_S7_li,comdat
	.globl	_ZL29rocblas_internal_gemmt_kernelIlLi16ELi32ELi8ELc78ELc78ELc76ELb0ELb0EddPKPKdPKPdEviT_T9_T10_S7_lS9_S7_lS8_T11_S7_li ; -- Begin function _ZL29rocblas_internal_gemmt_kernelIlLi16ELi32ELi8ELc78ELc78ELc76ELb0ELb0EddPKPKdPKPdEviT_T9_T10_S7_lS9_S7_lS8_T11_S7_li
	.p2align	8
	.type	_ZL29rocblas_internal_gemmt_kernelIlLi16ELi32ELi8ELc78ELc78ELc76ELb0ELb0EddPKPKdPKPdEviT_T9_T10_S7_lS9_S7_lS8_T11_S7_li,@function
_ZL29rocblas_internal_gemmt_kernelIlLi16ELi32ELi8ELc78ELc78ELc76ELb0ELb0EddPKPKdPKPdEviT_T9_T10_S7_lS9_S7_lS8_T11_S7_li: ; @_ZL29rocblas_internal_gemmt_kernelIlLi16ELi32ELi8ELc78ELc78ELc76ELb0ELb0EddPKPKdPKPdEviT_T9_T10_S7_lS9_S7_lS8_T11_S7_li
; %bb.0:
	s_clause 0x1
	s_load_b256 s[24:31], s[0:1], 0x48
	s_load_b512 s[8:23], s[0:1], 0x8
	s_wait_kmcnt 0x0
	v_cmp_neq_f64_e64 s2, s[24:25], 1.0
	s_and_b32 vcc_lo, exec_lo, s2
	s_cbranch_vccnz .LBB495_2
; %bb.1:
	v_cmp_neq_f64_e64 s2, s[10:11], 0
	s_cmp_lg_u64 s[8:9], 0
	s_cselect_b32 s3, -1, 0
	s_delay_alu instid0(SALU_CYCLE_1)
	s_and_b32 s2, s3, s2
.LBB495_2:
	s_delay_alu instid0(SALU_CYCLE_1)
	s_and_not1_b32 vcc_lo, exec_lo, s2
	s_cbranch_vccnz .LBB495_35
; %bb.3:
	s_load_b32 s33, s[0:1], 0x68
	s_bfe_u32 s2, ttmp6, 0x40014
	s_lshr_b32 s3, ttmp7, 16
	s_add_co_i32 s2, s2, 1
	s_bfe_u32 s5, ttmp6, 0x40008
	s_mul_i32 s4, s3, s2
	s_getreg_b32 s2, hwreg(HW_REG_IB_STS2, 6, 4)
	s_add_co_i32 s5, s5, s4
	s_cmp_eq_u32 s2, 0
	s_mov_b32 s7, 0
	s_cselect_b32 s6, s3, s5
	s_wait_kmcnt 0x0
	s_cmp_ge_u32 s6, s33
	s_cbranch_scc1 .LBB495_35
; %bb.4:
	s_load_b32 s4, s[0:1], 0x0
	s_wait_xcnt 0x0
	s_bfe_u32 s1, ttmp6, 0x4000c
	s_bfe_u32 s3, ttmp6, 0x40010
	s_add_co_i32 s1, s1, 1
	s_and_b32 s5, ttmp7, 0xffff
	s_add_co_i32 s3, s3, 1
	v_and_b32_e32 v13, 0x3ff, v0
	v_bfe_u32 v20, v0, 10, 10
	s_and_b32 s0, ttmp6, 15
	s_mul_i32 s1, ttmp9, s1
	s_mul_i32 s3, s5, s3
	s_bfe_u32 s34, ttmp6, 0x40004
	s_add_co_i32 s0, s0, s1
	s_add_co_i32 s34, s34, s3
	s_cmp_eq_u32 s2, 0
	v_lshl_add_u32 v1, v20, 4, v13
	s_cselect_b32 s1, s5, s34
	s_cselect_b32 s0, ttmp9, s0
	s_lshl_b32 s1, s1, 5
	s_delay_alu instid0(VALU_DEP_1) | instskip(SKIP_3) | instid1(VALU_DEP_4)
	v_dual_lshrrev_b32 v3, 3, v1 :: v_dual_bitop2_b32 v0, 7, v0 bitop3:0x40
	v_dual_lshrrev_b32 v2, 5, v1 :: v_dual_add_nc_u32 v16, s1, v20
	v_and_b32_e32 v1, 31, v1
	v_cmp_neq_f64_e64 s37, s[10:11], 0
	v_add_nc_u32_e32 v14, s1, v3
	s_lshl_b32 s1, s0, 5
	s_delay_alu instid0(SALU_CYCLE_1) | instskip(NEXT) | instid1(VALU_DEP_2)
	v_dual_add_nc_u32 v18, 16, v16 :: v_dual_bitop2_b32 v4, s1, v1 bitop3:0x54
	v_dual_ashrrev_i32 v17, 31, v16 :: v_dual_ashrrev_i32 v15, 31, v14
	s_delay_alu instid0(VALU_DEP_2) | instskip(SKIP_1) | instid1(VALU_DEP_3)
	v_dual_lshlrev_b32 v5, 3, v0 :: v_dual_ashrrev_i32 v19, 31, v18
	v_cmp_neq_f64_e64 s34, s[24:25], 0
	v_mul_u64_e32 v[8:9], s[28:29], v[16:17]
	s_delay_alu instid0(VALU_DEP_4) | instskip(SKIP_4) | instid1(VALU_DEP_3)
	v_mul_u64_e32 v[6:7], s[20:21], v[14:15]
	v_dual_add_nc_u32 v12, s1, v13 :: v_dual_lshlrev_b32 v36, 3, v13
	v_mul_u64_e32 v[10:11], s[28:29], v[18:19]
	s_wait_kmcnt 0x0
	v_cmp_gt_i32_e64 s1, s4, v14
	v_dual_lshlrev_b32 v1, 3, v1 :: v_dual_add_nc_u32 v14, 16, v12
	v_ashrrev_i32_e32 v13, 31, v12
	v_cmp_le_i32_e32 vcc_lo, v16, v12
	v_cmp_gt_i32_e64 s2, s4, v12
	v_lshl_or_b32 v3, v3, 6, v5
	v_cmp_gt_i64_e64 s20, s[8:9], 0
	v_cmp_gt_i32_e64 s0, s4, v4
	v_cmp_le_i32_e64 s3, v16, v14
	v_cmp_gt_i32_e64 s4, s4, v14
	s_and_b32 s28, vcc_lo, s2
	v_cmp_le_i32_e32 vcc_lo, v18, v12
	v_cmp_le_i32_e64 s5, v18, v14
	v_ashrrev_i32_e32 v5, 31, v4
	v_lshl_or_b32 v1, v2, 8, v1
	v_add_nc_u32_e32 v3, 0x800, v3
	v_lshl_add_u32 v37, v20, 6, 0x800
	v_dual_ashrrev_i32 v15, 31, v14 :: v_dual_mov_b32 v17, 0
	s_and_b32 s29, s3, s4
	s_and_b32 s35, vcc_lo, s2
	s_and_b32 s36, s5, s4
	s_and_b32 s37, s37, s20
	s_lshl_b64 s[2:3], s[22:23], 3
	s_lshl_b64 s[4:5], s[16:17], 3
	;; [unrolled: 1-line block ×3, first 2 shown]
	s_branch .LBB495_6
.LBB495_5:                              ;   in Loop: Header=BB495_6 Depth=1
	s_wait_xcnt 0x0
	s_or_b32 exec_lo, exec_lo, s20
	s_add_co_i32 s6, s6, 0x10000
	s_delay_alu instid0(SALU_CYCLE_1)
	s_cmp_lt_u32 s6, s33
	s_cbranch_scc0 .LBB495_35
.LBB495_6:                              ; =>This Loop Header: Depth=1
                                        ;     Child Loop BB495_9 Depth 2
	v_mov_b32_e32 v16, s6
	v_mov_b64_e32 v[26:27], 0
	v_mov_b64_e32 v[22:23], 0
	;; [unrolled: 1-line block ×4, first 2 shown]
	global_load_b64 v[24:25], v16, s[26:27] scale_offset
	s_and_not1_b32 vcc_lo, exec_lo, s37
	s_cbranch_vccnz .LBB495_15
; %bb.7:                                ;   in Loop: Header=BB495_6 Depth=1
	s_lshl_b64 s[20:21], s[6:7], 3
	v_mov_b64_e32 v[22:23], 0
	s_add_nc_u64 s[22:23], s[12:13], s[20:21]
	s_add_nc_u64 s[20:21], s[18:19], s[20:21]
	s_clause 0x1
	global_load_b64 v[18:19], v17, s[22:23]
	global_load_b64 v[20:21], v17, s[20:21]
	v_mov_b64_e32 v[26:27], 0
	s_wait_xcnt 0x0
	s_mov_b64 s[20:21], 0
	s_wait_loadcnt 0x1
	v_add_nc_u64_e32 v[28:29], s[4:5], v[18:19]
	s_wait_loadcnt 0x0
	v_add_nc_u64_e32 v[30:31], s[2:3], v[20:21]
	v_mov_b64_e32 v[18:19], 0
	v_mov_b64_e32 v[20:21], 0
	s_delay_alu instid0(VALU_DEP_4) | instskip(NEXT) | instid1(VALU_DEP_4)
	v_lshl_add_u64 v[28:29], v[4:5], 3, v[28:29]
	v_lshl_add_u64 v[30:31], v[6:7], 3, v[30:31]
	s_branch .LBB495_9
.LBB495_8:                              ;   in Loop: Header=BB495_9 Depth=2
	s_wait_xcnt 0x0
	s_or_b32 exec_lo, exec_lo, s22
	s_wait_loadcnt_dscnt 0x0
	ds_store_b64 v3, v[34:35]
	s_wait_dscnt 0x0
	s_barrier_signal -1
	s_barrier_wait -1
	ds_load_b128 v[32:35], v37
	ds_load_2addr_b64 v[38:41], v36 offset1:16
	ds_load_b128 v[42:45], v37 offset:1024
	ds_load_b128 v[46:49], v37 offset:16
	;; [unrolled: 1-line block ×3, first 2 shown]
	s_add_nc_u64 s[20:21], s[20:21], 8
	s_delay_alu instid0(SALU_CYCLE_1)
	v_cmp_gt_i64_e64 s22, s[8:9], s[20:21]
	s_and_b32 vcc_lo, exec_lo, s22
	s_wait_dscnt 0x3
	v_fmac_f64_e32 v[26:27], v[38:39], v[32:33]
	v_fmac_f64_e32 v[22:23], v[40:41], v[32:33]
	s_wait_dscnt 0x2
	v_fmac_f64_e32 v[20:21], v[38:39], v[42:43]
	v_fmac_f64_e32 v[18:19], v[40:41], v[42:43]
	ds_load_2addr_b64 v[38:41], v36 offset0:32 offset1:48
	s_wait_dscnt 0x0
	v_fmac_f64_e32 v[26:27], v[38:39], v[34:35]
	v_fmac_f64_e32 v[22:23], v[40:41], v[34:35]
	v_fmac_f64_e32 v[20:21], v[38:39], v[44:45]
	v_fmac_f64_e32 v[18:19], v[40:41], v[44:45]
	ds_load_2addr_b64 v[32:35], v36 offset0:64 offset1:80
	s_wait_dscnt 0x0
	v_fmac_f64_e32 v[26:27], v[32:33], v[46:47]
	v_fmac_f64_e32 v[22:23], v[34:35], v[46:47]
	v_fmac_f64_e32 v[20:21], v[32:33], v[50:51]
	v_fmac_f64_e32 v[18:19], v[34:35], v[50:51]
	ds_load_2addr_b64 v[32:35], v36 offset0:96 offset1:112
	s_wait_dscnt 0x0
	v_fmac_f64_e32 v[26:27], v[32:33], v[48:49]
	v_fmac_f64_e32 v[22:23], v[34:35], v[48:49]
	v_fmac_f64_e32 v[20:21], v[32:33], v[52:53]
	v_fmac_f64_e32 v[18:19], v[34:35], v[52:53]
	ds_load_b128 v[32:35], v37 offset:32
	ds_load_2addr_b64 v[38:41], v36 offset0:128 offset1:144
	ds_load_b128 v[42:45], v37 offset:1056
	ds_load_b128 v[46:49], v37 offset:48
	ds_load_b128 v[50:53], v37 offset:1072
	s_wait_dscnt 0x3
	v_fmac_f64_e32 v[26:27], v[38:39], v[32:33]
	v_fmac_f64_e32 v[22:23], v[40:41], v[32:33]
	s_wait_dscnt 0x2
	v_fmac_f64_e32 v[20:21], v[38:39], v[42:43]
	v_fmac_f64_e32 v[18:19], v[40:41], v[42:43]
	ds_load_2addr_b64 v[38:41], v36 offset0:160 offset1:176
	s_wait_dscnt 0x0
	v_fmac_f64_e32 v[26:27], v[38:39], v[34:35]
	v_fmac_f64_e32 v[22:23], v[40:41], v[34:35]
	;; [unrolled: 1-line block ×4, first 2 shown]
	ds_load_2addr_b64 v[32:35], v36 offset0:192 offset1:208
	s_wait_dscnt 0x0
	v_fmac_f64_e32 v[26:27], v[32:33], v[46:47]
	v_fmac_f64_e32 v[22:23], v[34:35], v[46:47]
	v_fmac_f64_e32 v[20:21], v[32:33], v[50:51]
	v_fmac_f64_e32 v[18:19], v[34:35], v[50:51]
	ds_load_2addr_b64 v[32:35], v36 offset0:224 offset1:240
	s_wait_dscnt 0x0
	s_barrier_signal -1
	s_barrier_wait -1
	v_fmac_f64_e32 v[26:27], v[32:33], v[48:49]
	v_fmac_f64_e32 v[22:23], v[34:35], v[48:49]
	;; [unrolled: 1-line block ×4, first 2 shown]
	s_cbranch_vccz .LBB495_15
.LBB495_9:                              ;   Parent Loop BB495_6 Depth=1
                                        ; =>  This Inner Loop Header: Depth=2
	v_mov_b64_e32 v[32:33], 0
	s_and_saveexec_b32 s22, s0
	s_cbranch_execz .LBB495_13
; %bb.10:                               ;   in Loop: Header=BB495_9 Depth=2
	v_mov_b64_e32 v[32:33], 0
	v_add_nc_u32_e32 v16, s20, v2
	s_mov_b32 s23, exec_lo
	s_delay_alu instid0(VALU_DEP_1)
	v_cmpx_gt_u64_e64 s[8:9], v[16:17]
	s_cbranch_execz .LBB495_12
; %bb.11:                               ;   in Loop: Header=BB495_9 Depth=2
	v_mul_u64_e32 v[32:33], s[14:15], v[16:17]
	s_delay_alu instid0(VALU_DEP_1)
	v_lshl_add_u64 v[32:33], v[32:33], 3, v[28:29]
	flat_load_b64 v[32:33], v[32:33]
.LBB495_12:                             ;   in Loop: Header=BB495_9 Depth=2
	s_wait_xcnt 0x0
	s_or_b32 exec_lo, exec_lo, s23
.LBB495_13:                             ;   in Loop: Header=BB495_9 Depth=2
	s_delay_alu instid0(SALU_CYCLE_1)
	s_or_b32 exec_lo, exec_lo, s22
	v_add_nc_u32_e32 v16, s20, v0
	v_mov_b64_e32 v[34:35], 0
	s_wait_loadcnt_dscnt 0x0
	ds_store_b64 v1, v[32:33]
	v_cmp_gt_u64_e32 vcc_lo, s[8:9], v[16:17]
	s_and_b32 s23, vcc_lo, s1
	s_delay_alu instid0(SALU_CYCLE_1)
	s_and_saveexec_b32 s22, s23
	s_cbranch_execz .LBB495_8
; %bb.14:                               ;   in Loop: Header=BB495_9 Depth=2
	v_lshl_add_u64 v[32:33], v[16:17], 3, v[30:31]
	flat_load_b64 v[34:35], v[32:33]
	s_branch .LBB495_8
.LBB495_15:                             ;   in Loop: Header=BB495_6 Depth=1
	s_wait_loadcnt 0x0
	v_add_nc_u64_e32 v[24:25], s[16:17], v[24:25]
	s_delay_alu instid0(VALU_DEP_1)
	v_lshl_add_u64 v[28:29], v[8:9], 3, v[24:25]
	s_wait_xcnt 0x0
	s_and_saveexec_b32 s20, s28
	s_cbranch_execz .LBB495_19
; %bb.16:                               ;   in Loop: Header=BB495_6 Depth=1
	v_mul_f64_e32 v[26:27], s[10:11], v[26:27]
	v_lshl_add_u64 v[30:31], v[12:13], 3, v[28:29]
	s_and_b32 vcc_lo, exec_lo, s34
	s_cbranch_vccz .LBB495_30
; %bb.17:                               ;   in Loop: Header=BB495_6 Depth=1
	flat_load_b64 v[32:33], v[30:31]
	s_wait_loadcnt_dscnt 0x0
	v_fma_f64 v[32:33], s[24:25], v[32:33], v[26:27]
	flat_store_b64 v[30:31], v[32:33]
	s_cbranch_execnz .LBB495_19
.LBB495_18:                             ;   in Loop: Header=BB495_6 Depth=1
	flat_store_b64 v[30:31], v[26:27]
.LBB495_19:                             ;   in Loop: Header=BB495_6 Depth=1
	s_wait_xcnt 0x0
	s_or_b32 exec_lo, exec_lo, s20
	s_and_saveexec_b32 s20, s29
	s_cbranch_execz .LBB495_23
; %bb.20:                               ;   in Loop: Header=BB495_6 Depth=1
	v_mul_f64_e32 v[22:23], s[10:11], v[22:23]
	v_lshl_add_u64 v[26:27], v[14:15], 3, v[28:29]
	s_and_not1_b32 vcc_lo, exec_lo, s34
	s_cbranch_vccnz .LBB495_31
; %bb.21:                               ;   in Loop: Header=BB495_6 Depth=1
	flat_load_b64 v[28:29], v[26:27]
	s_wait_loadcnt_dscnt 0x0
	v_fma_f64 v[28:29], s[24:25], v[28:29], v[22:23]
	flat_store_b64 v[26:27], v[28:29]
	s_cbranch_execnz .LBB495_23
.LBB495_22:                             ;   in Loop: Header=BB495_6 Depth=1
	flat_store_b64 v[26:27], v[22:23]
.LBB495_23:                             ;   in Loop: Header=BB495_6 Depth=1
	s_wait_xcnt 0x0
	s_or_b32 exec_lo, exec_lo, s20
	v_lshl_add_u64 v[22:23], v[10:11], 3, v[24:25]
	s_and_saveexec_b32 s20, s35
	s_cbranch_execz .LBB495_27
; %bb.24:                               ;   in Loop: Header=BB495_6 Depth=1
	v_mul_f64_e32 v[20:21], s[10:11], v[20:21]
	s_delay_alu instid0(VALU_DEP_2)
	v_lshl_add_u64 v[24:25], v[12:13], 3, v[22:23]
	s_and_not1_b32 vcc_lo, exec_lo, s34
	s_cbranch_vccnz .LBB495_32
; %bb.25:                               ;   in Loop: Header=BB495_6 Depth=1
	flat_load_b64 v[26:27], v[24:25]
	s_wait_loadcnt_dscnt 0x0
	v_fma_f64 v[26:27], s[24:25], v[26:27], v[20:21]
	flat_store_b64 v[24:25], v[26:27]
	s_cbranch_execnz .LBB495_27
.LBB495_26:                             ;   in Loop: Header=BB495_6 Depth=1
	flat_store_b64 v[24:25], v[20:21]
.LBB495_27:                             ;   in Loop: Header=BB495_6 Depth=1
	s_wait_xcnt 0x0
	s_or_b32 exec_lo, exec_lo, s20
	s_and_saveexec_b32 s20, s36
	s_cbranch_execz .LBB495_5
; %bb.28:                               ;   in Loop: Header=BB495_6 Depth=1
	s_delay_alu instid0(VALU_DEP_4)
	v_mul_f64_e32 v[18:19], s[10:11], v[18:19]
	v_lshl_add_u64 v[20:21], v[14:15], 3, v[22:23]
	s_and_not1_b32 vcc_lo, exec_lo, s34
	s_cbranch_vccnz .LBB495_33
; %bb.29:                               ;   in Loop: Header=BB495_6 Depth=1
	flat_load_b64 v[22:23], v[20:21]
	s_wait_loadcnt_dscnt 0x0
	v_fma_f64 v[22:23], s[24:25], v[22:23], v[18:19]
	flat_store_b64 v[20:21], v[22:23]
	s_cbranch_execnz .LBB495_5
	s_branch .LBB495_34
.LBB495_30:                             ;   in Loop: Header=BB495_6 Depth=1
	s_branch .LBB495_18
.LBB495_31:                             ;   in Loop: Header=BB495_6 Depth=1
	s_branch .LBB495_22
.LBB495_32:                             ;   in Loop: Header=BB495_6 Depth=1
	s_branch .LBB495_26
.LBB495_33:                             ;   in Loop: Header=BB495_6 Depth=1
.LBB495_34:                             ;   in Loop: Header=BB495_6 Depth=1
	flat_store_b64 v[20:21], v[18:19]
	s_branch .LBB495_5
.LBB495_35:
	s_endpgm
	.section	.rodata,"a",@progbits
	.p2align	6, 0x0
	.amdhsa_kernel _ZL29rocblas_internal_gemmt_kernelIlLi16ELi32ELi8ELc78ELc78ELc76ELb0ELb0EddPKPKdPKPdEviT_T9_T10_S7_lS9_S7_lS8_T11_S7_li
		.amdhsa_group_segment_fixed_size 4096
		.amdhsa_private_segment_fixed_size 0
		.amdhsa_kernarg_size 108
		.amdhsa_user_sgpr_count 2
		.amdhsa_user_sgpr_dispatch_ptr 0
		.amdhsa_user_sgpr_queue_ptr 0
		.amdhsa_user_sgpr_kernarg_segment_ptr 1
		.amdhsa_user_sgpr_dispatch_id 0
		.amdhsa_user_sgpr_kernarg_preload_length 0
		.amdhsa_user_sgpr_kernarg_preload_offset 0
		.amdhsa_user_sgpr_private_segment_size 0
		.amdhsa_wavefront_size32 1
		.amdhsa_uses_dynamic_stack 0
		.amdhsa_enable_private_segment 0
		.amdhsa_system_sgpr_workgroup_id_x 1
		.amdhsa_system_sgpr_workgroup_id_y 1
		.amdhsa_system_sgpr_workgroup_id_z 1
		.amdhsa_system_sgpr_workgroup_info 0
		.amdhsa_system_vgpr_workitem_id 1
		.amdhsa_next_free_vgpr 54
		.amdhsa_next_free_sgpr 38
		.amdhsa_named_barrier_count 0
		.amdhsa_reserve_vcc 1
		.amdhsa_float_round_mode_32 0
		.amdhsa_float_round_mode_16_64 0
		.amdhsa_float_denorm_mode_32 3
		.amdhsa_float_denorm_mode_16_64 3
		.amdhsa_fp16_overflow 0
		.amdhsa_memory_ordered 1
		.amdhsa_forward_progress 1
		.amdhsa_inst_pref_size 13
		.amdhsa_round_robin_scheduling 0
		.amdhsa_exception_fp_ieee_invalid_op 0
		.amdhsa_exception_fp_denorm_src 0
		.amdhsa_exception_fp_ieee_div_zero 0
		.amdhsa_exception_fp_ieee_overflow 0
		.amdhsa_exception_fp_ieee_underflow 0
		.amdhsa_exception_fp_ieee_inexact 0
		.amdhsa_exception_int_div_zero 0
	.end_amdhsa_kernel
	.section	.text._ZL29rocblas_internal_gemmt_kernelIlLi16ELi32ELi8ELc78ELc78ELc76ELb0ELb0EddPKPKdPKPdEviT_T9_T10_S7_lS9_S7_lS8_T11_S7_li,"axG",@progbits,_ZL29rocblas_internal_gemmt_kernelIlLi16ELi32ELi8ELc78ELc78ELc76ELb0ELb0EddPKPKdPKPdEviT_T9_T10_S7_lS9_S7_lS8_T11_S7_li,comdat
.Lfunc_end495:
	.size	_ZL29rocblas_internal_gemmt_kernelIlLi16ELi32ELi8ELc78ELc78ELc76ELb0ELb0EddPKPKdPKPdEviT_T9_T10_S7_lS9_S7_lS8_T11_S7_li, .Lfunc_end495-_ZL29rocblas_internal_gemmt_kernelIlLi16ELi32ELi8ELc78ELc78ELc76ELb0ELb0EddPKPKdPKPdEviT_T9_T10_S7_lS9_S7_lS8_T11_S7_li
                                        ; -- End function
	.set _ZL29rocblas_internal_gemmt_kernelIlLi16ELi32ELi8ELc78ELc78ELc76ELb0ELb0EddPKPKdPKPdEviT_T9_T10_S7_lS9_S7_lS8_T11_S7_li.num_vgpr, 54
	.set _ZL29rocblas_internal_gemmt_kernelIlLi16ELi32ELi8ELc78ELc78ELc76ELb0ELb0EddPKPKdPKPdEviT_T9_T10_S7_lS9_S7_lS8_T11_S7_li.num_agpr, 0
	.set _ZL29rocblas_internal_gemmt_kernelIlLi16ELi32ELi8ELc78ELc78ELc76ELb0ELb0EddPKPKdPKPdEviT_T9_T10_S7_lS9_S7_lS8_T11_S7_li.numbered_sgpr, 38
	.set _ZL29rocblas_internal_gemmt_kernelIlLi16ELi32ELi8ELc78ELc78ELc76ELb0ELb0EddPKPKdPKPdEviT_T9_T10_S7_lS9_S7_lS8_T11_S7_li.num_named_barrier, 0
	.set _ZL29rocblas_internal_gemmt_kernelIlLi16ELi32ELi8ELc78ELc78ELc76ELb0ELb0EddPKPKdPKPdEviT_T9_T10_S7_lS9_S7_lS8_T11_S7_li.private_seg_size, 0
	.set _ZL29rocblas_internal_gemmt_kernelIlLi16ELi32ELi8ELc78ELc78ELc76ELb0ELb0EddPKPKdPKPdEviT_T9_T10_S7_lS9_S7_lS8_T11_S7_li.uses_vcc, 1
	.set _ZL29rocblas_internal_gemmt_kernelIlLi16ELi32ELi8ELc78ELc78ELc76ELb0ELb0EddPKPKdPKPdEviT_T9_T10_S7_lS9_S7_lS8_T11_S7_li.uses_flat_scratch, 0
	.set _ZL29rocblas_internal_gemmt_kernelIlLi16ELi32ELi8ELc78ELc78ELc76ELb0ELb0EddPKPKdPKPdEviT_T9_T10_S7_lS9_S7_lS8_T11_S7_li.has_dyn_sized_stack, 0
	.set _ZL29rocblas_internal_gemmt_kernelIlLi16ELi32ELi8ELc78ELc78ELc76ELb0ELb0EddPKPKdPKPdEviT_T9_T10_S7_lS9_S7_lS8_T11_S7_li.has_recursion, 0
	.set _ZL29rocblas_internal_gemmt_kernelIlLi16ELi32ELi8ELc78ELc78ELc76ELb0ELb0EddPKPKdPKPdEviT_T9_T10_S7_lS9_S7_lS8_T11_S7_li.has_indirect_call, 0
	.section	.AMDGPU.csdata,"",@progbits
; Kernel info:
; codeLenInByte = 1644
; TotalNumSgprs: 40
; NumVgprs: 54
; ScratchSize: 0
; MemoryBound: 0
; FloatMode: 240
; IeeeMode: 1
; LDSByteSize: 4096 bytes/workgroup (compile time only)
; SGPRBlocks: 0
; VGPRBlocks: 3
; NumSGPRsForWavesPerEU: 40
; NumVGPRsForWavesPerEU: 54
; NamedBarCnt: 0
; Occupancy: 16
; WaveLimiterHint : 1
; COMPUTE_PGM_RSRC2:SCRATCH_EN: 0
; COMPUTE_PGM_RSRC2:USER_SGPR: 2
; COMPUTE_PGM_RSRC2:TRAP_HANDLER: 0
; COMPUTE_PGM_RSRC2:TGID_X_EN: 1
; COMPUTE_PGM_RSRC2:TGID_Y_EN: 1
; COMPUTE_PGM_RSRC2:TGID_Z_EN: 1
; COMPUTE_PGM_RSRC2:TIDIG_COMP_CNT: 1
	.section	.text._ZL29rocblas_internal_gemmt_kernelIlLi16ELi32ELi8ELc78ELc84ELc76ELb0ELb0EddPKPKdPKPdEviT_T9_T10_S7_lS9_S7_lS8_T11_S7_li,"axG",@progbits,_ZL29rocblas_internal_gemmt_kernelIlLi16ELi32ELi8ELc78ELc84ELc76ELb0ELb0EddPKPKdPKPdEviT_T9_T10_S7_lS9_S7_lS8_T11_S7_li,comdat
	.globl	_ZL29rocblas_internal_gemmt_kernelIlLi16ELi32ELi8ELc78ELc84ELc76ELb0ELb0EddPKPKdPKPdEviT_T9_T10_S7_lS9_S7_lS8_T11_S7_li ; -- Begin function _ZL29rocblas_internal_gemmt_kernelIlLi16ELi32ELi8ELc78ELc84ELc76ELb0ELb0EddPKPKdPKPdEviT_T9_T10_S7_lS9_S7_lS8_T11_S7_li
	.p2align	8
	.type	_ZL29rocblas_internal_gemmt_kernelIlLi16ELi32ELi8ELc78ELc84ELc76ELb0ELb0EddPKPKdPKPdEviT_T9_T10_S7_lS9_S7_lS8_T11_S7_li,@function
_ZL29rocblas_internal_gemmt_kernelIlLi16ELi32ELi8ELc78ELc84ELc76ELb0ELb0EddPKPKdPKPdEviT_T9_T10_S7_lS9_S7_lS8_T11_S7_li: ; @_ZL29rocblas_internal_gemmt_kernelIlLi16ELi32ELi8ELc78ELc84ELc76ELb0ELb0EddPKPKdPKPdEviT_T9_T10_S7_lS9_S7_lS8_T11_S7_li
; %bb.0:
	s_clause 0x1
	s_load_b256 s[24:31], s[0:1], 0x48
	s_load_b512 s[8:23], s[0:1], 0x8
	s_wait_kmcnt 0x0
	v_cmp_neq_f64_e64 s2, s[24:25], 1.0
	s_and_b32 vcc_lo, exec_lo, s2
	s_cbranch_vccnz .LBB496_2
; %bb.1:
	v_cmp_neq_f64_e64 s2, s[10:11], 0
	s_cmp_lg_u64 s[8:9], 0
	s_cselect_b32 s3, -1, 0
	s_delay_alu instid0(SALU_CYCLE_1)
	s_and_b32 s2, s3, s2
.LBB496_2:
	s_delay_alu instid0(SALU_CYCLE_1)
	s_and_not1_b32 vcc_lo, exec_lo, s2
	s_cbranch_vccnz .LBB496_35
; %bb.3:
	s_load_b32 s33, s[0:1], 0x68
	s_bfe_u32 s2, ttmp6, 0x40014
	s_lshr_b32 s3, ttmp7, 16
	s_add_co_i32 s2, s2, 1
	s_bfe_u32 s5, ttmp6, 0x40008
	s_mul_i32 s4, s3, s2
	s_getreg_b32 s2, hwreg(HW_REG_IB_STS2, 6, 4)
	s_add_co_i32 s5, s5, s4
	s_cmp_eq_u32 s2, 0
	s_mov_b32 s7, 0
	s_cselect_b32 s6, s3, s5
	s_wait_kmcnt 0x0
	s_cmp_ge_u32 s6, s33
	s_cbranch_scc1 .LBB496_35
; %bb.4:
	s_bfe_u32 s3, ttmp6, 0x4000c
	s_bfe_u32 s5, ttmp6, 0x40010
	s_add_co_i32 s3, s3, 1
	s_and_b32 s34, ttmp7, 0xffff
	s_add_co_i32 s5, s5, 1
	v_and_b32_e32 v13, 0x3ff, v0
	v_bfe_u32 v15, v0, 10, 10
	s_and_b32 s4, ttmp6, 15
	s_mul_i32 s3, ttmp9, s3
	s_mul_i32 s5, s34, s5
	s_bfe_u32 s35, ttmp6, 0x40004
	s_add_co_i32 s4, s4, s3
	s_add_co_i32 s35, s35, s5
	s_cmp_eq_u32 s2, 0
	v_lshl_add_u32 v1, v15, 4, v13
	s_load_b32 s5, s[0:1], 0x0
	s_wait_xcnt 0x0
	s_cselect_b32 s0, s34, s35
	s_cselect_b32 s1, ttmp9, s4
	s_lshl_b32 s0, s0, 5
	s_delay_alu instid0(SALU_CYCLE_1) | instskip(SKIP_3) | instid1(VALU_DEP_2)
	v_dual_lshrrev_b32 v2, 5, v1 :: v_dual_add_nc_u32 v16, s0, v15
	v_dual_lshrrev_b32 v1, 3, v1 :: v_dual_bitop2_b32 v3, 31, v1 bitop3:0x40
	s_lshl_b32 s1, s1, 5
	v_cmp_neq_f64_e64 s37, s[10:11], 0
	v_dual_add_nc_u32 v18, 16, v16 :: v_dual_bitop2_b32 v4, s1, v3 bitop3:0x54
	v_ashrrev_i32_e32 v17, 31, v16
	v_cmp_neq_f64_e64 s34, s[24:25], 0
	v_dual_add_nc_u32 v6, s0, v1 :: v_dual_bitop2_b32 v0, 7, v0 bitop3:0x40
	s_delay_alu instid0(VALU_DEP_4) | instskip(NEXT) | instid1(VALU_DEP_4)
	v_ashrrev_i32_e32 v19, 31, v18
	v_mul_u64_e32 v[8:9], s[28:29], v[16:17]
	s_delay_alu instid0(VALU_DEP_3) | instskip(SKIP_1) | instid1(VALU_DEP_4)
	v_dual_lshlrev_b32 v3, 3, v3 :: v_dual_lshlrev_b32 v5, 3, v0
	v_add_nc_u32_e32 v12, s1, v13
	v_mul_u64_e32 v[10:11], s[28:29], v[18:19]
	v_cmp_gt_i64_e64 s38, s[8:9], 0
	s_wait_kmcnt 0x0
	v_cmp_gt_i32_e64 s0, s5, v4
	v_lshl_or_b32 v7, v1, 6, v5
	v_lshl_or_b32 v1, v2, 8, v3
	v_ashrrev_i32_e32 v5, 31, v4
	v_add_nc_u32_e32 v14, 16, v12
	v_cmp_le_i32_e32 vcc_lo, v16, v12
	v_add_nc_u32_e32 v3, 0x800, v7
	v_ashrrev_i32_e32 v7, 31, v6
	v_cmp_gt_i32_e64 s2, s5, v12
	v_cmp_gt_i32_e64 s1, s5, v6
	v_cmp_le_i32_e64 s3, v16, v14
	v_cmp_gt_i32_e64 s4, s5, v14
	v_cmp_le_i32_e64 s5, v18, v14
	s_and_b32 s28, vcc_lo, s2
	v_cmp_le_i32_e32 vcc_lo, v18, v12
	v_dual_lshlrev_b32 v36, 3, v13 :: v_dual_ashrrev_i32 v13, 31, v12
	v_lshl_add_u32 v37, v15, 6, 0x800
	v_dual_ashrrev_i32 v15, 31, v14 :: v_dual_mov_b32 v17, 0
	s_and_b32 s29, s3, s4
	s_and_b32 s35, vcc_lo, s2
	s_and_b32 s36, s5, s4
	s_and_b32 s37, s37, s38
	s_lshl_b64 s[2:3], s[22:23], 3
	s_lshl_b64 s[4:5], s[16:17], 3
	;; [unrolled: 1-line block ×3, first 2 shown]
	s_branch .LBB496_6
.LBB496_5:                              ;   in Loop: Header=BB496_6 Depth=1
	s_wait_xcnt 0x0
	s_or_b32 exec_lo, exec_lo, s22
	s_add_co_i32 s6, s6, 0x10000
	s_delay_alu instid0(SALU_CYCLE_1)
	s_cmp_lt_u32 s6, s33
	s_cbranch_scc0 .LBB496_35
.LBB496_6:                              ; =>This Loop Header: Depth=1
                                        ;     Child Loop BB496_9 Depth 2
	v_mov_b32_e32 v16, s6
	v_mov_b64_e32 v[26:27], 0
	v_mov_b64_e32 v[22:23], 0
	;; [unrolled: 1-line block ×4, first 2 shown]
	global_load_b64 v[24:25], v16, s[26:27] scale_offset
	s_and_not1_b32 vcc_lo, exec_lo, s37
	s_cbranch_vccnz .LBB496_15
; %bb.7:                                ;   in Loop: Header=BB496_6 Depth=1
	s_lshl_b64 s[22:23], s[6:7], 3
	v_mov_b64_e32 v[22:23], 0
	s_add_nc_u64 s[30:31], s[12:13], s[22:23]
	s_add_nc_u64 s[22:23], s[18:19], s[22:23]
	s_clause 0x1
	global_load_b64 v[18:19], v17, s[30:31]
	global_load_b64 v[20:21], v17, s[22:23]
	v_mov_b64_e32 v[26:27], 0
	s_wait_xcnt 0x0
	s_mov_b64 s[22:23], 0
	s_wait_loadcnt 0x1
	v_add_nc_u64_e32 v[28:29], s[4:5], v[18:19]
	s_wait_loadcnt 0x0
	v_add_nc_u64_e32 v[30:31], s[2:3], v[20:21]
	v_mov_b64_e32 v[18:19], 0
	v_mov_b64_e32 v[20:21], 0
	s_delay_alu instid0(VALU_DEP_4) | instskip(NEXT) | instid1(VALU_DEP_4)
	v_lshl_add_u64 v[28:29], v[4:5], 3, v[28:29]
	v_lshl_add_u64 v[30:31], v[6:7], 3, v[30:31]
	s_branch .LBB496_9
.LBB496_8:                              ;   in Loop: Header=BB496_9 Depth=2
	s_wait_xcnt 0x0
	s_or_b32 exec_lo, exec_lo, s30
	s_wait_loadcnt_dscnt 0x0
	ds_store_b64 v3, v[34:35]
	s_wait_dscnt 0x0
	s_barrier_signal -1
	s_barrier_wait -1
	ds_load_b128 v[32:35], v37
	ds_load_2addr_b64 v[38:41], v36 offset1:16
	ds_load_b128 v[42:45], v37 offset:1024
	ds_load_b128 v[46:49], v37 offset:16
	;; [unrolled: 1-line block ×3, first 2 shown]
	s_add_nc_u64 s[22:23], s[22:23], 8
	s_delay_alu instid0(SALU_CYCLE_1)
	v_cmp_gt_i64_e64 s30, s[8:9], s[22:23]
	s_and_b32 vcc_lo, exec_lo, s30
	s_wait_dscnt 0x3
	v_fmac_f64_e32 v[26:27], v[38:39], v[32:33]
	v_fmac_f64_e32 v[22:23], v[40:41], v[32:33]
	s_wait_dscnt 0x2
	v_fmac_f64_e32 v[20:21], v[38:39], v[42:43]
	v_fmac_f64_e32 v[18:19], v[40:41], v[42:43]
	ds_load_2addr_b64 v[38:41], v36 offset0:32 offset1:48
	s_wait_dscnt 0x0
	v_fmac_f64_e32 v[26:27], v[38:39], v[34:35]
	v_fmac_f64_e32 v[22:23], v[40:41], v[34:35]
	v_fmac_f64_e32 v[20:21], v[38:39], v[44:45]
	v_fmac_f64_e32 v[18:19], v[40:41], v[44:45]
	ds_load_2addr_b64 v[32:35], v36 offset0:64 offset1:80
	s_wait_dscnt 0x0
	v_fmac_f64_e32 v[26:27], v[32:33], v[46:47]
	v_fmac_f64_e32 v[22:23], v[34:35], v[46:47]
	;; [unrolled: 6-line block ×3, first 2 shown]
	v_fmac_f64_e32 v[20:21], v[32:33], v[52:53]
	v_fmac_f64_e32 v[18:19], v[34:35], v[52:53]
	ds_load_b128 v[32:35], v37 offset:32
	ds_load_2addr_b64 v[38:41], v36 offset0:128 offset1:144
	ds_load_b128 v[42:45], v37 offset:1056
	ds_load_b128 v[46:49], v37 offset:48
	;; [unrolled: 1-line block ×3, first 2 shown]
	s_wait_dscnt 0x3
	v_fmac_f64_e32 v[26:27], v[38:39], v[32:33]
	v_fmac_f64_e32 v[22:23], v[40:41], v[32:33]
	s_wait_dscnt 0x2
	v_fmac_f64_e32 v[20:21], v[38:39], v[42:43]
	v_fmac_f64_e32 v[18:19], v[40:41], v[42:43]
	ds_load_2addr_b64 v[38:41], v36 offset0:160 offset1:176
	s_wait_dscnt 0x0
	v_fmac_f64_e32 v[26:27], v[38:39], v[34:35]
	v_fmac_f64_e32 v[22:23], v[40:41], v[34:35]
	;; [unrolled: 1-line block ×4, first 2 shown]
	ds_load_2addr_b64 v[32:35], v36 offset0:192 offset1:208
	s_wait_dscnt 0x0
	v_fmac_f64_e32 v[26:27], v[32:33], v[46:47]
	v_fmac_f64_e32 v[22:23], v[34:35], v[46:47]
	;; [unrolled: 1-line block ×4, first 2 shown]
	ds_load_2addr_b64 v[32:35], v36 offset0:224 offset1:240
	s_wait_dscnt 0x0
	s_barrier_signal -1
	s_barrier_wait -1
	v_fmac_f64_e32 v[26:27], v[32:33], v[48:49]
	v_fmac_f64_e32 v[22:23], v[34:35], v[48:49]
	;; [unrolled: 1-line block ×4, first 2 shown]
	s_cbranch_vccz .LBB496_15
.LBB496_9:                              ;   Parent Loop BB496_6 Depth=1
                                        ; =>  This Inner Loop Header: Depth=2
	v_mov_b64_e32 v[32:33], 0
	s_and_saveexec_b32 s30, s0
	s_cbranch_execz .LBB496_13
; %bb.10:                               ;   in Loop: Header=BB496_9 Depth=2
	v_mov_b64_e32 v[32:33], 0
	v_add_nc_u32_e32 v16, s22, v2
	s_mov_b32 s31, exec_lo
	s_delay_alu instid0(VALU_DEP_1)
	v_cmpx_gt_u64_e64 s[8:9], v[16:17]
	s_cbranch_execz .LBB496_12
; %bb.11:                               ;   in Loop: Header=BB496_9 Depth=2
	v_mul_u64_e32 v[32:33], s[14:15], v[16:17]
	s_delay_alu instid0(VALU_DEP_1)
	v_lshl_add_u64 v[32:33], v[32:33], 3, v[28:29]
	flat_load_b64 v[32:33], v[32:33]
.LBB496_12:                             ;   in Loop: Header=BB496_9 Depth=2
	s_wait_xcnt 0x0
	s_or_b32 exec_lo, exec_lo, s31
.LBB496_13:                             ;   in Loop: Header=BB496_9 Depth=2
	s_delay_alu instid0(SALU_CYCLE_1)
	s_or_b32 exec_lo, exec_lo, s30
	v_add_nc_u32_e32 v16, s22, v0
	v_mov_b64_e32 v[34:35], 0
	s_wait_loadcnt_dscnt 0x0
	ds_store_b64 v1, v[32:33]
	v_cmp_gt_u64_e32 vcc_lo, s[8:9], v[16:17]
	s_and_b32 s31, vcc_lo, s1
	s_delay_alu instid0(SALU_CYCLE_1)
	s_and_saveexec_b32 s30, s31
	s_cbranch_execz .LBB496_8
; %bb.14:                               ;   in Loop: Header=BB496_9 Depth=2
	v_mul_u64_e32 v[32:33], s[20:21], v[16:17]
	s_delay_alu instid0(VALU_DEP_1)
	v_lshl_add_u64 v[32:33], v[32:33], 3, v[30:31]
	flat_load_b64 v[34:35], v[32:33]
	s_branch .LBB496_8
.LBB496_15:                             ;   in Loop: Header=BB496_6 Depth=1
	s_wait_loadcnt 0x0
	v_add_nc_u64_e32 v[24:25], s[16:17], v[24:25]
	s_delay_alu instid0(VALU_DEP_1)
	v_lshl_add_u64 v[28:29], v[8:9], 3, v[24:25]
	s_wait_xcnt 0x0
	s_and_saveexec_b32 s22, s28
	s_cbranch_execz .LBB496_19
; %bb.16:                               ;   in Loop: Header=BB496_6 Depth=1
	v_mul_f64_e32 v[26:27], s[10:11], v[26:27]
	v_lshl_add_u64 v[30:31], v[12:13], 3, v[28:29]
	s_and_b32 vcc_lo, exec_lo, s34
	s_cbranch_vccz .LBB496_30
; %bb.17:                               ;   in Loop: Header=BB496_6 Depth=1
	flat_load_b64 v[32:33], v[30:31]
	s_wait_loadcnt_dscnt 0x0
	v_fma_f64 v[32:33], s[24:25], v[32:33], v[26:27]
	flat_store_b64 v[30:31], v[32:33]
	s_cbranch_execnz .LBB496_19
.LBB496_18:                             ;   in Loop: Header=BB496_6 Depth=1
	flat_store_b64 v[30:31], v[26:27]
.LBB496_19:                             ;   in Loop: Header=BB496_6 Depth=1
	s_wait_xcnt 0x0
	s_or_b32 exec_lo, exec_lo, s22
	s_and_saveexec_b32 s22, s29
	s_cbranch_execz .LBB496_23
; %bb.20:                               ;   in Loop: Header=BB496_6 Depth=1
	v_mul_f64_e32 v[22:23], s[10:11], v[22:23]
	v_lshl_add_u64 v[26:27], v[14:15], 3, v[28:29]
	s_and_not1_b32 vcc_lo, exec_lo, s34
	s_cbranch_vccnz .LBB496_31
; %bb.21:                               ;   in Loop: Header=BB496_6 Depth=1
	flat_load_b64 v[28:29], v[26:27]
	s_wait_loadcnt_dscnt 0x0
	v_fma_f64 v[28:29], s[24:25], v[28:29], v[22:23]
	flat_store_b64 v[26:27], v[28:29]
	s_cbranch_execnz .LBB496_23
.LBB496_22:                             ;   in Loop: Header=BB496_6 Depth=1
	flat_store_b64 v[26:27], v[22:23]
.LBB496_23:                             ;   in Loop: Header=BB496_6 Depth=1
	s_wait_xcnt 0x0
	s_or_b32 exec_lo, exec_lo, s22
	v_lshl_add_u64 v[22:23], v[10:11], 3, v[24:25]
	s_and_saveexec_b32 s22, s35
	s_cbranch_execz .LBB496_27
; %bb.24:                               ;   in Loop: Header=BB496_6 Depth=1
	v_mul_f64_e32 v[20:21], s[10:11], v[20:21]
	s_delay_alu instid0(VALU_DEP_2)
	v_lshl_add_u64 v[24:25], v[12:13], 3, v[22:23]
	s_and_not1_b32 vcc_lo, exec_lo, s34
	s_cbranch_vccnz .LBB496_32
; %bb.25:                               ;   in Loop: Header=BB496_6 Depth=1
	flat_load_b64 v[26:27], v[24:25]
	s_wait_loadcnt_dscnt 0x0
	v_fma_f64 v[26:27], s[24:25], v[26:27], v[20:21]
	flat_store_b64 v[24:25], v[26:27]
	s_cbranch_execnz .LBB496_27
.LBB496_26:                             ;   in Loop: Header=BB496_6 Depth=1
	flat_store_b64 v[24:25], v[20:21]
.LBB496_27:                             ;   in Loop: Header=BB496_6 Depth=1
	s_wait_xcnt 0x0
	s_or_b32 exec_lo, exec_lo, s22
	s_and_saveexec_b32 s22, s36
	s_cbranch_execz .LBB496_5
; %bb.28:                               ;   in Loop: Header=BB496_6 Depth=1
	s_delay_alu instid0(VALU_DEP_4)
	v_mul_f64_e32 v[18:19], s[10:11], v[18:19]
	v_lshl_add_u64 v[20:21], v[14:15], 3, v[22:23]
	s_and_not1_b32 vcc_lo, exec_lo, s34
	s_cbranch_vccnz .LBB496_33
; %bb.29:                               ;   in Loop: Header=BB496_6 Depth=1
	flat_load_b64 v[22:23], v[20:21]
	s_wait_loadcnt_dscnt 0x0
	v_fma_f64 v[22:23], s[24:25], v[22:23], v[18:19]
	flat_store_b64 v[20:21], v[22:23]
	s_cbranch_execnz .LBB496_5
	s_branch .LBB496_34
.LBB496_30:                             ;   in Loop: Header=BB496_6 Depth=1
	s_branch .LBB496_18
.LBB496_31:                             ;   in Loop: Header=BB496_6 Depth=1
	s_branch .LBB496_22
.LBB496_32:                             ;   in Loop: Header=BB496_6 Depth=1
	s_branch .LBB496_26
.LBB496_33:                             ;   in Loop: Header=BB496_6 Depth=1
.LBB496_34:                             ;   in Loop: Header=BB496_6 Depth=1
	flat_store_b64 v[20:21], v[18:19]
	s_branch .LBB496_5
.LBB496_35:
	s_endpgm
	.section	.rodata,"a",@progbits
	.p2align	6, 0x0
	.amdhsa_kernel _ZL29rocblas_internal_gemmt_kernelIlLi16ELi32ELi8ELc78ELc84ELc76ELb0ELb0EddPKPKdPKPdEviT_T9_T10_S7_lS9_S7_lS8_T11_S7_li
		.amdhsa_group_segment_fixed_size 4096
		.amdhsa_private_segment_fixed_size 0
		.amdhsa_kernarg_size 108
		.amdhsa_user_sgpr_count 2
		.amdhsa_user_sgpr_dispatch_ptr 0
		.amdhsa_user_sgpr_queue_ptr 0
		.amdhsa_user_sgpr_kernarg_segment_ptr 1
		.amdhsa_user_sgpr_dispatch_id 0
		.amdhsa_user_sgpr_kernarg_preload_length 0
		.amdhsa_user_sgpr_kernarg_preload_offset 0
		.amdhsa_user_sgpr_private_segment_size 0
		.amdhsa_wavefront_size32 1
		.amdhsa_uses_dynamic_stack 0
		.amdhsa_enable_private_segment 0
		.amdhsa_system_sgpr_workgroup_id_x 1
		.amdhsa_system_sgpr_workgroup_id_y 1
		.amdhsa_system_sgpr_workgroup_id_z 1
		.amdhsa_system_sgpr_workgroup_info 0
		.amdhsa_system_vgpr_workitem_id 1
		.amdhsa_next_free_vgpr 54
		.amdhsa_next_free_sgpr 39
		.amdhsa_named_barrier_count 0
		.amdhsa_reserve_vcc 1
		.amdhsa_float_round_mode_32 0
		.amdhsa_float_round_mode_16_64 0
		.amdhsa_float_denorm_mode_32 3
		.amdhsa_float_denorm_mode_16_64 3
		.amdhsa_fp16_overflow 0
		.amdhsa_memory_ordered 1
		.amdhsa_forward_progress 1
		.amdhsa_inst_pref_size 13
		.amdhsa_round_robin_scheduling 0
		.amdhsa_exception_fp_ieee_invalid_op 0
		.amdhsa_exception_fp_denorm_src 0
		.amdhsa_exception_fp_ieee_div_zero 0
		.amdhsa_exception_fp_ieee_overflow 0
		.amdhsa_exception_fp_ieee_underflow 0
		.amdhsa_exception_fp_ieee_inexact 0
		.amdhsa_exception_int_div_zero 0
	.end_amdhsa_kernel
	.section	.text._ZL29rocblas_internal_gemmt_kernelIlLi16ELi32ELi8ELc78ELc84ELc76ELb0ELb0EddPKPKdPKPdEviT_T9_T10_S7_lS9_S7_lS8_T11_S7_li,"axG",@progbits,_ZL29rocblas_internal_gemmt_kernelIlLi16ELi32ELi8ELc78ELc84ELc76ELb0ELb0EddPKPKdPKPdEviT_T9_T10_S7_lS9_S7_lS8_T11_S7_li,comdat
.Lfunc_end496:
	.size	_ZL29rocblas_internal_gemmt_kernelIlLi16ELi32ELi8ELc78ELc84ELc76ELb0ELb0EddPKPKdPKPdEviT_T9_T10_S7_lS9_S7_lS8_T11_S7_li, .Lfunc_end496-_ZL29rocblas_internal_gemmt_kernelIlLi16ELi32ELi8ELc78ELc84ELc76ELb0ELb0EddPKPKdPKPdEviT_T9_T10_S7_lS9_S7_lS8_T11_S7_li
                                        ; -- End function
	.set _ZL29rocblas_internal_gemmt_kernelIlLi16ELi32ELi8ELc78ELc84ELc76ELb0ELb0EddPKPKdPKPdEviT_T9_T10_S7_lS9_S7_lS8_T11_S7_li.num_vgpr, 54
	.set _ZL29rocblas_internal_gemmt_kernelIlLi16ELi32ELi8ELc78ELc84ELc76ELb0ELb0EddPKPKdPKPdEviT_T9_T10_S7_lS9_S7_lS8_T11_S7_li.num_agpr, 0
	.set _ZL29rocblas_internal_gemmt_kernelIlLi16ELi32ELi8ELc78ELc84ELc76ELb0ELb0EddPKPKdPKPdEviT_T9_T10_S7_lS9_S7_lS8_T11_S7_li.numbered_sgpr, 39
	.set _ZL29rocblas_internal_gemmt_kernelIlLi16ELi32ELi8ELc78ELc84ELc76ELb0ELb0EddPKPKdPKPdEviT_T9_T10_S7_lS9_S7_lS8_T11_S7_li.num_named_barrier, 0
	.set _ZL29rocblas_internal_gemmt_kernelIlLi16ELi32ELi8ELc78ELc84ELc76ELb0ELb0EddPKPKdPKPdEviT_T9_T10_S7_lS9_S7_lS8_T11_S7_li.private_seg_size, 0
	.set _ZL29rocblas_internal_gemmt_kernelIlLi16ELi32ELi8ELc78ELc84ELc76ELb0ELb0EddPKPKdPKPdEviT_T9_T10_S7_lS9_S7_lS8_T11_S7_li.uses_vcc, 1
	.set _ZL29rocblas_internal_gemmt_kernelIlLi16ELi32ELi8ELc78ELc84ELc76ELb0ELb0EddPKPKdPKPdEviT_T9_T10_S7_lS9_S7_lS8_T11_S7_li.uses_flat_scratch, 0
	.set _ZL29rocblas_internal_gemmt_kernelIlLi16ELi32ELi8ELc78ELc84ELc76ELb0ELb0EddPKPKdPKPdEviT_T9_T10_S7_lS9_S7_lS8_T11_S7_li.has_dyn_sized_stack, 0
	.set _ZL29rocblas_internal_gemmt_kernelIlLi16ELi32ELi8ELc78ELc84ELc76ELb0ELb0EddPKPKdPKPdEviT_T9_T10_S7_lS9_S7_lS8_T11_S7_li.has_recursion, 0
	.set _ZL29rocblas_internal_gemmt_kernelIlLi16ELi32ELi8ELc78ELc84ELc76ELb0ELb0EddPKPKdPKPdEviT_T9_T10_S7_lS9_S7_lS8_T11_S7_li.has_indirect_call, 0
	.section	.AMDGPU.csdata,"",@progbits
; Kernel info:
; codeLenInByte = 1640
; TotalNumSgprs: 41
; NumVgprs: 54
; ScratchSize: 0
; MemoryBound: 0
; FloatMode: 240
; IeeeMode: 1
; LDSByteSize: 4096 bytes/workgroup (compile time only)
; SGPRBlocks: 0
; VGPRBlocks: 3
; NumSGPRsForWavesPerEU: 41
; NumVGPRsForWavesPerEU: 54
; NamedBarCnt: 0
; Occupancy: 16
; WaveLimiterHint : 1
; COMPUTE_PGM_RSRC2:SCRATCH_EN: 0
; COMPUTE_PGM_RSRC2:USER_SGPR: 2
; COMPUTE_PGM_RSRC2:TRAP_HANDLER: 0
; COMPUTE_PGM_RSRC2:TGID_X_EN: 1
; COMPUTE_PGM_RSRC2:TGID_Y_EN: 1
; COMPUTE_PGM_RSRC2:TGID_Z_EN: 1
; COMPUTE_PGM_RSRC2:TIDIG_COMP_CNT: 1
	.section	.text._ZL29rocblas_internal_gemmt_kernelIlLi16ELi32ELi8ELc78ELc67ELc76ELb0ELb0EddPKPKdPKPdEviT_T9_T10_S7_lS9_S7_lS8_T11_S7_li,"axG",@progbits,_ZL29rocblas_internal_gemmt_kernelIlLi16ELi32ELi8ELc78ELc67ELc76ELb0ELb0EddPKPKdPKPdEviT_T9_T10_S7_lS9_S7_lS8_T11_S7_li,comdat
	.globl	_ZL29rocblas_internal_gemmt_kernelIlLi16ELi32ELi8ELc78ELc67ELc76ELb0ELb0EddPKPKdPKPdEviT_T9_T10_S7_lS9_S7_lS8_T11_S7_li ; -- Begin function _ZL29rocblas_internal_gemmt_kernelIlLi16ELi32ELi8ELc78ELc67ELc76ELb0ELb0EddPKPKdPKPdEviT_T9_T10_S7_lS9_S7_lS8_T11_S7_li
	.p2align	8
	.type	_ZL29rocblas_internal_gemmt_kernelIlLi16ELi32ELi8ELc78ELc67ELc76ELb0ELb0EddPKPKdPKPdEviT_T9_T10_S7_lS9_S7_lS8_T11_S7_li,@function
_ZL29rocblas_internal_gemmt_kernelIlLi16ELi32ELi8ELc78ELc67ELc76ELb0ELb0EddPKPKdPKPdEviT_T9_T10_S7_lS9_S7_lS8_T11_S7_li: ; @_ZL29rocblas_internal_gemmt_kernelIlLi16ELi32ELi8ELc78ELc67ELc76ELb0ELb0EddPKPKdPKPdEviT_T9_T10_S7_lS9_S7_lS8_T11_S7_li
; %bb.0:
	s_clause 0x1
	s_load_b256 s[24:31], s[0:1], 0x48
	s_load_b512 s[8:23], s[0:1], 0x8
	s_wait_kmcnt 0x0
	v_cmp_neq_f64_e64 s2, s[24:25], 1.0
	s_and_b32 vcc_lo, exec_lo, s2
	s_cbranch_vccnz .LBB497_2
; %bb.1:
	v_cmp_neq_f64_e64 s2, s[10:11], 0
	s_cmp_lg_u64 s[8:9], 0
	s_cselect_b32 s3, -1, 0
	s_delay_alu instid0(SALU_CYCLE_1)
	s_and_b32 s2, s3, s2
.LBB497_2:
	s_delay_alu instid0(SALU_CYCLE_1)
	s_and_not1_b32 vcc_lo, exec_lo, s2
	s_cbranch_vccnz .LBB497_35
; %bb.3:
	s_load_b32 s33, s[0:1], 0x68
	s_bfe_u32 s2, ttmp6, 0x40014
	s_lshr_b32 s3, ttmp7, 16
	s_add_co_i32 s2, s2, 1
	s_bfe_u32 s5, ttmp6, 0x40008
	s_mul_i32 s4, s3, s2
	s_getreg_b32 s2, hwreg(HW_REG_IB_STS2, 6, 4)
	s_add_co_i32 s5, s5, s4
	s_cmp_eq_u32 s2, 0
	s_mov_b32 s7, 0
	s_cselect_b32 s6, s3, s5
	s_wait_kmcnt 0x0
	s_cmp_ge_u32 s6, s33
	s_cbranch_scc1 .LBB497_35
; %bb.4:
	s_bfe_u32 s3, ttmp6, 0x4000c
	s_bfe_u32 s5, ttmp6, 0x40010
	s_add_co_i32 s3, s3, 1
	s_and_b32 s34, ttmp7, 0xffff
	s_add_co_i32 s5, s5, 1
	v_and_b32_e32 v13, 0x3ff, v0
	v_bfe_u32 v15, v0, 10, 10
	s_and_b32 s4, ttmp6, 15
	s_mul_i32 s3, ttmp9, s3
	s_mul_i32 s5, s34, s5
	s_bfe_u32 s35, ttmp6, 0x40004
	s_add_co_i32 s4, s4, s3
	s_add_co_i32 s35, s35, s5
	s_cmp_eq_u32 s2, 0
	v_lshl_add_u32 v1, v15, 4, v13
	s_load_b32 s5, s[0:1], 0x0
	s_wait_xcnt 0x0
	s_cselect_b32 s0, s34, s35
	s_cselect_b32 s1, ttmp9, s4
	s_lshl_b32 s0, s0, 5
	s_delay_alu instid0(SALU_CYCLE_1) | instskip(SKIP_3) | instid1(VALU_DEP_2)
	v_dual_lshrrev_b32 v2, 5, v1 :: v_dual_add_nc_u32 v16, s0, v15
	v_dual_lshrrev_b32 v1, 3, v1 :: v_dual_bitop2_b32 v3, 31, v1 bitop3:0x40
	s_lshl_b32 s1, s1, 5
	v_cmp_neq_f64_e64 s37, s[10:11], 0
	v_dual_add_nc_u32 v18, 16, v16 :: v_dual_bitop2_b32 v4, s1, v3 bitop3:0x54
	v_ashrrev_i32_e32 v17, 31, v16
	v_cmp_neq_f64_e64 s34, s[24:25], 0
	v_dual_add_nc_u32 v6, s0, v1 :: v_dual_bitop2_b32 v0, 7, v0 bitop3:0x40
	s_delay_alu instid0(VALU_DEP_4) | instskip(NEXT) | instid1(VALU_DEP_4)
	v_ashrrev_i32_e32 v19, 31, v18
	v_mul_u64_e32 v[8:9], s[28:29], v[16:17]
	s_delay_alu instid0(VALU_DEP_3) | instskip(SKIP_1) | instid1(VALU_DEP_4)
	v_dual_lshlrev_b32 v3, 3, v3 :: v_dual_lshlrev_b32 v5, 3, v0
	v_add_nc_u32_e32 v12, s1, v13
	v_mul_u64_e32 v[10:11], s[28:29], v[18:19]
	v_cmp_gt_i64_e64 s38, s[8:9], 0
	s_wait_kmcnt 0x0
	v_cmp_gt_i32_e64 s0, s5, v4
	v_lshl_or_b32 v7, v1, 6, v5
	v_lshl_or_b32 v1, v2, 8, v3
	v_ashrrev_i32_e32 v5, 31, v4
	v_add_nc_u32_e32 v14, 16, v12
	v_cmp_le_i32_e32 vcc_lo, v16, v12
	v_add_nc_u32_e32 v3, 0x800, v7
	v_ashrrev_i32_e32 v7, 31, v6
	v_cmp_gt_i32_e64 s2, s5, v12
	v_cmp_gt_i32_e64 s1, s5, v6
	v_cmp_le_i32_e64 s3, v16, v14
	v_cmp_gt_i32_e64 s4, s5, v14
	v_cmp_le_i32_e64 s5, v18, v14
	s_and_b32 s28, vcc_lo, s2
	v_cmp_le_i32_e32 vcc_lo, v18, v12
	v_dual_lshlrev_b32 v36, 3, v13 :: v_dual_ashrrev_i32 v13, 31, v12
	v_lshl_add_u32 v37, v15, 6, 0x800
	v_dual_ashrrev_i32 v15, 31, v14 :: v_dual_mov_b32 v17, 0
	s_and_b32 s29, s3, s4
	s_and_b32 s35, vcc_lo, s2
	s_and_b32 s36, s5, s4
	s_and_b32 s37, s37, s38
	s_lshl_b64 s[2:3], s[22:23], 3
	s_lshl_b64 s[4:5], s[16:17], 3
	;; [unrolled: 1-line block ×3, first 2 shown]
	s_branch .LBB497_6
.LBB497_5:                              ;   in Loop: Header=BB497_6 Depth=1
	s_wait_xcnt 0x0
	s_or_b32 exec_lo, exec_lo, s22
	s_add_co_i32 s6, s6, 0x10000
	s_delay_alu instid0(SALU_CYCLE_1)
	s_cmp_lt_u32 s6, s33
	s_cbranch_scc0 .LBB497_35
.LBB497_6:                              ; =>This Loop Header: Depth=1
                                        ;     Child Loop BB497_9 Depth 2
	v_mov_b32_e32 v16, s6
	v_mov_b64_e32 v[26:27], 0
	v_mov_b64_e32 v[22:23], 0
	;; [unrolled: 1-line block ×4, first 2 shown]
	global_load_b64 v[24:25], v16, s[26:27] scale_offset
	s_and_not1_b32 vcc_lo, exec_lo, s37
	s_cbranch_vccnz .LBB497_15
; %bb.7:                                ;   in Loop: Header=BB497_6 Depth=1
	s_lshl_b64 s[22:23], s[6:7], 3
	v_mov_b64_e32 v[22:23], 0
	s_add_nc_u64 s[30:31], s[12:13], s[22:23]
	s_add_nc_u64 s[22:23], s[18:19], s[22:23]
	s_clause 0x1
	global_load_b64 v[18:19], v17, s[30:31]
	global_load_b64 v[20:21], v17, s[22:23]
	v_mov_b64_e32 v[26:27], 0
	s_wait_xcnt 0x0
	s_mov_b64 s[22:23], 0
	s_wait_loadcnt 0x1
	v_add_nc_u64_e32 v[28:29], s[4:5], v[18:19]
	s_wait_loadcnt 0x0
	v_add_nc_u64_e32 v[30:31], s[2:3], v[20:21]
	v_mov_b64_e32 v[18:19], 0
	v_mov_b64_e32 v[20:21], 0
	s_delay_alu instid0(VALU_DEP_4) | instskip(NEXT) | instid1(VALU_DEP_4)
	v_lshl_add_u64 v[28:29], v[4:5], 3, v[28:29]
	v_lshl_add_u64 v[30:31], v[6:7], 3, v[30:31]
	s_branch .LBB497_9
.LBB497_8:                              ;   in Loop: Header=BB497_9 Depth=2
	s_wait_xcnt 0x0
	s_or_b32 exec_lo, exec_lo, s30
	s_wait_loadcnt_dscnt 0x0
	ds_store_b64 v3, v[34:35]
	s_wait_dscnt 0x0
	s_barrier_signal -1
	s_barrier_wait -1
	ds_load_b128 v[32:35], v37
	ds_load_2addr_b64 v[38:41], v36 offset1:16
	ds_load_b128 v[42:45], v37 offset:1024
	ds_load_b128 v[46:49], v37 offset:16
	;; [unrolled: 1-line block ×3, first 2 shown]
	s_add_nc_u64 s[22:23], s[22:23], 8
	s_delay_alu instid0(SALU_CYCLE_1)
	v_cmp_gt_i64_e64 s30, s[8:9], s[22:23]
	s_and_b32 vcc_lo, exec_lo, s30
	s_wait_dscnt 0x3
	v_fmac_f64_e32 v[26:27], v[38:39], v[32:33]
	v_fmac_f64_e32 v[22:23], v[40:41], v[32:33]
	s_wait_dscnt 0x2
	v_fmac_f64_e32 v[20:21], v[38:39], v[42:43]
	v_fmac_f64_e32 v[18:19], v[40:41], v[42:43]
	ds_load_2addr_b64 v[38:41], v36 offset0:32 offset1:48
	s_wait_dscnt 0x0
	v_fmac_f64_e32 v[26:27], v[38:39], v[34:35]
	v_fmac_f64_e32 v[22:23], v[40:41], v[34:35]
	v_fmac_f64_e32 v[20:21], v[38:39], v[44:45]
	v_fmac_f64_e32 v[18:19], v[40:41], v[44:45]
	ds_load_2addr_b64 v[32:35], v36 offset0:64 offset1:80
	s_wait_dscnt 0x0
	v_fmac_f64_e32 v[26:27], v[32:33], v[46:47]
	v_fmac_f64_e32 v[22:23], v[34:35], v[46:47]
	v_fmac_f64_e32 v[20:21], v[32:33], v[50:51]
	v_fmac_f64_e32 v[18:19], v[34:35], v[50:51]
	ds_load_2addr_b64 v[32:35], v36 offset0:96 offset1:112
	s_wait_dscnt 0x0
	v_fmac_f64_e32 v[26:27], v[32:33], v[48:49]
	v_fmac_f64_e32 v[22:23], v[34:35], v[48:49]
	v_fmac_f64_e32 v[20:21], v[32:33], v[52:53]
	v_fmac_f64_e32 v[18:19], v[34:35], v[52:53]
	ds_load_b128 v[32:35], v37 offset:32
	ds_load_2addr_b64 v[38:41], v36 offset0:128 offset1:144
	ds_load_b128 v[42:45], v37 offset:1056
	ds_load_b128 v[46:49], v37 offset:48
	;; [unrolled: 1-line block ×3, first 2 shown]
	s_wait_dscnt 0x3
	v_fmac_f64_e32 v[26:27], v[38:39], v[32:33]
	v_fmac_f64_e32 v[22:23], v[40:41], v[32:33]
	s_wait_dscnt 0x2
	v_fmac_f64_e32 v[20:21], v[38:39], v[42:43]
	v_fmac_f64_e32 v[18:19], v[40:41], v[42:43]
	ds_load_2addr_b64 v[38:41], v36 offset0:160 offset1:176
	s_wait_dscnt 0x0
	v_fmac_f64_e32 v[26:27], v[38:39], v[34:35]
	v_fmac_f64_e32 v[22:23], v[40:41], v[34:35]
	;; [unrolled: 1-line block ×4, first 2 shown]
	ds_load_2addr_b64 v[32:35], v36 offset0:192 offset1:208
	s_wait_dscnt 0x0
	v_fmac_f64_e32 v[26:27], v[32:33], v[46:47]
	v_fmac_f64_e32 v[22:23], v[34:35], v[46:47]
	;; [unrolled: 1-line block ×4, first 2 shown]
	ds_load_2addr_b64 v[32:35], v36 offset0:224 offset1:240
	s_wait_dscnt 0x0
	s_barrier_signal -1
	s_barrier_wait -1
	v_fmac_f64_e32 v[26:27], v[32:33], v[48:49]
	v_fmac_f64_e32 v[22:23], v[34:35], v[48:49]
	;; [unrolled: 1-line block ×4, first 2 shown]
	s_cbranch_vccz .LBB497_15
.LBB497_9:                              ;   Parent Loop BB497_6 Depth=1
                                        ; =>  This Inner Loop Header: Depth=2
	v_mov_b64_e32 v[32:33], 0
	s_and_saveexec_b32 s30, s0
	s_cbranch_execz .LBB497_13
; %bb.10:                               ;   in Loop: Header=BB497_9 Depth=2
	v_mov_b64_e32 v[32:33], 0
	v_add_nc_u32_e32 v16, s22, v2
	s_mov_b32 s31, exec_lo
	s_delay_alu instid0(VALU_DEP_1)
	v_cmpx_gt_u64_e64 s[8:9], v[16:17]
	s_cbranch_execz .LBB497_12
; %bb.11:                               ;   in Loop: Header=BB497_9 Depth=2
	v_mul_u64_e32 v[32:33], s[14:15], v[16:17]
	s_delay_alu instid0(VALU_DEP_1)
	v_lshl_add_u64 v[32:33], v[32:33], 3, v[28:29]
	flat_load_b64 v[32:33], v[32:33]
.LBB497_12:                             ;   in Loop: Header=BB497_9 Depth=2
	s_wait_xcnt 0x0
	s_or_b32 exec_lo, exec_lo, s31
.LBB497_13:                             ;   in Loop: Header=BB497_9 Depth=2
	s_delay_alu instid0(SALU_CYCLE_1)
	s_or_b32 exec_lo, exec_lo, s30
	v_add_nc_u32_e32 v16, s22, v0
	v_mov_b64_e32 v[34:35], 0
	s_wait_loadcnt_dscnt 0x0
	ds_store_b64 v1, v[32:33]
	v_cmp_gt_u64_e32 vcc_lo, s[8:9], v[16:17]
	s_and_b32 s31, vcc_lo, s1
	s_delay_alu instid0(SALU_CYCLE_1)
	s_and_saveexec_b32 s30, s31
	s_cbranch_execz .LBB497_8
; %bb.14:                               ;   in Loop: Header=BB497_9 Depth=2
	v_mul_u64_e32 v[32:33], s[20:21], v[16:17]
	s_delay_alu instid0(VALU_DEP_1)
	v_lshl_add_u64 v[32:33], v[32:33], 3, v[30:31]
	flat_load_b64 v[34:35], v[32:33]
	s_branch .LBB497_8
.LBB497_15:                             ;   in Loop: Header=BB497_6 Depth=1
	s_wait_loadcnt 0x0
	v_add_nc_u64_e32 v[24:25], s[16:17], v[24:25]
	s_delay_alu instid0(VALU_DEP_1)
	v_lshl_add_u64 v[28:29], v[8:9], 3, v[24:25]
	s_wait_xcnt 0x0
	s_and_saveexec_b32 s22, s28
	s_cbranch_execz .LBB497_19
; %bb.16:                               ;   in Loop: Header=BB497_6 Depth=1
	v_mul_f64_e32 v[26:27], s[10:11], v[26:27]
	v_lshl_add_u64 v[30:31], v[12:13], 3, v[28:29]
	s_and_b32 vcc_lo, exec_lo, s34
	s_cbranch_vccz .LBB497_30
; %bb.17:                               ;   in Loop: Header=BB497_6 Depth=1
	flat_load_b64 v[32:33], v[30:31]
	s_wait_loadcnt_dscnt 0x0
	v_fma_f64 v[32:33], s[24:25], v[32:33], v[26:27]
	flat_store_b64 v[30:31], v[32:33]
	s_cbranch_execnz .LBB497_19
.LBB497_18:                             ;   in Loop: Header=BB497_6 Depth=1
	flat_store_b64 v[30:31], v[26:27]
.LBB497_19:                             ;   in Loop: Header=BB497_6 Depth=1
	s_wait_xcnt 0x0
	s_or_b32 exec_lo, exec_lo, s22
	s_and_saveexec_b32 s22, s29
	s_cbranch_execz .LBB497_23
; %bb.20:                               ;   in Loop: Header=BB497_6 Depth=1
	v_mul_f64_e32 v[22:23], s[10:11], v[22:23]
	v_lshl_add_u64 v[26:27], v[14:15], 3, v[28:29]
	s_and_not1_b32 vcc_lo, exec_lo, s34
	s_cbranch_vccnz .LBB497_31
; %bb.21:                               ;   in Loop: Header=BB497_6 Depth=1
	flat_load_b64 v[28:29], v[26:27]
	s_wait_loadcnt_dscnt 0x0
	v_fma_f64 v[28:29], s[24:25], v[28:29], v[22:23]
	flat_store_b64 v[26:27], v[28:29]
	s_cbranch_execnz .LBB497_23
.LBB497_22:                             ;   in Loop: Header=BB497_6 Depth=1
	flat_store_b64 v[26:27], v[22:23]
.LBB497_23:                             ;   in Loop: Header=BB497_6 Depth=1
	s_wait_xcnt 0x0
	s_or_b32 exec_lo, exec_lo, s22
	v_lshl_add_u64 v[22:23], v[10:11], 3, v[24:25]
	s_and_saveexec_b32 s22, s35
	s_cbranch_execz .LBB497_27
; %bb.24:                               ;   in Loop: Header=BB497_6 Depth=1
	v_mul_f64_e32 v[20:21], s[10:11], v[20:21]
	s_delay_alu instid0(VALU_DEP_2)
	v_lshl_add_u64 v[24:25], v[12:13], 3, v[22:23]
	s_and_not1_b32 vcc_lo, exec_lo, s34
	s_cbranch_vccnz .LBB497_32
; %bb.25:                               ;   in Loop: Header=BB497_6 Depth=1
	flat_load_b64 v[26:27], v[24:25]
	s_wait_loadcnt_dscnt 0x0
	v_fma_f64 v[26:27], s[24:25], v[26:27], v[20:21]
	flat_store_b64 v[24:25], v[26:27]
	s_cbranch_execnz .LBB497_27
.LBB497_26:                             ;   in Loop: Header=BB497_6 Depth=1
	flat_store_b64 v[24:25], v[20:21]
.LBB497_27:                             ;   in Loop: Header=BB497_6 Depth=1
	s_wait_xcnt 0x0
	s_or_b32 exec_lo, exec_lo, s22
	s_and_saveexec_b32 s22, s36
	s_cbranch_execz .LBB497_5
; %bb.28:                               ;   in Loop: Header=BB497_6 Depth=1
	s_delay_alu instid0(VALU_DEP_4)
	v_mul_f64_e32 v[18:19], s[10:11], v[18:19]
	v_lshl_add_u64 v[20:21], v[14:15], 3, v[22:23]
	s_and_not1_b32 vcc_lo, exec_lo, s34
	s_cbranch_vccnz .LBB497_33
; %bb.29:                               ;   in Loop: Header=BB497_6 Depth=1
	flat_load_b64 v[22:23], v[20:21]
	s_wait_loadcnt_dscnt 0x0
	v_fma_f64 v[22:23], s[24:25], v[22:23], v[18:19]
	flat_store_b64 v[20:21], v[22:23]
	s_cbranch_execnz .LBB497_5
	s_branch .LBB497_34
.LBB497_30:                             ;   in Loop: Header=BB497_6 Depth=1
	s_branch .LBB497_18
.LBB497_31:                             ;   in Loop: Header=BB497_6 Depth=1
	s_branch .LBB497_22
.LBB497_32:                             ;   in Loop: Header=BB497_6 Depth=1
	s_branch .LBB497_26
.LBB497_33:                             ;   in Loop: Header=BB497_6 Depth=1
.LBB497_34:                             ;   in Loop: Header=BB497_6 Depth=1
	flat_store_b64 v[20:21], v[18:19]
	s_branch .LBB497_5
.LBB497_35:
	s_endpgm
	.section	.rodata,"a",@progbits
	.p2align	6, 0x0
	.amdhsa_kernel _ZL29rocblas_internal_gemmt_kernelIlLi16ELi32ELi8ELc78ELc67ELc76ELb0ELb0EddPKPKdPKPdEviT_T9_T10_S7_lS9_S7_lS8_T11_S7_li
		.amdhsa_group_segment_fixed_size 4096
		.amdhsa_private_segment_fixed_size 0
		.amdhsa_kernarg_size 108
		.amdhsa_user_sgpr_count 2
		.amdhsa_user_sgpr_dispatch_ptr 0
		.amdhsa_user_sgpr_queue_ptr 0
		.amdhsa_user_sgpr_kernarg_segment_ptr 1
		.amdhsa_user_sgpr_dispatch_id 0
		.amdhsa_user_sgpr_kernarg_preload_length 0
		.amdhsa_user_sgpr_kernarg_preload_offset 0
		.amdhsa_user_sgpr_private_segment_size 0
		.amdhsa_wavefront_size32 1
		.amdhsa_uses_dynamic_stack 0
		.amdhsa_enable_private_segment 0
		.amdhsa_system_sgpr_workgroup_id_x 1
		.amdhsa_system_sgpr_workgroup_id_y 1
		.amdhsa_system_sgpr_workgroup_id_z 1
		.amdhsa_system_sgpr_workgroup_info 0
		.amdhsa_system_vgpr_workitem_id 1
		.amdhsa_next_free_vgpr 54
		.amdhsa_next_free_sgpr 39
		.amdhsa_named_barrier_count 0
		.amdhsa_reserve_vcc 1
		.amdhsa_float_round_mode_32 0
		.amdhsa_float_round_mode_16_64 0
		.amdhsa_float_denorm_mode_32 3
		.amdhsa_float_denorm_mode_16_64 3
		.amdhsa_fp16_overflow 0
		.amdhsa_memory_ordered 1
		.amdhsa_forward_progress 1
		.amdhsa_inst_pref_size 13
		.amdhsa_round_robin_scheduling 0
		.amdhsa_exception_fp_ieee_invalid_op 0
		.amdhsa_exception_fp_denorm_src 0
		.amdhsa_exception_fp_ieee_div_zero 0
		.amdhsa_exception_fp_ieee_overflow 0
		.amdhsa_exception_fp_ieee_underflow 0
		.amdhsa_exception_fp_ieee_inexact 0
		.amdhsa_exception_int_div_zero 0
	.end_amdhsa_kernel
	.section	.text._ZL29rocblas_internal_gemmt_kernelIlLi16ELi32ELi8ELc78ELc67ELc76ELb0ELb0EddPKPKdPKPdEviT_T9_T10_S7_lS9_S7_lS8_T11_S7_li,"axG",@progbits,_ZL29rocblas_internal_gemmt_kernelIlLi16ELi32ELi8ELc78ELc67ELc76ELb0ELb0EddPKPKdPKPdEviT_T9_T10_S7_lS9_S7_lS8_T11_S7_li,comdat
.Lfunc_end497:
	.size	_ZL29rocblas_internal_gemmt_kernelIlLi16ELi32ELi8ELc78ELc67ELc76ELb0ELb0EddPKPKdPKPdEviT_T9_T10_S7_lS9_S7_lS8_T11_S7_li, .Lfunc_end497-_ZL29rocblas_internal_gemmt_kernelIlLi16ELi32ELi8ELc78ELc67ELc76ELb0ELb0EddPKPKdPKPdEviT_T9_T10_S7_lS9_S7_lS8_T11_S7_li
                                        ; -- End function
	.set _ZL29rocblas_internal_gemmt_kernelIlLi16ELi32ELi8ELc78ELc67ELc76ELb0ELb0EddPKPKdPKPdEviT_T9_T10_S7_lS9_S7_lS8_T11_S7_li.num_vgpr, 54
	.set _ZL29rocblas_internal_gemmt_kernelIlLi16ELi32ELi8ELc78ELc67ELc76ELb0ELb0EddPKPKdPKPdEviT_T9_T10_S7_lS9_S7_lS8_T11_S7_li.num_agpr, 0
	.set _ZL29rocblas_internal_gemmt_kernelIlLi16ELi32ELi8ELc78ELc67ELc76ELb0ELb0EddPKPKdPKPdEviT_T9_T10_S7_lS9_S7_lS8_T11_S7_li.numbered_sgpr, 39
	.set _ZL29rocblas_internal_gemmt_kernelIlLi16ELi32ELi8ELc78ELc67ELc76ELb0ELb0EddPKPKdPKPdEviT_T9_T10_S7_lS9_S7_lS8_T11_S7_li.num_named_barrier, 0
	.set _ZL29rocblas_internal_gemmt_kernelIlLi16ELi32ELi8ELc78ELc67ELc76ELb0ELb0EddPKPKdPKPdEviT_T9_T10_S7_lS9_S7_lS8_T11_S7_li.private_seg_size, 0
	.set _ZL29rocblas_internal_gemmt_kernelIlLi16ELi32ELi8ELc78ELc67ELc76ELb0ELb0EddPKPKdPKPdEviT_T9_T10_S7_lS9_S7_lS8_T11_S7_li.uses_vcc, 1
	.set _ZL29rocblas_internal_gemmt_kernelIlLi16ELi32ELi8ELc78ELc67ELc76ELb0ELb0EddPKPKdPKPdEviT_T9_T10_S7_lS9_S7_lS8_T11_S7_li.uses_flat_scratch, 0
	.set _ZL29rocblas_internal_gemmt_kernelIlLi16ELi32ELi8ELc78ELc67ELc76ELb0ELb0EddPKPKdPKPdEviT_T9_T10_S7_lS9_S7_lS8_T11_S7_li.has_dyn_sized_stack, 0
	.set _ZL29rocblas_internal_gemmt_kernelIlLi16ELi32ELi8ELc78ELc67ELc76ELb0ELb0EddPKPKdPKPdEviT_T9_T10_S7_lS9_S7_lS8_T11_S7_li.has_recursion, 0
	.set _ZL29rocblas_internal_gemmt_kernelIlLi16ELi32ELi8ELc78ELc67ELc76ELb0ELb0EddPKPKdPKPdEviT_T9_T10_S7_lS9_S7_lS8_T11_S7_li.has_indirect_call, 0
	.section	.AMDGPU.csdata,"",@progbits
; Kernel info:
; codeLenInByte = 1640
; TotalNumSgprs: 41
; NumVgprs: 54
; ScratchSize: 0
; MemoryBound: 0
; FloatMode: 240
; IeeeMode: 1
; LDSByteSize: 4096 bytes/workgroup (compile time only)
; SGPRBlocks: 0
; VGPRBlocks: 3
; NumSGPRsForWavesPerEU: 41
; NumVGPRsForWavesPerEU: 54
; NamedBarCnt: 0
; Occupancy: 16
; WaveLimiterHint : 1
; COMPUTE_PGM_RSRC2:SCRATCH_EN: 0
; COMPUTE_PGM_RSRC2:USER_SGPR: 2
; COMPUTE_PGM_RSRC2:TRAP_HANDLER: 0
; COMPUTE_PGM_RSRC2:TGID_X_EN: 1
; COMPUTE_PGM_RSRC2:TGID_Y_EN: 1
; COMPUTE_PGM_RSRC2:TGID_Z_EN: 1
; COMPUTE_PGM_RSRC2:TIDIG_COMP_CNT: 1
	.section	.text._ZL29rocblas_internal_gemmt_kernelIlLi16ELi32ELi8ELc84ELc78ELc76ELb0ELb0EddPKPKdPKPdEviT_T9_T10_S7_lS9_S7_lS8_T11_S7_li,"axG",@progbits,_ZL29rocblas_internal_gemmt_kernelIlLi16ELi32ELi8ELc84ELc78ELc76ELb0ELb0EddPKPKdPKPdEviT_T9_T10_S7_lS9_S7_lS8_T11_S7_li,comdat
	.globl	_ZL29rocblas_internal_gemmt_kernelIlLi16ELi32ELi8ELc84ELc78ELc76ELb0ELb0EddPKPKdPKPdEviT_T9_T10_S7_lS9_S7_lS8_T11_S7_li ; -- Begin function _ZL29rocblas_internal_gemmt_kernelIlLi16ELi32ELi8ELc84ELc78ELc76ELb0ELb0EddPKPKdPKPdEviT_T9_T10_S7_lS9_S7_lS8_T11_S7_li
	.p2align	8
	.type	_ZL29rocblas_internal_gemmt_kernelIlLi16ELi32ELi8ELc84ELc78ELc76ELb0ELb0EddPKPKdPKPdEviT_T9_T10_S7_lS9_S7_lS8_T11_S7_li,@function
_ZL29rocblas_internal_gemmt_kernelIlLi16ELi32ELi8ELc84ELc78ELc76ELb0ELb0EddPKPKdPKPdEviT_T9_T10_S7_lS9_S7_lS8_T11_S7_li: ; @_ZL29rocblas_internal_gemmt_kernelIlLi16ELi32ELi8ELc84ELc78ELc76ELb0ELb0EddPKPKdPKPdEviT_T9_T10_S7_lS9_S7_lS8_T11_S7_li
; %bb.0:
	s_clause 0x1
	s_load_b256 s[24:31], s[0:1], 0x48
	s_load_b512 s[8:23], s[0:1], 0x8
	s_wait_kmcnt 0x0
	v_cmp_neq_f64_e64 s2, s[24:25], 1.0
	s_and_b32 vcc_lo, exec_lo, s2
	s_cbranch_vccnz .LBB498_2
; %bb.1:
	v_cmp_neq_f64_e64 s2, s[10:11], 0
	s_cmp_lg_u64 s[8:9], 0
	s_cselect_b32 s3, -1, 0
	s_delay_alu instid0(SALU_CYCLE_1)
	s_and_b32 s2, s3, s2
.LBB498_2:
	s_delay_alu instid0(SALU_CYCLE_1)
	s_and_not1_b32 vcc_lo, exec_lo, s2
	s_cbranch_vccnz .LBB498_35
; %bb.3:
	s_load_b32 s33, s[0:1], 0x68
	s_bfe_u32 s2, ttmp6, 0x40014
	s_lshr_b32 s3, ttmp7, 16
	s_add_co_i32 s2, s2, 1
	s_bfe_u32 s5, ttmp6, 0x40008
	s_mul_i32 s4, s3, s2
	s_getreg_b32 s2, hwreg(HW_REG_IB_STS2, 6, 4)
	s_add_co_i32 s5, s5, s4
	s_cmp_eq_u32 s2, 0
	s_mov_b32 s7, 0
	s_cselect_b32 s6, s3, s5
	s_wait_kmcnt 0x0
	s_cmp_ge_u32 s6, s33
	s_cbranch_scc1 .LBB498_35
; %bb.4:
	v_and_b32_e32 v13, 0x3ff, v0
	v_bfe_u32 v22, v0, 10, 10
	s_bfe_u32 s3, ttmp6, 0x4000c
	s_bfe_u32 s5, ttmp6, 0x40010
	s_add_co_i32 s3, s3, 1
	s_and_b32 s34, ttmp7, 0xffff
	s_add_co_i32 s5, s5, 1
	v_lshl_add_u32 v1, v22, 4, v13
	s_and_b32 s4, ttmp6, 15
	s_mul_i32 s3, ttmp9, s3
	s_mul_i32 s5, s34, s5
	s_bfe_u32 s35, ttmp6, 0x40004
	s_add_co_i32 s4, s4, s3
	s_add_co_i32 s35, s35, s5
	s_cmp_eq_u32 s2, 0
	v_dual_lshrrev_b32 v12, 3, v1 :: v_dual_bitop2_b32 v11, 31, v1 bitop3:0x40
	s_cselect_b32 s2, ttmp9, s4
	s_cselect_b32 s3, s34, s35
	s_lshl_b32 s2, s2, 5
	s_lshl_b32 s3, s3, 5
	s_delay_alu instid0(SALU_CYCLE_1)
	v_dual_add_nc_u32 v16, s3, v22 :: v_dual_bitop2_b32 v14, s2, v11 bitop3:0x54
	v_add_nc_u32_e32 v18, s3, v12
	v_cmp_neq_f64_e64 s35, s[10:11], 0
	s_load_b32 s4, s[0:1], 0x0
	v_dual_ashrrev_i32 v15, 31, v14 :: v_dual_add_nc_u32 v20, 16, v16
	v_ashrrev_i32_e32 v17, 31, v16
	v_dual_ashrrev_i32 v19, 31, v18 :: v_dual_bitop2_b32 v0, 7, v0 bitop3:0x40
	s_delay_alu instid0(VALU_DEP_3) | instskip(NEXT) | instid1(VALU_DEP_4)
	v_mul_u64_e32 v[2:3], s[14:15], v[14:15]
	v_dual_ashrrev_i32 v21, 31, v20 :: v_dual_lshrrev_b32 v10, 5, v1
	s_delay_alu instid0(VALU_DEP_4) | instskip(NEXT) | instid1(VALU_DEP_4)
	v_mul_u64_e32 v[6:7], s[28:29], v[16:17]
	v_mul_u64_e32 v[4:5], s[20:21], v[18:19]
	v_cmp_neq_f64_e64 s20, s[24:25], 0
	s_delay_alu instid0(VALU_DEP_4) | instskip(SKIP_4) | instid1(VALU_DEP_4)
	v_mul_u64_e32 v[8:9], s[28:29], v[20:21]
	v_dual_lshlrev_b32 v15, 3, v0 :: v_dual_lshlrev_b32 v1, 3, v11
	v_lshlrev_b32_e32 v36, 3, v13
	v_cmp_gt_i64_e64 s14, s[8:9], 0
	v_lshl_add_u32 v37, v22, 6, 0x800
	v_lshl_or_b32 v11, v12, 6, v15
	v_add_nc_u32_e32 v12, s2, v13
	s_wait_kmcnt 0x0
	v_cmp_gt_i32_e64 s0, s4, v14
	v_cmp_gt_i32_e64 s1, s4, v18
	v_lshl_or_b32 v1, v10, 8, v1
	v_add_nc_u32_e32 v11, 0x800, v11
	v_dual_add_nc_u32 v14, 16, v12 :: v_dual_ashrrev_i32 v13, 31, v12
	v_cmp_le_i32_e32 vcc_lo, v16, v12
	v_cmp_gt_i32_e64 s2, s4, v12
	s_delay_alu instid0(VALU_DEP_3)
	v_dual_mov_b32 v17, 0 :: v_dual_ashrrev_i32 v15, 31, v14
	v_cmp_le_i32_e64 s3, v16, v14
	v_cmp_gt_i32_e64 s4, s4, v14
	s_and_b32 s21, vcc_lo, s2
	v_cmp_le_i32_e32 vcc_lo, v20, v12
	v_cmp_le_i32_e64 s5, v20, v14
	s_and_b32 s35, s35, s14
	s_and_b32 s28, s3, s4
	s_lshl_b64 s[14:15], s[30:31], 3
	s_and_b32 s29, vcc_lo, s2
	s_and_b32 s34, s5, s4
	s_lshl_b64 s[2:3], s[22:23], 3
	s_lshl_b64 s[4:5], s[16:17], 3
	s_branch .LBB498_6
.LBB498_5:                              ;   in Loop: Header=BB498_6 Depth=1
	s_wait_xcnt 0x0
	s_or_b32 exec_lo, exec_lo, s16
	s_add_co_i32 s6, s6, 0x10000
	s_delay_alu instid0(SALU_CYCLE_1)
	s_cmp_lt_u32 s6, s33
	s_cbranch_scc0 .LBB498_35
.LBB498_6:                              ; =>This Loop Header: Depth=1
                                        ;     Child Loop BB498_9 Depth 2
	v_mov_b32_e32 v16, s6
	v_mov_b64_e32 v[26:27], 0
	v_mov_b64_e32 v[22:23], 0
	;; [unrolled: 1-line block ×4, first 2 shown]
	global_load_b64 v[24:25], v16, s[26:27] scale_offset
	s_and_not1_b32 vcc_lo, exec_lo, s35
	s_cbranch_vccnz .LBB498_15
; %bb.7:                                ;   in Loop: Header=BB498_6 Depth=1
	s_lshl_b64 s[16:17], s[6:7], 3
	v_mov_b64_e32 v[22:23], 0
	s_add_nc_u64 s[22:23], s[12:13], s[16:17]
	s_add_nc_u64 s[16:17], s[18:19], s[16:17]
	s_clause 0x1
	global_load_b64 v[18:19], v17, s[22:23]
	global_load_b64 v[20:21], v17, s[16:17]
	v_mov_b64_e32 v[26:27], 0
	s_wait_xcnt 0x0
	s_mov_b64 s[16:17], 0
	s_wait_loadcnt 0x1
	v_add_nc_u64_e32 v[28:29], s[4:5], v[18:19]
	s_wait_loadcnt 0x0
	v_add_nc_u64_e32 v[30:31], s[2:3], v[20:21]
	v_mov_b64_e32 v[18:19], 0
	v_mov_b64_e32 v[20:21], 0
	s_delay_alu instid0(VALU_DEP_4) | instskip(NEXT) | instid1(VALU_DEP_4)
	v_lshl_add_u64 v[28:29], v[2:3], 3, v[28:29]
	v_lshl_add_u64 v[30:31], v[4:5], 3, v[30:31]
	s_branch .LBB498_9
.LBB498_8:                              ;   in Loop: Header=BB498_9 Depth=2
	s_wait_xcnt 0x0
	s_or_b32 exec_lo, exec_lo, s22
	s_wait_loadcnt_dscnt 0x0
	ds_store_b64 v11, v[34:35]
	s_wait_dscnt 0x0
	s_barrier_signal -1
	s_barrier_wait -1
	ds_load_b128 v[32:35], v37
	ds_load_2addr_b64 v[38:41], v36 offset1:16
	ds_load_b128 v[42:45], v37 offset:1024
	ds_load_b128 v[46:49], v37 offset:16
	;; [unrolled: 1-line block ×3, first 2 shown]
	s_add_nc_u64 s[16:17], s[16:17], 8
	s_delay_alu instid0(SALU_CYCLE_1)
	v_cmp_gt_i64_e64 s22, s[8:9], s[16:17]
	s_and_b32 vcc_lo, exec_lo, s22
	s_wait_dscnt 0x3
	v_fmac_f64_e32 v[26:27], v[38:39], v[32:33]
	v_fmac_f64_e32 v[22:23], v[40:41], v[32:33]
	s_wait_dscnt 0x2
	v_fmac_f64_e32 v[20:21], v[38:39], v[42:43]
	v_fmac_f64_e32 v[18:19], v[40:41], v[42:43]
	ds_load_2addr_b64 v[38:41], v36 offset0:32 offset1:48
	s_wait_dscnt 0x0
	v_fmac_f64_e32 v[26:27], v[38:39], v[34:35]
	v_fmac_f64_e32 v[22:23], v[40:41], v[34:35]
	v_fmac_f64_e32 v[20:21], v[38:39], v[44:45]
	v_fmac_f64_e32 v[18:19], v[40:41], v[44:45]
	ds_load_2addr_b64 v[32:35], v36 offset0:64 offset1:80
	s_wait_dscnt 0x0
	v_fmac_f64_e32 v[26:27], v[32:33], v[46:47]
	v_fmac_f64_e32 v[22:23], v[34:35], v[46:47]
	;; [unrolled: 6-line block ×3, first 2 shown]
	v_fmac_f64_e32 v[20:21], v[32:33], v[52:53]
	v_fmac_f64_e32 v[18:19], v[34:35], v[52:53]
	ds_load_b128 v[32:35], v37 offset:32
	ds_load_2addr_b64 v[38:41], v36 offset0:128 offset1:144
	ds_load_b128 v[42:45], v37 offset:1056
	ds_load_b128 v[46:49], v37 offset:48
	;; [unrolled: 1-line block ×3, first 2 shown]
	s_wait_dscnt 0x3
	v_fmac_f64_e32 v[26:27], v[38:39], v[32:33]
	v_fmac_f64_e32 v[22:23], v[40:41], v[32:33]
	s_wait_dscnt 0x2
	v_fmac_f64_e32 v[20:21], v[38:39], v[42:43]
	v_fmac_f64_e32 v[18:19], v[40:41], v[42:43]
	ds_load_2addr_b64 v[38:41], v36 offset0:160 offset1:176
	s_wait_dscnt 0x0
	v_fmac_f64_e32 v[26:27], v[38:39], v[34:35]
	v_fmac_f64_e32 v[22:23], v[40:41], v[34:35]
	;; [unrolled: 1-line block ×4, first 2 shown]
	ds_load_2addr_b64 v[32:35], v36 offset0:192 offset1:208
	s_wait_dscnt 0x0
	v_fmac_f64_e32 v[26:27], v[32:33], v[46:47]
	v_fmac_f64_e32 v[22:23], v[34:35], v[46:47]
	;; [unrolled: 1-line block ×4, first 2 shown]
	ds_load_2addr_b64 v[32:35], v36 offset0:224 offset1:240
	s_wait_dscnt 0x0
	s_barrier_signal -1
	s_barrier_wait -1
	v_fmac_f64_e32 v[26:27], v[32:33], v[48:49]
	v_fmac_f64_e32 v[22:23], v[34:35], v[48:49]
	;; [unrolled: 1-line block ×4, first 2 shown]
	s_cbranch_vccz .LBB498_15
.LBB498_9:                              ;   Parent Loop BB498_6 Depth=1
                                        ; =>  This Inner Loop Header: Depth=2
	v_mov_b64_e32 v[32:33], 0
	s_and_saveexec_b32 s22, s0
	s_cbranch_execz .LBB498_13
; %bb.10:                               ;   in Loop: Header=BB498_9 Depth=2
	v_mov_b64_e32 v[32:33], 0
	v_add_nc_u32_e32 v16, s16, v10
	s_mov_b32 s23, exec_lo
	s_delay_alu instid0(VALU_DEP_1)
	v_cmpx_gt_u64_e64 s[8:9], v[16:17]
	s_cbranch_execz .LBB498_12
; %bb.11:                               ;   in Loop: Header=BB498_9 Depth=2
	v_lshl_add_u64 v[32:33], v[16:17], 3, v[28:29]
	flat_load_b64 v[32:33], v[32:33]
.LBB498_12:                             ;   in Loop: Header=BB498_9 Depth=2
	s_wait_xcnt 0x0
	s_or_b32 exec_lo, exec_lo, s23
.LBB498_13:                             ;   in Loop: Header=BB498_9 Depth=2
	s_delay_alu instid0(SALU_CYCLE_1)
	s_or_b32 exec_lo, exec_lo, s22
	v_add_nc_u32_e32 v16, s16, v0
	v_mov_b64_e32 v[34:35], 0
	s_wait_loadcnt_dscnt 0x0
	ds_store_b64 v1, v[32:33]
	v_cmp_gt_u64_e32 vcc_lo, s[8:9], v[16:17]
	s_and_b32 s23, vcc_lo, s1
	s_delay_alu instid0(SALU_CYCLE_1)
	s_and_saveexec_b32 s22, s23
	s_cbranch_execz .LBB498_8
; %bb.14:                               ;   in Loop: Header=BB498_9 Depth=2
	v_lshl_add_u64 v[32:33], v[16:17], 3, v[30:31]
	flat_load_b64 v[34:35], v[32:33]
	s_branch .LBB498_8
.LBB498_15:                             ;   in Loop: Header=BB498_6 Depth=1
	s_wait_loadcnt 0x0
	v_add_nc_u64_e32 v[24:25], s[14:15], v[24:25]
	s_delay_alu instid0(VALU_DEP_1)
	v_lshl_add_u64 v[28:29], v[6:7], 3, v[24:25]
	s_wait_xcnt 0x0
	s_and_saveexec_b32 s16, s21
	s_cbranch_execz .LBB498_19
; %bb.16:                               ;   in Loop: Header=BB498_6 Depth=1
	v_mul_f64_e32 v[26:27], s[10:11], v[26:27]
	v_lshl_add_u64 v[30:31], v[12:13], 3, v[28:29]
	s_and_b32 vcc_lo, exec_lo, s20
	s_cbranch_vccz .LBB498_30
; %bb.17:                               ;   in Loop: Header=BB498_6 Depth=1
	flat_load_b64 v[32:33], v[30:31]
	s_wait_loadcnt_dscnt 0x0
	v_fma_f64 v[32:33], s[24:25], v[32:33], v[26:27]
	flat_store_b64 v[30:31], v[32:33]
	s_cbranch_execnz .LBB498_19
.LBB498_18:                             ;   in Loop: Header=BB498_6 Depth=1
	flat_store_b64 v[30:31], v[26:27]
.LBB498_19:                             ;   in Loop: Header=BB498_6 Depth=1
	s_wait_xcnt 0x0
	s_or_b32 exec_lo, exec_lo, s16
	s_and_saveexec_b32 s16, s28
	s_cbranch_execz .LBB498_23
; %bb.20:                               ;   in Loop: Header=BB498_6 Depth=1
	v_mul_f64_e32 v[22:23], s[10:11], v[22:23]
	v_lshl_add_u64 v[26:27], v[14:15], 3, v[28:29]
	s_and_not1_b32 vcc_lo, exec_lo, s20
	s_cbranch_vccnz .LBB498_31
; %bb.21:                               ;   in Loop: Header=BB498_6 Depth=1
	flat_load_b64 v[28:29], v[26:27]
	s_wait_loadcnt_dscnt 0x0
	v_fma_f64 v[28:29], s[24:25], v[28:29], v[22:23]
	flat_store_b64 v[26:27], v[28:29]
	s_cbranch_execnz .LBB498_23
.LBB498_22:                             ;   in Loop: Header=BB498_6 Depth=1
	flat_store_b64 v[26:27], v[22:23]
.LBB498_23:                             ;   in Loop: Header=BB498_6 Depth=1
	s_wait_xcnt 0x0
	s_or_b32 exec_lo, exec_lo, s16
	v_lshl_add_u64 v[22:23], v[8:9], 3, v[24:25]
	s_and_saveexec_b32 s16, s29
	s_cbranch_execz .LBB498_27
; %bb.24:                               ;   in Loop: Header=BB498_6 Depth=1
	v_mul_f64_e32 v[20:21], s[10:11], v[20:21]
	s_delay_alu instid0(VALU_DEP_2)
	v_lshl_add_u64 v[24:25], v[12:13], 3, v[22:23]
	s_and_not1_b32 vcc_lo, exec_lo, s20
	s_cbranch_vccnz .LBB498_32
; %bb.25:                               ;   in Loop: Header=BB498_6 Depth=1
	flat_load_b64 v[26:27], v[24:25]
	s_wait_loadcnt_dscnt 0x0
	v_fma_f64 v[26:27], s[24:25], v[26:27], v[20:21]
	flat_store_b64 v[24:25], v[26:27]
	s_cbranch_execnz .LBB498_27
.LBB498_26:                             ;   in Loop: Header=BB498_6 Depth=1
	flat_store_b64 v[24:25], v[20:21]
.LBB498_27:                             ;   in Loop: Header=BB498_6 Depth=1
	s_wait_xcnt 0x0
	s_or_b32 exec_lo, exec_lo, s16
	s_and_saveexec_b32 s16, s34
	s_cbranch_execz .LBB498_5
; %bb.28:                               ;   in Loop: Header=BB498_6 Depth=1
	s_delay_alu instid0(VALU_DEP_4)
	v_mul_f64_e32 v[18:19], s[10:11], v[18:19]
	v_lshl_add_u64 v[20:21], v[14:15], 3, v[22:23]
	s_and_not1_b32 vcc_lo, exec_lo, s20
	s_cbranch_vccnz .LBB498_33
; %bb.29:                               ;   in Loop: Header=BB498_6 Depth=1
	flat_load_b64 v[22:23], v[20:21]
	s_wait_loadcnt_dscnt 0x0
	v_fma_f64 v[22:23], s[24:25], v[22:23], v[18:19]
	flat_store_b64 v[20:21], v[22:23]
	s_cbranch_execnz .LBB498_5
	s_branch .LBB498_34
.LBB498_30:                             ;   in Loop: Header=BB498_6 Depth=1
	s_branch .LBB498_18
.LBB498_31:                             ;   in Loop: Header=BB498_6 Depth=1
	s_branch .LBB498_22
.LBB498_32:                             ;   in Loop: Header=BB498_6 Depth=1
	s_branch .LBB498_26
.LBB498_33:                             ;   in Loop: Header=BB498_6 Depth=1
.LBB498_34:                             ;   in Loop: Header=BB498_6 Depth=1
	flat_store_b64 v[20:21], v[18:19]
	s_branch .LBB498_5
.LBB498_35:
	s_endpgm
	.section	.rodata,"a",@progbits
	.p2align	6, 0x0
	.amdhsa_kernel _ZL29rocblas_internal_gemmt_kernelIlLi16ELi32ELi8ELc84ELc78ELc76ELb0ELb0EddPKPKdPKPdEviT_T9_T10_S7_lS9_S7_lS8_T11_S7_li
		.amdhsa_group_segment_fixed_size 4096
		.amdhsa_private_segment_fixed_size 0
		.amdhsa_kernarg_size 108
		.amdhsa_user_sgpr_count 2
		.amdhsa_user_sgpr_dispatch_ptr 0
		.amdhsa_user_sgpr_queue_ptr 0
		.amdhsa_user_sgpr_kernarg_segment_ptr 1
		.amdhsa_user_sgpr_dispatch_id 0
		.amdhsa_user_sgpr_kernarg_preload_length 0
		.amdhsa_user_sgpr_kernarg_preload_offset 0
		.amdhsa_user_sgpr_private_segment_size 0
		.amdhsa_wavefront_size32 1
		.amdhsa_uses_dynamic_stack 0
		.amdhsa_enable_private_segment 0
		.amdhsa_system_sgpr_workgroup_id_x 1
		.amdhsa_system_sgpr_workgroup_id_y 1
		.amdhsa_system_sgpr_workgroup_id_z 1
		.amdhsa_system_sgpr_workgroup_info 0
		.amdhsa_system_vgpr_workitem_id 1
		.amdhsa_next_free_vgpr 54
		.amdhsa_next_free_sgpr 36
		.amdhsa_named_barrier_count 0
		.amdhsa_reserve_vcc 1
		.amdhsa_float_round_mode_32 0
		.amdhsa_float_round_mode_16_64 0
		.amdhsa_float_denorm_mode_32 3
		.amdhsa_float_denorm_mode_16_64 3
		.amdhsa_fp16_overflow 0
		.amdhsa_memory_ordered 1
		.amdhsa_forward_progress 1
		.amdhsa_inst_pref_size 13
		.amdhsa_round_robin_scheduling 0
		.amdhsa_exception_fp_ieee_invalid_op 0
		.amdhsa_exception_fp_denorm_src 0
		.amdhsa_exception_fp_ieee_div_zero 0
		.amdhsa_exception_fp_ieee_overflow 0
		.amdhsa_exception_fp_ieee_underflow 0
		.amdhsa_exception_fp_ieee_inexact 0
		.amdhsa_exception_int_div_zero 0
	.end_amdhsa_kernel
	.section	.text._ZL29rocblas_internal_gemmt_kernelIlLi16ELi32ELi8ELc84ELc78ELc76ELb0ELb0EddPKPKdPKPdEviT_T9_T10_S7_lS9_S7_lS8_T11_S7_li,"axG",@progbits,_ZL29rocblas_internal_gemmt_kernelIlLi16ELi32ELi8ELc84ELc78ELc76ELb0ELb0EddPKPKdPKPdEviT_T9_T10_S7_lS9_S7_lS8_T11_S7_li,comdat
.Lfunc_end498:
	.size	_ZL29rocblas_internal_gemmt_kernelIlLi16ELi32ELi8ELc84ELc78ELc76ELb0ELb0EddPKPKdPKPdEviT_T9_T10_S7_lS9_S7_lS8_T11_S7_li, .Lfunc_end498-_ZL29rocblas_internal_gemmt_kernelIlLi16ELi32ELi8ELc84ELc78ELc76ELb0ELb0EddPKPKdPKPdEviT_T9_T10_S7_lS9_S7_lS8_T11_S7_li
                                        ; -- End function
	.set _ZL29rocblas_internal_gemmt_kernelIlLi16ELi32ELi8ELc84ELc78ELc76ELb0ELb0EddPKPKdPKPdEviT_T9_T10_S7_lS9_S7_lS8_T11_S7_li.num_vgpr, 54
	.set _ZL29rocblas_internal_gemmt_kernelIlLi16ELi32ELi8ELc84ELc78ELc76ELb0ELb0EddPKPKdPKPdEviT_T9_T10_S7_lS9_S7_lS8_T11_S7_li.num_agpr, 0
	.set _ZL29rocblas_internal_gemmt_kernelIlLi16ELi32ELi8ELc84ELc78ELc76ELb0ELb0EddPKPKdPKPdEviT_T9_T10_S7_lS9_S7_lS8_T11_S7_li.numbered_sgpr, 36
	.set _ZL29rocblas_internal_gemmt_kernelIlLi16ELi32ELi8ELc84ELc78ELc76ELb0ELb0EddPKPKdPKPdEviT_T9_T10_S7_lS9_S7_lS8_T11_S7_li.num_named_barrier, 0
	.set _ZL29rocblas_internal_gemmt_kernelIlLi16ELi32ELi8ELc84ELc78ELc76ELb0ELb0EddPKPKdPKPdEviT_T9_T10_S7_lS9_S7_lS8_T11_S7_li.private_seg_size, 0
	.set _ZL29rocblas_internal_gemmt_kernelIlLi16ELi32ELi8ELc84ELc78ELc76ELb0ELb0EddPKPKdPKPdEviT_T9_T10_S7_lS9_S7_lS8_T11_S7_li.uses_vcc, 1
	.set _ZL29rocblas_internal_gemmt_kernelIlLi16ELi32ELi8ELc84ELc78ELc76ELb0ELb0EddPKPKdPKPdEviT_T9_T10_S7_lS9_S7_lS8_T11_S7_li.uses_flat_scratch, 0
	.set _ZL29rocblas_internal_gemmt_kernelIlLi16ELi32ELi8ELc84ELc78ELc76ELb0ELb0EddPKPKdPKPdEviT_T9_T10_S7_lS9_S7_lS8_T11_S7_li.has_dyn_sized_stack, 0
	.set _ZL29rocblas_internal_gemmt_kernelIlLi16ELi32ELi8ELc84ELc78ELc76ELb0ELb0EddPKPKdPKPdEviT_T9_T10_S7_lS9_S7_lS8_T11_S7_li.has_recursion, 0
	.set _ZL29rocblas_internal_gemmt_kernelIlLi16ELi32ELi8ELc84ELc78ELc76ELb0ELb0EddPKPKdPKPdEviT_T9_T10_S7_lS9_S7_lS8_T11_S7_li.has_indirect_call, 0
	.section	.AMDGPU.csdata,"",@progbits
; Kernel info:
; codeLenInByte = 1640
; TotalNumSgprs: 38
; NumVgprs: 54
; ScratchSize: 0
; MemoryBound: 0
; FloatMode: 240
; IeeeMode: 1
; LDSByteSize: 4096 bytes/workgroup (compile time only)
; SGPRBlocks: 0
; VGPRBlocks: 3
; NumSGPRsForWavesPerEU: 38
; NumVGPRsForWavesPerEU: 54
; NamedBarCnt: 0
; Occupancy: 16
; WaveLimiterHint : 1
; COMPUTE_PGM_RSRC2:SCRATCH_EN: 0
; COMPUTE_PGM_RSRC2:USER_SGPR: 2
; COMPUTE_PGM_RSRC2:TRAP_HANDLER: 0
; COMPUTE_PGM_RSRC2:TGID_X_EN: 1
; COMPUTE_PGM_RSRC2:TGID_Y_EN: 1
; COMPUTE_PGM_RSRC2:TGID_Z_EN: 1
; COMPUTE_PGM_RSRC2:TIDIG_COMP_CNT: 1
	.section	.text._ZL29rocblas_internal_gemmt_kernelIlLi16ELi32ELi8ELc84ELc84ELc76ELb0ELb0EddPKPKdPKPdEviT_T9_T10_S7_lS9_S7_lS8_T11_S7_li,"axG",@progbits,_ZL29rocblas_internal_gemmt_kernelIlLi16ELi32ELi8ELc84ELc84ELc76ELb0ELb0EddPKPKdPKPdEviT_T9_T10_S7_lS9_S7_lS8_T11_S7_li,comdat
	.globl	_ZL29rocblas_internal_gemmt_kernelIlLi16ELi32ELi8ELc84ELc84ELc76ELb0ELb0EddPKPKdPKPdEviT_T9_T10_S7_lS9_S7_lS8_T11_S7_li ; -- Begin function _ZL29rocblas_internal_gemmt_kernelIlLi16ELi32ELi8ELc84ELc84ELc76ELb0ELb0EddPKPKdPKPdEviT_T9_T10_S7_lS9_S7_lS8_T11_S7_li
	.p2align	8
	.type	_ZL29rocblas_internal_gemmt_kernelIlLi16ELi32ELi8ELc84ELc84ELc76ELb0ELb0EddPKPKdPKPdEviT_T9_T10_S7_lS9_S7_lS8_T11_S7_li,@function
_ZL29rocblas_internal_gemmt_kernelIlLi16ELi32ELi8ELc84ELc84ELc76ELb0ELb0EddPKPKdPKPdEviT_T9_T10_S7_lS9_S7_lS8_T11_S7_li: ; @_ZL29rocblas_internal_gemmt_kernelIlLi16ELi32ELi8ELc84ELc84ELc76ELb0ELb0EddPKPKdPKPdEviT_T9_T10_S7_lS9_S7_lS8_T11_S7_li
; %bb.0:
	s_clause 0x1
	s_load_b256 s[24:31], s[0:1], 0x48
	s_load_b512 s[8:23], s[0:1], 0x8
	s_wait_kmcnt 0x0
	v_cmp_neq_f64_e64 s2, s[24:25], 1.0
	s_and_b32 vcc_lo, exec_lo, s2
	s_cbranch_vccnz .LBB499_2
; %bb.1:
	v_cmp_neq_f64_e64 s2, s[10:11], 0
	s_cmp_lg_u64 s[8:9], 0
	s_cselect_b32 s3, -1, 0
	s_delay_alu instid0(SALU_CYCLE_1)
	s_and_b32 s2, s3, s2
.LBB499_2:
	s_delay_alu instid0(SALU_CYCLE_1)
	s_and_not1_b32 vcc_lo, exec_lo, s2
	s_cbranch_vccnz .LBB499_35
; %bb.3:
	s_load_b32 s33, s[0:1], 0x68
	s_bfe_u32 s2, ttmp6, 0x40014
	s_lshr_b32 s3, ttmp7, 16
	s_add_co_i32 s2, s2, 1
	s_bfe_u32 s5, ttmp6, 0x40008
	s_mul_i32 s4, s3, s2
	s_getreg_b32 s2, hwreg(HW_REG_IB_STS2, 6, 4)
	s_add_co_i32 s5, s5, s4
	s_cmp_eq_u32 s2, 0
	s_mov_b32 s7, 0
	s_cselect_b32 s6, s3, s5
	s_wait_kmcnt 0x0
	s_cmp_ge_u32 s6, s33
	s_cbranch_scc1 .LBB499_35
; %bb.4:
	s_load_b32 s4, s[0:1], 0x0
	s_wait_xcnt 0x0
	s_bfe_u32 s1, ttmp6, 0x4000c
	s_bfe_u32 s3, ttmp6, 0x40010
	s_add_co_i32 s1, s1, 1
	s_and_b32 s5, ttmp7, 0xffff
	s_add_co_i32 s3, s3, 1
	v_and_b32_e32 v15, 0x3ff, v0
	v_bfe_u32 v20, v0, 10, 10
	s_and_b32 s0, ttmp6, 15
	s_mul_i32 s1, ttmp9, s1
	s_mul_i32 s3, s5, s3
	s_bfe_u32 s34, ttmp6, 0x40004
	s_add_co_i32 s0, s0, s1
	s_add_co_i32 s34, s34, s3
	s_cmp_eq_u32 s2, 0
	v_lshl_add_u32 v1, v20, 4, v15
	s_cselect_b32 s1, s5, s34
	s_cselect_b32 s0, ttmp9, s0
	s_lshl_b32 s1, s1, 5
	s_lshl_b32 s2, s0, 5
	v_dual_add_nc_u32 v16, s1, v20 :: v_dual_bitop2_b32 v3, 31, v1 bitop3:0x40
	v_lshrrev_b32_e32 v5, 3, v1
	v_cmp_neq_f64_e64 s37, s[10:11], 0
	v_cmp_neq_f64_e64 s34, s[24:25], 0
	s_delay_alu instid0(VALU_DEP_4) | instskip(NEXT) | instid1(VALU_DEP_4)
	v_dual_add_nc_u32 v18, 16, v16 :: v_dual_bitop2_b32 v12, s2, v3 bitop3:0x54
	v_dual_add_nc_u32 v4, s1, v5 :: v_dual_ashrrev_i32 v17, 31, v16
	s_delay_alu instid0(VALU_DEP_2) | instskip(NEXT) | instid1(VALU_DEP_3)
	v_dual_lshlrev_b32 v3, 3, v3 :: v_dual_ashrrev_i32 v13, 31, v12
	v_dual_ashrrev_i32 v19, 31, v18 :: v_dual_lshrrev_b32 v2, 5, v1
	v_and_b32_e32 v0, 7, v0
	s_delay_alu instid0(VALU_DEP_4) | instskip(NEXT) | instid1(VALU_DEP_4)
	v_mul_u64_e32 v[8:9], s[28:29], v[16:17]
	v_mul_u64_e32 v[6:7], s[14:15], v[12:13]
	s_delay_alu instid0(VALU_DEP_4)
	v_mul_u64_e32 v[10:11], s[28:29], v[18:19]
	s_wait_kmcnt 0x0
	v_cmp_gt_i32_e64 s0, s4, v12
	v_dual_lshlrev_b32 v1, 3, v0 :: v_dual_add_nc_u32 v12, s2, v15
	v_cmp_gt_i64_e64 s14, s[8:9], 0
	v_cmp_gt_i32_e64 s1, s4, v4
	v_lshlrev_b32_e32 v36, 3, v15
	s_delay_alu instid0(VALU_DEP_4) | instskip(SKIP_4) | instid1(VALU_DEP_4)
	v_lshl_or_b32 v5, v5, 6, v1
	v_dual_add_nc_u32 v14, 16, v12 :: v_dual_ashrrev_i32 v13, 31, v12
	v_cmp_le_i32_e32 vcc_lo, v16, v12
	v_cmp_gt_i32_e64 s2, s4, v12
	v_lshl_or_b32 v1, v2, 8, v3
	v_cmp_le_i32_e64 s3, v16, v14
	v_cmp_gt_i32_e64 s4, s4, v14
	v_cmp_le_i32_e64 s5, v18, v14
	s_and_b32 s28, vcc_lo, s2
	v_cmp_le_i32_e32 vcc_lo, v18, v12
	v_add_nc_u32_e32 v3, 0x800, v5
	v_ashrrev_i32_e32 v5, 31, v4
	v_lshl_add_u32 v37, v20, 6, 0x800
	v_dual_ashrrev_i32 v15, 31, v14 :: v_dual_mov_b32 v17, 0
	s_and_b32 s29, s3, s4
	s_and_b32 s35, vcc_lo, s2
	s_and_b32 s36, s5, s4
	s_and_b32 s37, s37, s14
	s_lshl_b64 s[2:3], s[22:23], 3
	s_lshl_b64 s[4:5], s[16:17], 3
	;; [unrolled: 1-line block ×3, first 2 shown]
	s_branch .LBB499_6
.LBB499_5:                              ;   in Loop: Header=BB499_6 Depth=1
	s_wait_xcnt 0x0
	s_or_b32 exec_lo, exec_lo, s16
	s_add_co_i32 s6, s6, 0x10000
	s_delay_alu instid0(SALU_CYCLE_1)
	s_cmp_lt_u32 s6, s33
	s_cbranch_scc0 .LBB499_35
.LBB499_6:                              ; =>This Loop Header: Depth=1
                                        ;     Child Loop BB499_9 Depth 2
	v_mov_b32_e32 v16, s6
	v_mov_b64_e32 v[26:27], 0
	v_mov_b64_e32 v[22:23], 0
	v_mov_b64_e32 v[20:21], 0
	v_mov_b64_e32 v[18:19], 0
	global_load_b64 v[24:25], v16, s[26:27] scale_offset
	s_and_not1_b32 vcc_lo, exec_lo, s37
	s_cbranch_vccnz .LBB499_15
; %bb.7:                                ;   in Loop: Header=BB499_6 Depth=1
	s_lshl_b64 s[16:17], s[6:7], 3
	v_mov_b64_e32 v[22:23], 0
	s_add_nc_u64 s[22:23], s[12:13], s[16:17]
	s_add_nc_u64 s[16:17], s[18:19], s[16:17]
	s_clause 0x1
	global_load_b64 v[18:19], v17, s[22:23]
	global_load_b64 v[20:21], v17, s[16:17]
	v_mov_b64_e32 v[26:27], 0
	s_wait_xcnt 0x0
	s_mov_b64 s[16:17], 0
	s_wait_loadcnt 0x1
	v_add_nc_u64_e32 v[28:29], s[4:5], v[18:19]
	s_wait_loadcnt 0x0
	v_add_nc_u64_e32 v[30:31], s[2:3], v[20:21]
	v_mov_b64_e32 v[18:19], 0
	v_mov_b64_e32 v[20:21], 0
	s_delay_alu instid0(VALU_DEP_4) | instskip(NEXT) | instid1(VALU_DEP_4)
	v_lshl_add_u64 v[28:29], v[6:7], 3, v[28:29]
	v_lshl_add_u64 v[30:31], v[4:5], 3, v[30:31]
	s_branch .LBB499_9
.LBB499_8:                              ;   in Loop: Header=BB499_9 Depth=2
	s_wait_xcnt 0x0
	s_or_b32 exec_lo, exec_lo, s22
	s_wait_loadcnt_dscnt 0x0
	ds_store_b64 v3, v[34:35]
	s_wait_dscnt 0x0
	s_barrier_signal -1
	s_barrier_wait -1
	ds_load_b128 v[32:35], v37
	ds_load_2addr_b64 v[38:41], v36 offset1:16
	ds_load_b128 v[42:45], v37 offset:1024
	ds_load_b128 v[46:49], v37 offset:16
	;; [unrolled: 1-line block ×3, first 2 shown]
	s_add_nc_u64 s[16:17], s[16:17], 8
	s_delay_alu instid0(SALU_CYCLE_1)
	v_cmp_gt_i64_e64 s22, s[8:9], s[16:17]
	s_and_b32 vcc_lo, exec_lo, s22
	s_wait_dscnt 0x3
	v_fmac_f64_e32 v[26:27], v[38:39], v[32:33]
	v_fmac_f64_e32 v[22:23], v[40:41], v[32:33]
	s_wait_dscnt 0x2
	v_fmac_f64_e32 v[20:21], v[38:39], v[42:43]
	v_fmac_f64_e32 v[18:19], v[40:41], v[42:43]
	ds_load_2addr_b64 v[38:41], v36 offset0:32 offset1:48
	s_wait_dscnt 0x0
	v_fmac_f64_e32 v[26:27], v[38:39], v[34:35]
	v_fmac_f64_e32 v[22:23], v[40:41], v[34:35]
	v_fmac_f64_e32 v[20:21], v[38:39], v[44:45]
	v_fmac_f64_e32 v[18:19], v[40:41], v[44:45]
	ds_load_2addr_b64 v[32:35], v36 offset0:64 offset1:80
	s_wait_dscnt 0x0
	v_fmac_f64_e32 v[26:27], v[32:33], v[46:47]
	v_fmac_f64_e32 v[22:23], v[34:35], v[46:47]
	v_fmac_f64_e32 v[20:21], v[32:33], v[50:51]
	v_fmac_f64_e32 v[18:19], v[34:35], v[50:51]
	ds_load_2addr_b64 v[32:35], v36 offset0:96 offset1:112
	s_wait_dscnt 0x0
	v_fmac_f64_e32 v[26:27], v[32:33], v[48:49]
	v_fmac_f64_e32 v[22:23], v[34:35], v[48:49]
	v_fmac_f64_e32 v[20:21], v[32:33], v[52:53]
	v_fmac_f64_e32 v[18:19], v[34:35], v[52:53]
	ds_load_b128 v[32:35], v37 offset:32
	ds_load_2addr_b64 v[38:41], v36 offset0:128 offset1:144
	ds_load_b128 v[42:45], v37 offset:1056
	ds_load_b128 v[46:49], v37 offset:48
	;; [unrolled: 1-line block ×3, first 2 shown]
	s_wait_dscnt 0x3
	v_fmac_f64_e32 v[26:27], v[38:39], v[32:33]
	v_fmac_f64_e32 v[22:23], v[40:41], v[32:33]
	s_wait_dscnt 0x2
	v_fmac_f64_e32 v[20:21], v[38:39], v[42:43]
	v_fmac_f64_e32 v[18:19], v[40:41], v[42:43]
	ds_load_2addr_b64 v[38:41], v36 offset0:160 offset1:176
	s_wait_dscnt 0x0
	v_fmac_f64_e32 v[26:27], v[38:39], v[34:35]
	v_fmac_f64_e32 v[22:23], v[40:41], v[34:35]
	;; [unrolled: 1-line block ×4, first 2 shown]
	ds_load_2addr_b64 v[32:35], v36 offset0:192 offset1:208
	s_wait_dscnt 0x0
	v_fmac_f64_e32 v[26:27], v[32:33], v[46:47]
	v_fmac_f64_e32 v[22:23], v[34:35], v[46:47]
	;; [unrolled: 1-line block ×4, first 2 shown]
	ds_load_2addr_b64 v[32:35], v36 offset0:224 offset1:240
	s_wait_dscnt 0x0
	s_barrier_signal -1
	s_barrier_wait -1
	v_fmac_f64_e32 v[26:27], v[32:33], v[48:49]
	v_fmac_f64_e32 v[22:23], v[34:35], v[48:49]
	;; [unrolled: 1-line block ×4, first 2 shown]
	s_cbranch_vccz .LBB499_15
.LBB499_9:                              ;   Parent Loop BB499_6 Depth=1
                                        ; =>  This Inner Loop Header: Depth=2
	v_mov_b64_e32 v[32:33], 0
	s_and_saveexec_b32 s22, s0
	s_cbranch_execz .LBB499_13
; %bb.10:                               ;   in Loop: Header=BB499_9 Depth=2
	v_mov_b64_e32 v[32:33], 0
	v_add_nc_u32_e32 v16, s16, v2
	s_mov_b32 s23, exec_lo
	s_delay_alu instid0(VALU_DEP_1)
	v_cmpx_gt_u64_e64 s[8:9], v[16:17]
	s_cbranch_execz .LBB499_12
; %bb.11:                               ;   in Loop: Header=BB499_9 Depth=2
	v_lshl_add_u64 v[32:33], v[16:17], 3, v[28:29]
	flat_load_b64 v[32:33], v[32:33]
.LBB499_12:                             ;   in Loop: Header=BB499_9 Depth=2
	s_wait_xcnt 0x0
	s_or_b32 exec_lo, exec_lo, s23
.LBB499_13:                             ;   in Loop: Header=BB499_9 Depth=2
	s_delay_alu instid0(SALU_CYCLE_1)
	s_or_b32 exec_lo, exec_lo, s22
	v_add_nc_u32_e32 v16, s16, v0
	v_mov_b64_e32 v[34:35], 0
	s_wait_loadcnt_dscnt 0x0
	ds_store_b64 v1, v[32:33]
	v_cmp_gt_u64_e32 vcc_lo, s[8:9], v[16:17]
	s_and_b32 s23, vcc_lo, s1
	s_delay_alu instid0(SALU_CYCLE_1)
	s_and_saveexec_b32 s22, s23
	s_cbranch_execz .LBB499_8
; %bb.14:                               ;   in Loop: Header=BB499_9 Depth=2
	v_mul_u64_e32 v[32:33], s[20:21], v[16:17]
	s_delay_alu instid0(VALU_DEP_1)
	v_lshl_add_u64 v[32:33], v[32:33], 3, v[30:31]
	flat_load_b64 v[34:35], v[32:33]
	s_branch .LBB499_8
.LBB499_15:                             ;   in Loop: Header=BB499_6 Depth=1
	s_wait_loadcnt 0x0
	v_add_nc_u64_e32 v[24:25], s[14:15], v[24:25]
	s_delay_alu instid0(VALU_DEP_1)
	v_lshl_add_u64 v[28:29], v[8:9], 3, v[24:25]
	s_wait_xcnt 0x0
	s_and_saveexec_b32 s16, s28
	s_cbranch_execz .LBB499_19
; %bb.16:                               ;   in Loop: Header=BB499_6 Depth=1
	v_mul_f64_e32 v[26:27], s[10:11], v[26:27]
	v_lshl_add_u64 v[30:31], v[12:13], 3, v[28:29]
	s_and_b32 vcc_lo, exec_lo, s34
	s_cbranch_vccz .LBB499_30
; %bb.17:                               ;   in Loop: Header=BB499_6 Depth=1
	flat_load_b64 v[32:33], v[30:31]
	s_wait_loadcnt_dscnt 0x0
	v_fma_f64 v[32:33], s[24:25], v[32:33], v[26:27]
	flat_store_b64 v[30:31], v[32:33]
	s_cbranch_execnz .LBB499_19
.LBB499_18:                             ;   in Loop: Header=BB499_6 Depth=1
	flat_store_b64 v[30:31], v[26:27]
.LBB499_19:                             ;   in Loop: Header=BB499_6 Depth=1
	s_wait_xcnt 0x0
	s_or_b32 exec_lo, exec_lo, s16
	s_and_saveexec_b32 s16, s29
	s_cbranch_execz .LBB499_23
; %bb.20:                               ;   in Loop: Header=BB499_6 Depth=1
	v_mul_f64_e32 v[22:23], s[10:11], v[22:23]
	v_lshl_add_u64 v[26:27], v[14:15], 3, v[28:29]
	s_and_not1_b32 vcc_lo, exec_lo, s34
	s_cbranch_vccnz .LBB499_31
; %bb.21:                               ;   in Loop: Header=BB499_6 Depth=1
	flat_load_b64 v[28:29], v[26:27]
	s_wait_loadcnt_dscnt 0x0
	v_fma_f64 v[28:29], s[24:25], v[28:29], v[22:23]
	flat_store_b64 v[26:27], v[28:29]
	s_cbranch_execnz .LBB499_23
.LBB499_22:                             ;   in Loop: Header=BB499_6 Depth=1
	flat_store_b64 v[26:27], v[22:23]
.LBB499_23:                             ;   in Loop: Header=BB499_6 Depth=1
	s_wait_xcnt 0x0
	s_or_b32 exec_lo, exec_lo, s16
	v_lshl_add_u64 v[22:23], v[10:11], 3, v[24:25]
	s_and_saveexec_b32 s16, s35
	s_cbranch_execz .LBB499_27
; %bb.24:                               ;   in Loop: Header=BB499_6 Depth=1
	v_mul_f64_e32 v[20:21], s[10:11], v[20:21]
	s_delay_alu instid0(VALU_DEP_2)
	v_lshl_add_u64 v[24:25], v[12:13], 3, v[22:23]
	s_and_not1_b32 vcc_lo, exec_lo, s34
	s_cbranch_vccnz .LBB499_32
; %bb.25:                               ;   in Loop: Header=BB499_6 Depth=1
	flat_load_b64 v[26:27], v[24:25]
	s_wait_loadcnt_dscnt 0x0
	v_fma_f64 v[26:27], s[24:25], v[26:27], v[20:21]
	flat_store_b64 v[24:25], v[26:27]
	s_cbranch_execnz .LBB499_27
.LBB499_26:                             ;   in Loop: Header=BB499_6 Depth=1
	flat_store_b64 v[24:25], v[20:21]
.LBB499_27:                             ;   in Loop: Header=BB499_6 Depth=1
	s_wait_xcnt 0x0
	s_or_b32 exec_lo, exec_lo, s16
	s_and_saveexec_b32 s16, s36
	s_cbranch_execz .LBB499_5
; %bb.28:                               ;   in Loop: Header=BB499_6 Depth=1
	s_delay_alu instid0(VALU_DEP_4)
	v_mul_f64_e32 v[18:19], s[10:11], v[18:19]
	v_lshl_add_u64 v[20:21], v[14:15], 3, v[22:23]
	s_and_not1_b32 vcc_lo, exec_lo, s34
	s_cbranch_vccnz .LBB499_33
; %bb.29:                               ;   in Loop: Header=BB499_6 Depth=1
	flat_load_b64 v[22:23], v[20:21]
	s_wait_loadcnt_dscnt 0x0
	v_fma_f64 v[22:23], s[24:25], v[22:23], v[18:19]
	flat_store_b64 v[20:21], v[22:23]
	s_cbranch_execnz .LBB499_5
	s_branch .LBB499_34
.LBB499_30:                             ;   in Loop: Header=BB499_6 Depth=1
	s_branch .LBB499_18
.LBB499_31:                             ;   in Loop: Header=BB499_6 Depth=1
	s_branch .LBB499_22
.LBB499_32:                             ;   in Loop: Header=BB499_6 Depth=1
	s_branch .LBB499_26
.LBB499_33:                             ;   in Loop: Header=BB499_6 Depth=1
.LBB499_34:                             ;   in Loop: Header=BB499_6 Depth=1
	flat_store_b64 v[20:21], v[18:19]
	s_branch .LBB499_5
.LBB499_35:
	s_endpgm
	.section	.rodata,"a",@progbits
	.p2align	6, 0x0
	.amdhsa_kernel _ZL29rocblas_internal_gemmt_kernelIlLi16ELi32ELi8ELc84ELc84ELc76ELb0ELb0EddPKPKdPKPdEviT_T9_T10_S7_lS9_S7_lS8_T11_S7_li
		.amdhsa_group_segment_fixed_size 4096
		.amdhsa_private_segment_fixed_size 0
		.amdhsa_kernarg_size 108
		.amdhsa_user_sgpr_count 2
		.amdhsa_user_sgpr_dispatch_ptr 0
		.amdhsa_user_sgpr_queue_ptr 0
		.amdhsa_user_sgpr_kernarg_segment_ptr 1
		.amdhsa_user_sgpr_dispatch_id 0
		.amdhsa_user_sgpr_kernarg_preload_length 0
		.amdhsa_user_sgpr_kernarg_preload_offset 0
		.amdhsa_user_sgpr_private_segment_size 0
		.amdhsa_wavefront_size32 1
		.amdhsa_uses_dynamic_stack 0
		.amdhsa_enable_private_segment 0
		.amdhsa_system_sgpr_workgroup_id_x 1
		.amdhsa_system_sgpr_workgroup_id_y 1
		.amdhsa_system_sgpr_workgroup_id_z 1
		.amdhsa_system_sgpr_workgroup_info 0
		.amdhsa_system_vgpr_workitem_id 1
		.amdhsa_next_free_vgpr 54
		.amdhsa_next_free_sgpr 38
		.amdhsa_named_barrier_count 0
		.amdhsa_reserve_vcc 1
		.amdhsa_float_round_mode_32 0
		.amdhsa_float_round_mode_16_64 0
		.amdhsa_float_denorm_mode_32 3
		.amdhsa_float_denorm_mode_16_64 3
		.amdhsa_fp16_overflow 0
		.amdhsa_memory_ordered 1
		.amdhsa_forward_progress 1
		.amdhsa_inst_pref_size 13
		.amdhsa_round_robin_scheduling 0
		.amdhsa_exception_fp_ieee_invalid_op 0
		.amdhsa_exception_fp_denorm_src 0
		.amdhsa_exception_fp_ieee_div_zero 0
		.amdhsa_exception_fp_ieee_overflow 0
		.amdhsa_exception_fp_ieee_underflow 0
		.amdhsa_exception_fp_ieee_inexact 0
		.amdhsa_exception_int_div_zero 0
	.end_amdhsa_kernel
	.section	.text._ZL29rocblas_internal_gemmt_kernelIlLi16ELi32ELi8ELc84ELc84ELc76ELb0ELb0EddPKPKdPKPdEviT_T9_T10_S7_lS9_S7_lS8_T11_S7_li,"axG",@progbits,_ZL29rocblas_internal_gemmt_kernelIlLi16ELi32ELi8ELc84ELc84ELc76ELb0ELb0EddPKPKdPKPdEviT_T9_T10_S7_lS9_S7_lS8_T11_S7_li,comdat
.Lfunc_end499:
	.size	_ZL29rocblas_internal_gemmt_kernelIlLi16ELi32ELi8ELc84ELc84ELc76ELb0ELb0EddPKPKdPKPdEviT_T9_T10_S7_lS9_S7_lS8_T11_S7_li, .Lfunc_end499-_ZL29rocblas_internal_gemmt_kernelIlLi16ELi32ELi8ELc84ELc84ELc76ELb0ELb0EddPKPKdPKPdEviT_T9_T10_S7_lS9_S7_lS8_T11_S7_li
                                        ; -- End function
	.set _ZL29rocblas_internal_gemmt_kernelIlLi16ELi32ELi8ELc84ELc84ELc76ELb0ELb0EddPKPKdPKPdEviT_T9_T10_S7_lS9_S7_lS8_T11_S7_li.num_vgpr, 54
	.set _ZL29rocblas_internal_gemmt_kernelIlLi16ELi32ELi8ELc84ELc84ELc76ELb0ELb0EddPKPKdPKPdEviT_T9_T10_S7_lS9_S7_lS8_T11_S7_li.num_agpr, 0
	.set _ZL29rocblas_internal_gemmt_kernelIlLi16ELi32ELi8ELc84ELc84ELc76ELb0ELb0EddPKPKdPKPdEviT_T9_T10_S7_lS9_S7_lS8_T11_S7_li.numbered_sgpr, 38
	.set _ZL29rocblas_internal_gemmt_kernelIlLi16ELi32ELi8ELc84ELc84ELc76ELb0ELb0EddPKPKdPKPdEviT_T9_T10_S7_lS9_S7_lS8_T11_S7_li.num_named_barrier, 0
	.set _ZL29rocblas_internal_gemmt_kernelIlLi16ELi32ELi8ELc84ELc84ELc76ELb0ELb0EddPKPKdPKPdEviT_T9_T10_S7_lS9_S7_lS8_T11_S7_li.private_seg_size, 0
	.set _ZL29rocblas_internal_gemmt_kernelIlLi16ELi32ELi8ELc84ELc84ELc76ELb0ELb0EddPKPKdPKPdEviT_T9_T10_S7_lS9_S7_lS8_T11_S7_li.uses_vcc, 1
	.set _ZL29rocblas_internal_gemmt_kernelIlLi16ELi32ELi8ELc84ELc84ELc76ELb0ELb0EddPKPKdPKPdEviT_T9_T10_S7_lS9_S7_lS8_T11_S7_li.uses_flat_scratch, 0
	.set _ZL29rocblas_internal_gemmt_kernelIlLi16ELi32ELi8ELc84ELc84ELc76ELb0ELb0EddPKPKdPKPdEviT_T9_T10_S7_lS9_S7_lS8_T11_S7_li.has_dyn_sized_stack, 0
	.set _ZL29rocblas_internal_gemmt_kernelIlLi16ELi32ELi8ELc84ELc84ELc76ELb0ELb0EddPKPKdPKPdEviT_T9_T10_S7_lS9_S7_lS8_T11_S7_li.has_recursion, 0
	.set _ZL29rocblas_internal_gemmt_kernelIlLi16ELi32ELi8ELc84ELc84ELc76ELb0ELb0EddPKPKdPKPdEviT_T9_T10_S7_lS9_S7_lS8_T11_S7_li.has_indirect_call, 0
	.section	.AMDGPU.csdata,"",@progbits
; Kernel info:
; codeLenInByte = 1648
; TotalNumSgprs: 40
; NumVgprs: 54
; ScratchSize: 0
; MemoryBound: 0
; FloatMode: 240
; IeeeMode: 1
; LDSByteSize: 4096 bytes/workgroup (compile time only)
; SGPRBlocks: 0
; VGPRBlocks: 3
; NumSGPRsForWavesPerEU: 40
; NumVGPRsForWavesPerEU: 54
; NamedBarCnt: 0
; Occupancy: 16
; WaveLimiterHint : 1
; COMPUTE_PGM_RSRC2:SCRATCH_EN: 0
; COMPUTE_PGM_RSRC2:USER_SGPR: 2
; COMPUTE_PGM_RSRC2:TRAP_HANDLER: 0
; COMPUTE_PGM_RSRC2:TGID_X_EN: 1
; COMPUTE_PGM_RSRC2:TGID_Y_EN: 1
; COMPUTE_PGM_RSRC2:TGID_Z_EN: 1
; COMPUTE_PGM_RSRC2:TIDIG_COMP_CNT: 1
	.section	.text._ZL29rocblas_internal_gemmt_kernelIlLi16ELi32ELi8ELc84ELc67ELc76ELb0ELb0EddPKPKdPKPdEviT_T9_T10_S7_lS9_S7_lS8_T11_S7_li,"axG",@progbits,_ZL29rocblas_internal_gemmt_kernelIlLi16ELi32ELi8ELc84ELc67ELc76ELb0ELb0EddPKPKdPKPdEviT_T9_T10_S7_lS9_S7_lS8_T11_S7_li,comdat
	.globl	_ZL29rocblas_internal_gemmt_kernelIlLi16ELi32ELi8ELc84ELc67ELc76ELb0ELb0EddPKPKdPKPdEviT_T9_T10_S7_lS9_S7_lS8_T11_S7_li ; -- Begin function _ZL29rocblas_internal_gemmt_kernelIlLi16ELi32ELi8ELc84ELc67ELc76ELb0ELb0EddPKPKdPKPdEviT_T9_T10_S7_lS9_S7_lS8_T11_S7_li
	.p2align	8
	.type	_ZL29rocblas_internal_gemmt_kernelIlLi16ELi32ELi8ELc84ELc67ELc76ELb0ELb0EddPKPKdPKPdEviT_T9_T10_S7_lS9_S7_lS8_T11_S7_li,@function
_ZL29rocblas_internal_gemmt_kernelIlLi16ELi32ELi8ELc84ELc67ELc76ELb0ELb0EddPKPKdPKPdEviT_T9_T10_S7_lS9_S7_lS8_T11_S7_li: ; @_ZL29rocblas_internal_gemmt_kernelIlLi16ELi32ELi8ELc84ELc67ELc76ELb0ELb0EddPKPKdPKPdEviT_T9_T10_S7_lS9_S7_lS8_T11_S7_li
; %bb.0:
	s_clause 0x1
	s_load_b256 s[24:31], s[0:1], 0x48
	s_load_b512 s[8:23], s[0:1], 0x8
	s_wait_kmcnt 0x0
	v_cmp_neq_f64_e64 s2, s[24:25], 1.0
	s_and_b32 vcc_lo, exec_lo, s2
	s_cbranch_vccnz .LBB500_2
; %bb.1:
	v_cmp_neq_f64_e64 s2, s[10:11], 0
	s_cmp_lg_u64 s[8:9], 0
	s_cselect_b32 s3, -1, 0
	s_delay_alu instid0(SALU_CYCLE_1)
	s_and_b32 s2, s3, s2
.LBB500_2:
	s_delay_alu instid0(SALU_CYCLE_1)
	s_and_not1_b32 vcc_lo, exec_lo, s2
	s_cbranch_vccnz .LBB500_35
; %bb.3:
	s_load_b32 s33, s[0:1], 0x68
	s_bfe_u32 s2, ttmp6, 0x40014
	s_lshr_b32 s3, ttmp7, 16
	s_add_co_i32 s2, s2, 1
	s_bfe_u32 s5, ttmp6, 0x40008
	s_mul_i32 s4, s3, s2
	s_getreg_b32 s2, hwreg(HW_REG_IB_STS2, 6, 4)
	s_add_co_i32 s5, s5, s4
	s_cmp_eq_u32 s2, 0
	s_mov_b32 s7, 0
	s_cselect_b32 s6, s3, s5
	s_wait_kmcnt 0x0
	s_cmp_ge_u32 s6, s33
	s_cbranch_scc1 .LBB500_35
; %bb.4:
	s_load_b32 s4, s[0:1], 0x0
	s_wait_xcnt 0x0
	s_bfe_u32 s1, ttmp6, 0x4000c
	s_bfe_u32 s3, ttmp6, 0x40010
	s_add_co_i32 s1, s1, 1
	s_and_b32 s5, ttmp7, 0xffff
	s_add_co_i32 s3, s3, 1
	v_and_b32_e32 v15, 0x3ff, v0
	v_bfe_u32 v20, v0, 10, 10
	s_and_b32 s0, ttmp6, 15
	s_mul_i32 s1, ttmp9, s1
	s_mul_i32 s3, s5, s3
	s_bfe_u32 s34, ttmp6, 0x40004
	s_add_co_i32 s0, s0, s1
	s_add_co_i32 s34, s34, s3
	s_cmp_eq_u32 s2, 0
	v_lshl_add_u32 v1, v20, 4, v15
	s_cselect_b32 s1, s5, s34
	s_cselect_b32 s0, ttmp9, s0
	s_lshl_b32 s1, s1, 5
	s_lshl_b32 s2, s0, 5
	v_dual_add_nc_u32 v16, s1, v20 :: v_dual_bitop2_b32 v3, 31, v1 bitop3:0x40
	v_lshrrev_b32_e32 v5, 3, v1
	v_cmp_neq_f64_e64 s37, s[10:11], 0
	v_cmp_neq_f64_e64 s34, s[24:25], 0
	s_delay_alu instid0(VALU_DEP_4) | instskip(NEXT) | instid1(VALU_DEP_4)
	v_dual_add_nc_u32 v18, 16, v16 :: v_dual_bitop2_b32 v12, s2, v3 bitop3:0x54
	v_dual_add_nc_u32 v4, s1, v5 :: v_dual_ashrrev_i32 v17, 31, v16
	s_delay_alu instid0(VALU_DEP_2) | instskip(NEXT) | instid1(VALU_DEP_3)
	v_dual_lshlrev_b32 v3, 3, v3 :: v_dual_ashrrev_i32 v13, 31, v12
	v_dual_ashrrev_i32 v19, 31, v18 :: v_dual_lshrrev_b32 v2, 5, v1
	v_and_b32_e32 v0, 7, v0
	s_delay_alu instid0(VALU_DEP_4) | instskip(NEXT) | instid1(VALU_DEP_4)
	v_mul_u64_e32 v[8:9], s[28:29], v[16:17]
	v_mul_u64_e32 v[6:7], s[14:15], v[12:13]
	s_delay_alu instid0(VALU_DEP_4)
	v_mul_u64_e32 v[10:11], s[28:29], v[18:19]
	s_wait_kmcnt 0x0
	v_cmp_gt_i32_e64 s0, s4, v12
	v_dual_lshlrev_b32 v1, 3, v0 :: v_dual_add_nc_u32 v12, s2, v15
	v_cmp_gt_i64_e64 s14, s[8:9], 0
	v_cmp_gt_i32_e64 s1, s4, v4
	v_lshlrev_b32_e32 v36, 3, v15
	s_delay_alu instid0(VALU_DEP_4) | instskip(SKIP_4) | instid1(VALU_DEP_4)
	v_lshl_or_b32 v5, v5, 6, v1
	v_dual_add_nc_u32 v14, 16, v12 :: v_dual_ashrrev_i32 v13, 31, v12
	v_cmp_le_i32_e32 vcc_lo, v16, v12
	v_cmp_gt_i32_e64 s2, s4, v12
	v_lshl_or_b32 v1, v2, 8, v3
	v_cmp_le_i32_e64 s3, v16, v14
	v_cmp_gt_i32_e64 s4, s4, v14
	v_cmp_le_i32_e64 s5, v18, v14
	s_and_b32 s28, vcc_lo, s2
	v_cmp_le_i32_e32 vcc_lo, v18, v12
	v_add_nc_u32_e32 v3, 0x800, v5
	v_ashrrev_i32_e32 v5, 31, v4
	v_lshl_add_u32 v37, v20, 6, 0x800
	v_dual_ashrrev_i32 v15, 31, v14 :: v_dual_mov_b32 v17, 0
	s_and_b32 s29, s3, s4
	s_and_b32 s35, vcc_lo, s2
	s_and_b32 s36, s5, s4
	s_and_b32 s37, s37, s14
	s_lshl_b64 s[2:3], s[22:23], 3
	s_lshl_b64 s[4:5], s[16:17], 3
	;; [unrolled: 1-line block ×3, first 2 shown]
	s_branch .LBB500_6
.LBB500_5:                              ;   in Loop: Header=BB500_6 Depth=1
	s_wait_xcnt 0x0
	s_or_b32 exec_lo, exec_lo, s16
	s_add_co_i32 s6, s6, 0x10000
	s_delay_alu instid0(SALU_CYCLE_1)
	s_cmp_lt_u32 s6, s33
	s_cbranch_scc0 .LBB500_35
.LBB500_6:                              ; =>This Loop Header: Depth=1
                                        ;     Child Loop BB500_9 Depth 2
	v_mov_b32_e32 v16, s6
	v_mov_b64_e32 v[26:27], 0
	v_mov_b64_e32 v[22:23], 0
	;; [unrolled: 1-line block ×4, first 2 shown]
	global_load_b64 v[24:25], v16, s[26:27] scale_offset
	s_and_not1_b32 vcc_lo, exec_lo, s37
	s_cbranch_vccnz .LBB500_15
; %bb.7:                                ;   in Loop: Header=BB500_6 Depth=1
	s_lshl_b64 s[16:17], s[6:7], 3
	v_mov_b64_e32 v[22:23], 0
	s_add_nc_u64 s[22:23], s[12:13], s[16:17]
	s_add_nc_u64 s[16:17], s[18:19], s[16:17]
	s_clause 0x1
	global_load_b64 v[18:19], v17, s[22:23]
	global_load_b64 v[20:21], v17, s[16:17]
	v_mov_b64_e32 v[26:27], 0
	s_wait_xcnt 0x0
	s_mov_b64 s[16:17], 0
	s_wait_loadcnt 0x1
	v_add_nc_u64_e32 v[28:29], s[4:5], v[18:19]
	s_wait_loadcnt 0x0
	v_add_nc_u64_e32 v[30:31], s[2:3], v[20:21]
	v_mov_b64_e32 v[18:19], 0
	v_mov_b64_e32 v[20:21], 0
	s_delay_alu instid0(VALU_DEP_4) | instskip(NEXT) | instid1(VALU_DEP_4)
	v_lshl_add_u64 v[28:29], v[6:7], 3, v[28:29]
	v_lshl_add_u64 v[30:31], v[4:5], 3, v[30:31]
	s_branch .LBB500_9
.LBB500_8:                              ;   in Loop: Header=BB500_9 Depth=2
	s_wait_xcnt 0x0
	s_or_b32 exec_lo, exec_lo, s22
	s_wait_loadcnt_dscnt 0x0
	ds_store_b64 v3, v[34:35]
	s_wait_dscnt 0x0
	s_barrier_signal -1
	s_barrier_wait -1
	ds_load_b128 v[32:35], v37
	ds_load_2addr_b64 v[38:41], v36 offset1:16
	ds_load_b128 v[42:45], v37 offset:1024
	ds_load_b128 v[46:49], v37 offset:16
	;; [unrolled: 1-line block ×3, first 2 shown]
	s_add_nc_u64 s[16:17], s[16:17], 8
	s_delay_alu instid0(SALU_CYCLE_1)
	v_cmp_gt_i64_e64 s22, s[8:9], s[16:17]
	s_and_b32 vcc_lo, exec_lo, s22
	s_wait_dscnt 0x3
	v_fmac_f64_e32 v[26:27], v[38:39], v[32:33]
	v_fmac_f64_e32 v[22:23], v[40:41], v[32:33]
	s_wait_dscnt 0x2
	v_fmac_f64_e32 v[20:21], v[38:39], v[42:43]
	v_fmac_f64_e32 v[18:19], v[40:41], v[42:43]
	ds_load_2addr_b64 v[38:41], v36 offset0:32 offset1:48
	s_wait_dscnt 0x0
	v_fmac_f64_e32 v[26:27], v[38:39], v[34:35]
	v_fmac_f64_e32 v[22:23], v[40:41], v[34:35]
	v_fmac_f64_e32 v[20:21], v[38:39], v[44:45]
	v_fmac_f64_e32 v[18:19], v[40:41], v[44:45]
	ds_load_2addr_b64 v[32:35], v36 offset0:64 offset1:80
	s_wait_dscnt 0x0
	v_fmac_f64_e32 v[26:27], v[32:33], v[46:47]
	v_fmac_f64_e32 v[22:23], v[34:35], v[46:47]
	;; [unrolled: 6-line block ×3, first 2 shown]
	v_fmac_f64_e32 v[20:21], v[32:33], v[52:53]
	v_fmac_f64_e32 v[18:19], v[34:35], v[52:53]
	ds_load_b128 v[32:35], v37 offset:32
	ds_load_2addr_b64 v[38:41], v36 offset0:128 offset1:144
	ds_load_b128 v[42:45], v37 offset:1056
	ds_load_b128 v[46:49], v37 offset:48
	;; [unrolled: 1-line block ×3, first 2 shown]
	s_wait_dscnt 0x3
	v_fmac_f64_e32 v[26:27], v[38:39], v[32:33]
	v_fmac_f64_e32 v[22:23], v[40:41], v[32:33]
	s_wait_dscnt 0x2
	v_fmac_f64_e32 v[20:21], v[38:39], v[42:43]
	v_fmac_f64_e32 v[18:19], v[40:41], v[42:43]
	ds_load_2addr_b64 v[38:41], v36 offset0:160 offset1:176
	s_wait_dscnt 0x0
	v_fmac_f64_e32 v[26:27], v[38:39], v[34:35]
	v_fmac_f64_e32 v[22:23], v[40:41], v[34:35]
	;; [unrolled: 1-line block ×4, first 2 shown]
	ds_load_2addr_b64 v[32:35], v36 offset0:192 offset1:208
	s_wait_dscnt 0x0
	v_fmac_f64_e32 v[26:27], v[32:33], v[46:47]
	v_fmac_f64_e32 v[22:23], v[34:35], v[46:47]
	;; [unrolled: 1-line block ×4, first 2 shown]
	ds_load_2addr_b64 v[32:35], v36 offset0:224 offset1:240
	s_wait_dscnt 0x0
	s_barrier_signal -1
	s_barrier_wait -1
	v_fmac_f64_e32 v[26:27], v[32:33], v[48:49]
	v_fmac_f64_e32 v[22:23], v[34:35], v[48:49]
	;; [unrolled: 1-line block ×4, first 2 shown]
	s_cbranch_vccz .LBB500_15
.LBB500_9:                              ;   Parent Loop BB500_6 Depth=1
                                        ; =>  This Inner Loop Header: Depth=2
	v_mov_b64_e32 v[32:33], 0
	s_and_saveexec_b32 s22, s0
	s_cbranch_execz .LBB500_13
; %bb.10:                               ;   in Loop: Header=BB500_9 Depth=2
	v_mov_b64_e32 v[32:33], 0
	v_add_nc_u32_e32 v16, s16, v2
	s_mov_b32 s23, exec_lo
	s_delay_alu instid0(VALU_DEP_1)
	v_cmpx_gt_u64_e64 s[8:9], v[16:17]
	s_cbranch_execz .LBB500_12
; %bb.11:                               ;   in Loop: Header=BB500_9 Depth=2
	v_lshl_add_u64 v[32:33], v[16:17], 3, v[28:29]
	flat_load_b64 v[32:33], v[32:33]
.LBB500_12:                             ;   in Loop: Header=BB500_9 Depth=2
	s_wait_xcnt 0x0
	s_or_b32 exec_lo, exec_lo, s23
.LBB500_13:                             ;   in Loop: Header=BB500_9 Depth=2
	s_delay_alu instid0(SALU_CYCLE_1)
	s_or_b32 exec_lo, exec_lo, s22
	v_add_nc_u32_e32 v16, s16, v0
	v_mov_b64_e32 v[34:35], 0
	s_wait_loadcnt_dscnt 0x0
	ds_store_b64 v1, v[32:33]
	v_cmp_gt_u64_e32 vcc_lo, s[8:9], v[16:17]
	s_and_b32 s23, vcc_lo, s1
	s_delay_alu instid0(SALU_CYCLE_1)
	s_and_saveexec_b32 s22, s23
	s_cbranch_execz .LBB500_8
; %bb.14:                               ;   in Loop: Header=BB500_9 Depth=2
	v_mul_u64_e32 v[32:33], s[20:21], v[16:17]
	s_delay_alu instid0(VALU_DEP_1)
	v_lshl_add_u64 v[32:33], v[32:33], 3, v[30:31]
	flat_load_b64 v[34:35], v[32:33]
	s_branch .LBB500_8
.LBB500_15:                             ;   in Loop: Header=BB500_6 Depth=1
	s_wait_loadcnt 0x0
	v_add_nc_u64_e32 v[24:25], s[14:15], v[24:25]
	s_delay_alu instid0(VALU_DEP_1)
	v_lshl_add_u64 v[28:29], v[8:9], 3, v[24:25]
	s_wait_xcnt 0x0
	s_and_saveexec_b32 s16, s28
	s_cbranch_execz .LBB500_19
; %bb.16:                               ;   in Loop: Header=BB500_6 Depth=1
	v_mul_f64_e32 v[26:27], s[10:11], v[26:27]
	v_lshl_add_u64 v[30:31], v[12:13], 3, v[28:29]
	s_and_b32 vcc_lo, exec_lo, s34
	s_cbranch_vccz .LBB500_30
; %bb.17:                               ;   in Loop: Header=BB500_6 Depth=1
	flat_load_b64 v[32:33], v[30:31]
	s_wait_loadcnt_dscnt 0x0
	v_fma_f64 v[32:33], s[24:25], v[32:33], v[26:27]
	flat_store_b64 v[30:31], v[32:33]
	s_cbranch_execnz .LBB500_19
.LBB500_18:                             ;   in Loop: Header=BB500_6 Depth=1
	flat_store_b64 v[30:31], v[26:27]
.LBB500_19:                             ;   in Loop: Header=BB500_6 Depth=1
	s_wait_xcnt 0x0
	s_or_b32 exec_lo, exec_lo, s16
	s_and_saveexec_b32 s16, s29
	s_cbranch_execz .LBB500_23
; %bb.20:                               ;   in Loop: Header=BB500_6 Depth=1
	v_mul_f64_e32 v[22:23], s[10:11], v[22:23]
	v_lshl_add_u64 v[26:27], v[14:15], 3, v[28:29]
	s_and_not1_b32 vcc_lo, exec_lo, s34
	s_cbranch_vccnz .LBB500_31
; %bb.21:                               ;   in Loop: Header=BB500_6 Depth=1
	flat_load_b64 v[28:29], v[26:27]
	s_wait_loadcnt_dscnt 0x0
	v_fma_f64 v[28:29], s[24:25], v[28:29], v[22:23]
	flat_store_b64 v[26:27], v[28:29]
	s_cbranch_execnz .LBB500_23
.LBB500_22:                             ;   in Loop: Header=BB500_6 Depth=1
	flat_store_b64 v[26:27], v[22:23]
.LBB500_23:                             ;   in Loop: Header=BB500_6 Depth=1
	s_wait_xcnt 0x0
	s_or_b32 exec_lo, exec_lo, s16
	v_lshl_add_u64 v[22:23], v[10:11], 3, v[24:25]
	s_and_saveexec_b32 s16, s35
	s_cbranch_execz .LBB500_27
; %bb.24:                               ;   in Loop: Header=BB500_6 Depth=1
	v_mul_f64_e32 v[20:21], s[10:11], v[20:21]
	s_delay_alu instid0(VALU_DEP_2)
	v_lshl_add_u64 v[24:25], v[12:13], 3, v[22:23]
	s_and_not1_b32 vcc_lo, exec_lo, s34
	s_cbranch_vccnz .LBB500_32
; %bb.25:                               ;   in Loop: Header=BB500_6 Depth=1
	flat_load_b64 v[26:27], v[24:25]
	s_wait_loadcnt_dscnt 0x0
	v_fma_f64 v[26:27], s[24:25], v[26:27], v[20:21]
	flat_store_b64 v[24:25], v[26:27]
	s_cbranch_execnz .LBB500_27
.LBB500_26:                             ;   in Loop: Header=BB500_6 Depth=1
	flat_store_b64 v[24:25], v[20:21]
.LBB500_27:                             ;   in Loop: Header=BB500_6 Depth=1
	s_wait_xcnt 0x0
	s_or_b32 exec_lo, exec_lo, s16
	s_and_saveexec_b32 s16, s36
	s_cbranch_execz .LBB500_5
; %bb.28:                               ;   in Loop: Header=BB500_6 Depth=1
	s_delay_alu instid0(VALU_DEP_4)
	v_mul_f64_e32 v[18:19], s[10:11], v[18:19]
	v_lshl_add_u64 v[20:21], v[14:15], 3, v[22:23]
	s_and_not1_b32 vcc_lo, exec_lo, s34
	s_cbranch_vccnz .LBB500_33
; %bb.29:                               ;   in Loop: Header=BB500_6 Depth=1
	flat_load_b64 v[22:23], v[20:21]
	s_wait_loadcnt_dscnt 0x0
	v_fma_f64 v[22:23], s[24:25], v[22:23], v[18:19]
	flat_store_b64 v[20:21], v[22:23]
	s_cbranch_execnz .LBB500_5
	s_branch .LBB500_34
.LBB500_30:                             ;   in Loop: Header=BB500_6 Depth=1
	s_branch .LBB500_18
.LBB500_31:                             ;   in Loop: Header=BB500_6 Depth=1
	s_branch .LBB500_22
.LBB500_32:                             ;   in Loop: Header=BB500_6 Depth=1
	s_branch .LBB500_26
.LBB500_33:                             ;   in Loop: Header=BB500_6 Depth=1
.LBB500_34:                             ;   in Loop: Header=BB500_6 Depth=1
	flat_store_b64 v[20:21], v[18:19]
	s_branch .LBB500_5
.LBB500_35:
	s_endpgm
	.section	.rodata,"a",@progbits
	.p2align	6, 0x0
	.amdhsa_kernel _ZL29rocblas_internal_gemmt_kernelIlLi16ELi32ELi8ELc84ELc67ELc76ELb0ELb0EddPKPKdPKPdEviT_T9_T10_S7_lS9_S7_lS8_T11_S7_li
		.amdhsa_group_segment_fixed_size 4096
		.amdhsa_private_segment_fixed_size 0
		.amdhsa_kernarg_size 108
		.amdhsa_user_sgpr_count 2
		.amdhsa_user_sgpr_dispatch_ptr 0
		.amdhsa_user_sgpr_queue_ptr 0
		.amdhsa_user_sgpr_kernarg_segment_ptr 1
		.amdhsa_user_sgpr_dispatch_id 0
		.amdhsa_user_sgpr_kernarg_preload_length 0
		.amdhsa_user_sgpr_kernarg_preload_offset 0
		.amdhsa_user_sgpr_private_segment_size 0
		.amdhsa_wavefront_size32 1
		.amdhsa_uses_dynamic_stack 0
		.amdhsa_enable_private_segment 0
		.amdhsa_system_sgpr_workgroup_id_x 1
		.amdhsa_system_sgpr_workgroup_id_y 1
		.amdhsa_system_sgpr_workgroup_id_z 1
		.amdhsa_system_sgpr_workgroup_info 0
		.amdhsa_system_vgpr_workitem_id 1
		.amdhsa_next_free_vgpr 54
		.amdhsa_next_free_sgpr 38
		.amdhsa_named_barrier_count 0
		.amdhsa_reserve_vcc 1
		.amdhsa_float_round_mode_32 0
		.amdhsa_float_round_mode_16_64 0
		.amdhsa_float_denorm_mode_32 3
		.amdhsa_float_denorm_mode_16_64 3
		.amdhsa_fp16_overflow 0
		.amdhsa_memory_ordered 1
		.amdhsa_forward_progress 1
		.amdhsa_inst_pref_size 13
		.amdhsa_round_robin_scheduling 0
		.amdhsa_exception_fp_ieee_invalid_op 0
		.amdhsa_exception_fp_denorm_src 0
		.amdhsa_exception_fp_ieee_div_zero 0
		.amdhsa_exception_fp_ieee_overflow 0
		.amdhsa_exception_fp_ieee_underflow 0
		.amdhsa_exception_fp_ieee_inexact 0
		.amdhsa_exception_int_div_zero 0
	.end_amdhsa_kernel
	.section	.text._ZL29rocblas_internal_gemmt_kernelIlLi16ELi32ELi8ELc84ELc67ELc76ELb0ELb0EddPKPKdPKPdEviT_T9_T10_S7_lS9_S7_lS8_T11_S7_li,"axG",@progbits,_ZL29rocblas_internal_gemmt_kernelIlLi16ELi32ELi8ELc84ELc67ELc76ELb0ELb0EddPKPKdPKPdEviT_T9_T10_S7_lS9_S7_lS8_T11_S7_li,comdat
.Lfunc_end500:
	.size	_ZL29rocblas_internal_gemmt_kernelIlLi16ELi32ELi8ELc84ELc67ELc76ELb0ELb0EddPKPKdPKPdEviT_T9_T10_S7_lS9_S7_lS8_T11_S7_li, .Lfunc_end500-_ZL29rocblas_internal_gemmt_kernelIlLi16ELi32ELi8ELc84ELc67ELc76ELb0ELb0EddPKPKdPKPdEviT_T9_T10_S7_lS9_S7_lS8_T11_S7_li
                                        ; -- End function
	.set _ZL29rocblas_internal_gemmt_kernelIlLi16ELi32ELi8ELc84ELc67ELc76ELb0ELb0EddPKPKdPKPdEviT_T9_T10_S7_lS9_S7_lS8_T11_S7_li.num_vgpr, 54
	.set _ZL29rocblas_internal_gemmt_kernelIlLi16ELi32ELi8ELc84ELc67ELc76ELb0ELb0EddPKPKdPKPdEviT_T9_T10_S7_lS9_S7_lS8_T11_S7_li.num_agpr, 0
	.set _ZL29rocblas_internal_gemmt_kernelIlLi16ELi32ELi8ELc84ELc67ELc76ELb0ELb0EddPKPKdPKPdEviT_T9_T10_S7_lS9_S7_lS8_T11_S7_li.numbered_sgpr, 38
	.set _ZL29rocblas_internal_gemmt_kernelIlLi16ELi32ELi8ELc84ELc67ELc76ELb0ELb0EddPKPKdPKPdEviT_T9_T10_S7_lS9_S7_lS8_T11_S7_li.num_named_barrier, 0
	.set _ZL29rocblas_internal_gemmt_kernelIlLi16ELi32ELi8ELc84ELc67ELc76ELb0ELb0EddPKPKdPKPdEviT_T9_T10_S7_lS9_S7_lS8_T11_S7_li.private_seg_size, 0
	.set _ZL29rocblas_internal_gemmt_kernelIlLi16ELi32ELi8ELc84ELc67ELc76ELb0ELb0EddPKPKdPKPdEviT_T9_T10_S7_lS9_S7_lS8_T11_S7_li.uses_vcc, 1
	.set _ZL29rocblas_internal_gemmt_kernelIlLi16ELi32ELi8ELc84ELc67ELc76ELb0ELb0EddPKPKdPKPdEviT_T9_T10_S7_lS9_S7_lS8_T11_S7_li.uses_flat_scratch, 0
	.set _ZL29rocblas_internal_gemmt_kernelIlLi16ELi32ELi8ELc84ELc67ELc76ELb0ELb0EddPKPKdPKPdEviT_T9_T10_S7_lS9_S7_lS8_T11_S7_li.has_dyn_sized_stack, 0
	.set _ZL29rocblas_internal_gemmt_kernelIlLi16ELi32ELi8ELc84ELc67ELc76ELb0ELb0EddPKPKdPKPdEviT_T9_T10_S7_lS9_S7_lS8_T11_S7_li.has_recursion, 0
	.set _ZL29rocblas_internal_gemmt_kernelIlLi16ELi32ELi8ELc84ELc67ELc76ELb0ELb0EddPKPKdPKPdEviT_T9_T10_S7_lS9_S7_lS8_T11_S7_li.has_indirect_call, 0
	.section	.AMDGPU.csdata,"",@progbits
; Kernel info:
; codeLenInByte = 1648
; TotalNumSgprs: 40
; NumVgprs: 54
; ScratchSize: 0
; MemoryBound: 0
; FloatMode: 240
; IeeeMode: 1
; LDSByteSize: 4096 bytes/workgroup (compile time only)
; SGPRBlocks: 0
; VGPRBlocks: 3
; NumSGPRsForWavesPerEU: 40
; NumVGPRsForWavesPerEU: 54
; NamedBarCnt: 0
; Occupancy: 16
; WaveLimiterHint : 1
; COMPUTE_PGM_RSRC2:SCRATCH_EN: 0
; COMPUTE_PGM_RSRC2:USER_SGPR: 2
; COMPUTE_PGM_RSRC2:TRAP_HANDLER: 0
; COMPUTE_PGM_RSRC2:TGID_X_EN: 1
; COMPUTE_PGM_RSRC2:TGID_Y_EN: 1
; COMPUTE_PGM_RSRC2:TGID_Z_EN: 1
; COMPUTE_PGM_RSRC2:TIDIG_COMP_CNT: 1
	.section	.text._ZL29rocblas_internal_gemmt_kernelIlLi16ELi32ELi8ELc67ELc78ELc76ELb0ELb0EddPKPKdPKPdEviT_T9_T10_S7_lS9_S7_lS8_T11_S7_li,"axG",@progbits,_ZL29rocblas_internal_gemmt_kernelIlLi16ELi32ELi8ELc67ELc78ELc76ELb0ELb0EddPKPKdPKPdEviT_T9_T10_S7_lS9_S7_lS8_T11_S7_li,comdat
	.globl	_ZL29rocblas_internal_gemmt_kernelIlLi16ELi32ELi8ELc67ELc78ELc76ELb0ELb0EddPKPKdPKPdEviT_T9_T10_S7_lS9_S7_lS8_T11_S7_li ; -- Begin function _ZL29rocblas_internal_gemmt_kernelIlLi16ELi32ELi8ELc67ELc78ELc76ELb0ELb0EddPKPKdPKPdEviT_T9_T10_S7_lS9_S7_lS8_T11_S7_li
	.p2align	8
	.type	_ZL29rocblas_internal_gemmt_kernelIlLi16ELi32ELi8ELc67ELc78ELc76ELb0ELb0EddPKPKdPKPdEviT_T9_T10_S7_lS9_S7_lS8_T11_S7_li,@function
_ZL29rocblas_internal_gemmt_kernelIlLi16ELi32ELi8ELc67ELc78ELc76ELb0ELb0EddPKPKdPKPdEviT_T9_T10_S7_lS9_S7_lS8_T11_S7_li: ; @_ZL29rocblas_internal_gemmt_kernelIlLi16ELi32ELi8ELc67ELc78ELc76ELb0ELb0EddPKPKdPKPdEviT_T9_T10_S7_lS9_S7_lS8_T11_S7_li
; %bb.0:
	s_clause 0x1
	s_load_b256 s[24:31], s[0:1], 0x48
	s_load_b512 s[8:23], s[0:1], 0x8
	s_wait_kmcnt 0x0
	v_cmp_neq_f64_e64 s2, s[24:25], 1.0
	s_and_b32 vcc_lo, exec_lo, s2
	s_cbranch_vccnz .LBB501_2
; %bb.1:
	v_cmp_neq_f64_e64 s2, s[10:11], 0
	s_cmp_lg_u64 s[8:9], 0
	s_cselect_b32 s3, -1, 0
	s_delay_alu instid0(SALU_CYCLE_1)
	s_and_b32 s2, s3, s2
.LBB501_2:
	s_delay_alu instid0(SALU_CYCLE_1)
	s_and_not1_b32 vcc_lo, exec_lo, s2
	s_cbranch_vccnz .LBB501_35
; %bb.3:
	s_load_b32 s33, s[0:1], 0x68
	s_bfe_u32 s2, ttmp6, 0x40014
	s_lshr_b32 s3, ttmp7, 16
	s_add_co_i32 s2, s2, 1
	s_bfe_u32 s5, ttmp6, 0x40008
	s_mul_i32 s4, s3, s2
	s_getreg_b32 s2, hwreg(HW_REG_IB_STS2, 6, 4)
	s_add_co_i32 s5, s5, s4
	s_cmp_eq_u32 s2, 0
	s_mov_b32 s7, 0
	s_cselect_b32 s6, s3, s5
	s_wait_kmcnt 0x0
	s_cmp_ge_u32 s6, s33
	s_cbranch_scc1 .LBB501_35
; %bb.4:
	v_and_b32_e32 v13, 0x3ff, v0
	v_bfe_u32 v22, v0, 10, 10
	s_bfe_u32 s3, ttmp6, 0x4000c
	s_bfe_u32 s5, ttmp6, 0x40010
	s_add_co_i32 s3, s3, 1
	s_and_b32 s34, ttmp7, 0xffff
	s_add_co_i32 s5, s5, 1
	v_lshl_add_u32 v1, v22, 4, v13
	s_and_b32 s4, ttmp6, 15
	s_mul_i32 s3, ttmp9, s3
	s_mul_i32 s5, s34, s5
	s_bfe_u32 s35, ttmp6, 0x40004
	s_add_co_i32 s4, s4, s3
	s_add_co_i32 s35, s35, s5
	s_cmp_eq_u32 s2, 0
	v_dual_lshrrev_b32 v12, 3, v1 :: v_dual_bitop2_b32 v11, 31, v1 bitop3:0x40
	s_cselect_b32 s2, ttmp9, s4
	s_cselect_b32 s3, s34, s35
	s_lshl_b32 s2, s2, 5
	s_lshl_b32 s3, s3, 5
	s_delay_alu instid0(SALU_CYCLE_1)
	v_dual_add_nc_u32 v16, s3, v22 :: v_dual_bitop2_b32 v14, s2, v11 bitop3:0x54
	v_add_nc_u32_e32 v18, s3, v12
	v_cmp_neq_f64_e64 s35, s[10:11], 0
	s_load_b32 s4, s[0:1], 0x0
	v_dual_ashrrev_i32 v15, 31, v14 :: v_dual_add_nc_u32 v20, 16, v16
	v_ashrrev_i32_e32 v17, 31, v16
	v_dual_ashrrev_i32 v19, 31, v18 :: v_dual_bitop2_b32 v0, 7, v0 bitop3:0x40
	s_delay_alu instid0(VALU_DEP_3) | instskip(NEXT) | instid1(VALU_DEP_4)
	v_mul_u64_e32 v[2:3], s[14:15], v[14:15]
	v_dual_ashrrev_i32 v21, 31, v20 :: v_dual_lshrrev_b32 v10, 5, v1
	s_delay_alu instid0(VALU_DEP_4) | instskip(NEXT) | instid1(VALU_DEP_4)
	v_mul_u64_e32 v[6:7], s[28:29], v[16:17]
	v_mul_u64_e32 v[4:5], s[20:21], v[18:19]
	v_cmp_neq_f64_e64 s20, s[24:25], 0
	s_delay_alu instid0(VALU_DEP_4) | instskip(SKIP_4) | instid1(VALU_DEP_4)
	v_mul_u64_e32 v[8:9], s[28:29], v[20:21]
	v_dual_lshlrev_b32 v15, 3, v0 :: v_dual_lshlrev_b32 v1, 3, v11
	v_lshlrev_b32_e32 v36, 3, v13
	v_cmp_gt_i64_e64 s14, s[8:9], 0
	v_lshl_add_u32 v37, v22, 6, 0x800
	v_lshl_or_b32 v11, v12, 6, v15
	v_add_nc_u32_e32 v12, s2, v13
	s_wait_kmcnt 0x0
	v_cmp_gt_i32_e64 s0, s4, v14
	v_cmp_gt_i32_e64 s1, s4, v18
	v_lshl_or_b32 v1, v10, 8, v1
	v_add_nc_u32_e32 v11, 0x800, v11
	v_dual_add_nc_u32 v14, 16, v12 :: v_dual_ashrrev_i32 v13, 31, v12
	v_cmp_le_i32_e32 vcc_lo, v16, v12
	v_cmp_gt_i32_e64 s2, s4, v12
	s_delay_alu instid0(VALU_DEP_3)
	v_dual_mov_b32 v17, 0 :: v_dual_ashrrev_i32 v15, 31, v14
	v_cmp_le_i32_e64 s3, v16, v14
	v_cmp_gt_i32_e64 s4, s4, v14
	s_and_b32 s21, vcc_lo, s2
	v_cmp_le_i32_e32 vcc_lo, v20, v12
	v_cmp_le_i32_e64 s5, v20, v14
	s_and_b32 s35, s35, s14
	s_and_b32 s28, s3, s4
	s_lshl_b64 s[14:15], s[30:31], 3
	s_and_b32 s29, vcc_lo, s2
	s_and_b32 s34, s5, s4
	s_lshl_b64 s[2:3], s[22:23], 3
	s_lshl_b64 s[4:5], s[16:17], 3
	s_branch .LBB501_6
.LBB501_5:                              ;   in Loop: Header=BB501_6 Depth=1
	s_wait_xcnt 0x0
	s_or_b32 exec_lo, exec_lo, s16
	s_add_co_i32 s6, s6, 0x10000
	s_delay_alu instid0(SALU_CYCLE_1)
	s_cmp_lt_u32 s6, s33
	s_cbranch_scc0 .LBB501_35
.LBB501_6:                              ; =>This Loop Header: Depth=1
                                        ;     Child Loop BB501_9 Depth 2
	v_mov_b32_e32 v16, s6
	v_mov_b64_e32 v[26:27], 0
	v_mov_b64_e32 v[22:23], 0
	;; [unrolled: 1-line block ×4, first 2 shown]
	global_load_b64 v[24:25], v16, s[26:27] scale_offset
	s_and_not1_b32 vcc_lo, exec_lo, s35
	s_cbranch_vccnz .LBB501_15
; %bb.7:                                ;   in Loop: Header=BB501_6 Depth=1
	s_lshl_b64 s[16:17], s[6:7], 3
	v_mov_b64_e32 v[22:23], 0
	s_add_nc_u64 s[22:23], s[12:13], s[16:17]
	s_add_nc_u64 s[16:17], s[18:19], s[16:17]
	s_clause 0x1
	global_load_b64 v[18:19], v17, s[22:23]
	global_load_b64 v[20:21], v17, s[16:17]
	v_mov_b64_e32 v[26:27], 0
	s_wait_xcnt 0x0
	s_mov_b64 s[16:17], 0
	s_wait_loadcnt 0x1
	v_add_nc_u64_e32 v[28:29], s[4:5], v[18:19]
	s_wait_loadcnt 0x0
	v_add_nc_u64_e32 v[30:31], s[2:3], v[20:21]
	v_mov_b64_e32 v[18:19], 0
	v_mov_b64_e32 v[20:21], 0
	s_delay_alu instid0(VALU_DEP_4) | instskip(NEXT) | instid1(VALU_DEP_4)
	v_lshl_add_u64 v[28:29], v[2:3], 3, v[28:29]
	v_lshl_add_u64 v[30:31], v[4:5], 3, v[30:31]
	s_branch .LBB501_9
.LBB501_8:                              ;   in Loop: Header=BB501_9 Depth=2
	s_wait_xcnt 0x0
	s_or_b32 exec_lo, exec_lo, s22
	s_wait_loadcnt_dscnt 0x0
	ds_store_b64 v11, v[34:35]
	s_wait_dscnt 0x0
	s_barrier_signal -1
	s_barrier_wait -1
	ds_load_b128 v[32:35], v37
	ds_load_2addr_b64 v[38:41], v36 offset1:16
	ds_load_b128 v[42:45], v37 offset:1024
	ds_load_b128 v[46:49], v37 offset:16
	;; [unrolled: 1-line block ×3, first 2 shown]
	s_add_nc_u64 s[16:17], s[16:17], 8
	s_delay_alu instid0(SALU_CYCLE_1)
	v_cmp_gt_i64_e64 s22, s[8:9], s[16:17]
	s_and_b32 vcc_lo, exec_lo, s22
	s_wait_dscnt 0x3
	v_fmac_f64_e32 v[26:27], v[38:39], v[32:33]
	v_fmac_f64_e32 v[22:23], v[40:41], v[32:33]
	s_wait_dscnt 0x2
	v_fmac_f64_e32 v[20:21], v[38:39], v[42:43]
	v_fmac_f64_e32 v[18:19], v[40:41], v[42:43]
	ds_load_2addr_b64 v[38:41], v36 offset0:32 offset1:48
	s_wait_dscnt 0x0
	v_fmac_f64_e32 v[26:27], v[38:39], v[34:35]
	v_fmac_f64_e32 v[22:23], v[40:41], v[34:35]
	v_fmac_f64_e32 v[20:21], v[38:39], v[44:45]
	v_fmac_f64_e32 v[18:19], v[40:41], v[44:45]
	ds_load_2addr_b64 v[32:35], v36 offset0:64 offset1:80
	s_wait_dscnt 0x0
	v_fmac_f64_e32 v[26:27], v[32:33], v[46:47]
	v_fmac_f64_e32 v[22:23], v[34:35], v[46:47]
	;; [unrolled: 6-line block ×3, first 2 shown]
	v_fmac_f64_e32 v[20:21], v[32:33], v[52:53]
	v_fmac_f64_e32 v[18:19], v[34:35], v[52:53]
	ds_load_b128 v[32:35], v37 offset:32
	ds_load_2addr_b64 v[38:41], v36 offset0:128 offset1:144
	ds_load_b128 v[42:45], v37 offset:1056
	ds_load_b128 v[46:49], v37 offset:48
	;; [unrolled: 1-line block ×3, first 2 shown]
	s_wait_dscnt 0x3
	v_fmac_f64_e32 v[26:27], v[38:39], v[32:33]
	v_fmac_f64_e32 v[22:23], v[40:41], v[32:33]
	s_wait_dscnt 0x2
	v_fmac_f64_e32 v[20:21], v[38:39], v[42:43]
	v_fmac_f64_e32 v[18:19], v[40:41], v[42:43]
	ds_load_2addr_b64 v[38:41], v36 offset0:160 offset1:176
	s_wait_dscnt 0x0
	v_fmac_f64_e32 v[26:27], v[38:39], v[34:35]
	v_fmac_f64_e32 v[22:23], v[40:41], v[34:35]
	;; [unrolled: 1-line block ×4, first 2 shown]
	ds_load_2addr_b64 v[32:35], v36 offset0:192 offset1:208
	s_wait_dscnt 0x0
	v_fmac_f64_e32 v[26:27], v[32:33], v[46:47]
	v_fmac_f64_e32 v[22:23], v[34:35], v[46:47]
	v_fmac_f64_e32 v[20:21], v[32:33], v[50:51]
	v_fmac_f64_e32 v[18:19], v[34:35], v[50:51]
	ds_load_2addr_b64 v[32:35], v36 offset0:224 offset1:240
	s_wait_dscnt 0x0
	s_barrier_signal -1
	s_barrier_wait -1
	v_fmac_f64_e32 v[26:27], v[32:33], v[48:49]
	v_fmac_f64_e32 v[22:23], v[34:35], v[48:49]
	;; [unrolled: 1-line block ×4, first 2 shown]
	s_cbranch_vccz .LBB501_15
.LBB501_9:                              ;   Parent Loop BB501_6 Depth=1
                                        ; =>  This Inner Loop Header: Depth=2
	v_mov_b64_e32 v[32:33], 0
	s_and_saveexec_b32 s22, s0
	s_cbranch_execz .LBB501_13
; %bb.10:                               ;   in Loop: Header=BB501_9 Depth=2
	v_mov_b64_e32 v[32:33], 0
	v_add_nc_u32_e32 v16, s16, v10
	s_mov_b32 s23, exec_lo
	s_delay_alu instid0(VALU_DEP_1)
	v_cmpx_gt_u64_e64 s[8:9], v[16:17]
	s_cbranch_execz .LBB501_12
; %bb.11:                               ;   in Loop: Header=BB501_9 Depth=2
	v_lshl_add_u64 v[32:33], v[16:17], 3, v[28:29]
	flat_load_b64 v[32:33], v[32:33]
.LBB501_12:                             ;   in Loop: Header=BB501_9 Depth=2
	s_wait_xcnt 0x0
	s_or_b32 exec_lo, exec_lo, s23
.LBB501_13:                             ;   in Loop: Header=BB501_9 Depth=2
	s_delay_alu instid0(SALU_CYCLE_1)
	s_or_b32 exec_lo, exec_lo, s22
	v_add_nc_u32_e32 v16, s16, v0
	v_mov_b64_e32 v[34:35], 0
	s_wait_loadcnt_dscnt 0x0
	ds_store_b64 v1, v[32:33]
	v_cmp_gt_u64_e32 vcc_lo, s[8:9], v[16:17]
	s_and_b32 s23, vcc_lo, s1
	s_delay_alu instid0(SALU_CYCLE_1)
	s_and_saveexec_b32 s22, s23
	s_cbranch_execz .LBB501_8
; %bb.14:                               ;   in Loop: Header=BB501_9 Depth=2
	v_lshl_add_u64 v[32:33], v[16:17], 3, v[30:31]
	flat_load_b64 v[34:35], v[32:33]
	s_branch .LBB501_8
.LBB501_15:                             ;   in Loop: Header=BB501_6 Depth=1
	s_wait_loadcnt 0x0
	v_add_nc_u64_e32 v[24:25], s[14:15], v[24:25]
	s_delay_alu instid0(VALU_DEP_1)
	v_lshl_add_u64 v[28:29], v[6:7], 3, v[24:25]
	s_wait_xcnt 0x0
	s_and_saveexec_b32 s16, s21
	s_cbranch_execz .LBB501_19
; %bb.16:                               ;   in Loop: Header=BB501_6 Depth=1
	v_mul_f64_e32 v[26:27], s[10:11], v[26:27]
	v_lshl_add_u64 v[30:31], v[12:13], 3, v[28:29]
	s_and_b32 vcc_lo, exec_lo, s20
	s_cbranch_vccz .LBB501_30
; %bb.17:                               ;   in Loop: Header=BB501_6 Depth=1
	flat_load_b64 v[32:33], v[30:31]
	s_wait_loadcnt_dscnt 0x0
	v_fma_f64 v[32:33], s[24:25], v[32:33], v[26:27]
	flat_store_b64 v[30:31], v[32:33]
	s_cbranch_execnz .LBB501_19
.LBB501_18:                             ;   in Loop: Header=BB501_6 Depth=1
	flat_store_b64 v[30:31], v[26:27]
.LBB501_19:                             ;   in Loop: Header=BB501_6 Depth=1
	s_wait_xcnt 0x0
	s_or_b32 exec_lo, exec_lo, s16
	s_and_saveexec_b32 s16, s28
	s_cbranch_execz .LBB501_23
; %bb.20:                               ;   in Loop: Header=BB501_6 Depth=1
	v_mul_f64_e32 v[22:23], s[10:11], v[22:23]
	v_lshl_add_u64 v[26:27], v[14:15], 3, v[28:29]
	s_and_not1_b32 vcc_lo, exec_lo, s20
	s_cbranch_vccnz .LBB501_31
; %bb.21:                               ;   in Loop: Header=BB501_6 Depth=1
	flat_load_b64 v[28:29], v[26:27]
	s_wait_loadcnt_dscnt 0x0
	v_fma_f64 v[28:29], s[24:25], v[28:29], v[22:23]
	flat_store_b64 v[26:27], v[28:29]
	s_cbranch_execnz .LBB501_23
.LBB501_22:                             ;   in Loop: Header=BB501_6 Depth=1
	flat_store_b64 v[26:27], v[22:23]
.LBB501_23:                             ;   in Loop: Header=BB501_6 Depth=1
	s_wait_xcnt 0x0
	s_or_b32 exec_lo, exec_lo, s16
	v_lshl_add_u64 v[22:23], v[8:9], 3, v[24:25]
	s_and_saveexec_b32 s16, s29
	s_cbranch_execz .LBB501_27
; %bb.24:                               ;   in Loop: Header=BB501_6 Depth=1
	v_mul_f64_e32 v[20:21], s[10:11], v[20:21]
	s_delay_alu instid0(VALU_DEP_2)
	v_lshl_add_u64 v[24:25], v[12:13], 3, v[22:23]
	s_and_not1_b32 vcc_lo, exec_lo, s20
	s_cbranch_vccnz .LBB501_32
; %bb.25:                               ;   in Loop: Header=BB501_6 Depth=1
	flat_load_b64 v[26:27], v[24:25]
	s_wait_loadcnt_dscnt 0x0
	v_fma_f64 v[26:27], s[24:25], v[26:27], v[20:21]
	flat_store_b64 v[24:25], v[26:27]
	s_cbranch_execnz .LBB501_27
.LBB501_26:                             ;   in Loop: Header=BB501_6 Depth=1
	flat_store_b64 v[24:25], v[20:21]
.LBB501_27:                             ;   in Loop: Header=BB501_6 Depth=1
	s_wait_xcnt 0x0
	s_or_b32 exec_lo, exec_lo, s16
	s_and_saveexec_b32 s16, s34
	s_cbranch_execz .LBB501_5
; %bb.28:                               ;   in Loop: Header=BB501_6 Depth=1
	s_delay_alu instid0(VALU_DEP_4)
	v_mul_f64_e32 v[18:19], s[10:11], v[18:19]
	v_lshl_add_u64 v[20:21], v[14:15], 3, v[22:23]
	s_and_not1_b32 vcc_lo, exec_lo, s20
	s_cbranch_vccnz .LBB501_33
; %bb.29:                               ;   in Loop: Header=BB501_6 Depth=1
	flat_load_b64 v[22:23], v[20:21]
	s_wait_loadcnt_dscnt 0x0
	v_fma_f64 v[22:23], s[24:25], v[22:23], v[18:19]
	flat_store_b64 v[20:21], v[22:23]
	s_cbranch_execnz .LBB501_5
	s_branch .LBB501_34
.LBB501_30:                             ;   in Loop: Header=BB501_6 Depth=1
	s_branch .LBB501_18
.LBB501_31:                             ;   in Loop: Header=BB501_6 Depth=1
	s_branch .LBB501_22
.LBB501_32:                             ;   in Loop: Header=BB501_6 Depth=1
	s_branch .LBB501_26
.LBB501_33:                             ;   in Loop: Header=BB501_6 Depth=1
.LBB501_34:                             ;   in Loop: Header=BB501_6 Depth=1
	flat_store_b64 v[20:21], v[18:19]
	s_branch .LBB501_5
.LBB501_35:
	s_endpgm
	.section	.rodata,"a",@progbits
	.p2align	6, 0x0
	.amdhsa_kernel _ZL29rocblas_internal_gemmt_kernelIlLi16ELi32ELi8ELc67ELc78ELc76ELb0ELb0EddPKPKdPKPdEviT_T9_T10_S7_lS9_S7_lS8_T11_S7_li
		.amdhsa_group_segment_fixed_size 4096
		.amdhsa_private_segment_fixed_size 0
		.amdhsa_kernarg_size 108
		.amdhsa_user_sgpr_count 2
		.amdhsa_user_sgpr_dispatch_ptr 0
		.amdhsa_user_sgpr_queue_ptr 0
		.amdhsa_user_sgpr_kernarg_segment_ptr 1
		.amdhsa_user_sgpr_dispatch_id 0
		.amdhsa_user_sgpr_kernarg_preload_length 0
		.amdhsa_user_sgpr_kernarg_preload_offset 0
		.amdhsa_user_sgpr_private_segment_size 0
		.amdhsa_wavefront_size32 1
		.amdhsa_uses_dynamic_stack 0
		.amdhsa_enable_private_segment 0
		.amdhsa_system_sgpr_workgroup_id_x 1
		.amdhsa_system_sgpr_workgroup_id_y 1
		.amdhsa_system_sgpr_workgroup_id_z 1
		.amdhsa_system_sgpr_workgroup_info 0
		.amdhsa_system_vgpr_workitem_id 1
		.amdhsa_next_free_vgpr 54
		.amdhsa_next_free_sgpr 36
		.amdhsa_named_barrier_count 0
		.amdhsa_reserve_vcc 1
		.amdhsa_float_round_mode_32 0
		.amdhsa_float_round_mode_16_64 0
		.amdhsa_float_denorm_mode_32 3
		.amdhsa_float_denorm_mode_16_64 3
		.amdhsa_fp16_overflow 0
		.amdhsa_memory_ordered 1
		.amdhsa_forward_progress 1
		.amdhsa_inst_pref_size 13
		.amdhsa_round_robin_scheduling 0
		.amdhsa_exception_fp_ieee_invalid_op 0
		.amdhsa_exception_fp_denorm_src 0
		.amdhsa_exception_fp_ieee_div_zero 0
		.amdhsa_exception_fp_ieee_overflow 0
		.amdhsa_exception_fp_ieee_underflow 0
		.amdhsa_exception_fp_ieee_inexact 0
		.amdhsa_exception_int_div_zero 0
	.end_amdhsa_kernel
	.section	.text._ZL29rocblas_internal_gemmt_kernelIlLi16ELi32ELi8ELc67ELc78ELc76ELb0ELb0EddPKPKdPKPdEviT_T9_T10_S7_lS9_S7_lS8_T11_S7_li,"axG",@progbits,_ZL29rocblas_internal_gemmt_kernelIlLi16ELi32ELi8ELc67ELc78ELc76ELb0ELb0EddPKPKdPKPdEviT_T9_T10_S7_lS9_S7_lS8_T11_S7_li,comdat
.Lfunc_end501:
	.size	_ZL29rocblas_internal_gemmt_kernelIlLi16ELi32ELi8ELc67ELc78ELc76ELb0ELb0EddPKPKdPKPdEviT_T9_T10_S7_lS9_S7_lS8_T11_S7_li, .Lfunc_end501-_ZL29rocblas_internal_gemmt_kernelIlLi16ELi32ELi8ELc67ELc78ELc76ELb0ELb0EddPKPKdPKPdEviT_T9_T10_S7_lS9_S7_lS8_T11_S7_li
                                        ; -- End function
	.set _ZL29rocblas_internal_gemmt_kernelIlLi16ELi32ELi8ELc67ELc78ELc76ELb0ELb0EddPKPKdPKPdEviT_T9_T10_S7_lS9_S7_lS8_T11_S7_li.num_vgpr, 54
	.set _ZL29rocblas_internal_gemmt_kernelIlLi16ELi32ELi8ELc67ELc78ELc76ELb0ELb0EddPKPKdPKPdEviT_T9_T10_S7_lS9_S7_lS8_T11_S7_li.num_agpr, 0
	.set _ZL29rocblas_internal_gemmt_kernelIlLi16ELi32ELi8ELc67ELc78ELc76ELb0ELb0EddPKPKdPKPdEviT_T9_T10_S7_lS9_S7_lS8_T11_S7_li.numbered_sgpr, 36
	.set _ZL29rocblas_internal_gemmt_kernelIlLi16ELi32ELi8ELc67ELc78ELc76ELb0ELb0EddPKPKdPKPdEviT_T9_T10_S7_lS9_S7_lS8_T11_S7_li.num_named_barrier, 0
	.set _ZL29rocblas_internal_gemmt_kernelIlLi16ELi32ELi8ELc67ELc78ELc76ELb0ELb0EddPKPKdPKPdEviT_T9_T10_S7_lS9_S7_lS8_T11_S7_li.private_seg_size, 0
	.set _ZL29rocblas_internal_gemmt_kernelIlLi16ELi32ELi8ELc67ELc78ELc76ELb0ELb0EddPKPKdPKPdEviT_T9_T10_S7_lS9_S7_lS8_T11_S7_li.uses_vcc, 1
	.set _ZL29rocblas_internal_gemmt_kernelIlLi16ELi32ELi8ELc67ELc78ELc76ELb0ELb0EddPKPKdPKPdEviT_T9_T10_S7_lS9_S7_lS8_T11_S7_li.uses_flat_scratch, 0
	.set _ZL29rocblas_internal_gemmt_kernelIlLi16ELi32ELi8ELc67ELc78ELc76ELb0ELb0EddPKPKdPKPdEviT_T9_T10_S7_lS9_S7_lS8_T11_S7_li.has_dyn_sized_stack, 0
	.set _ZL29rocblas_internal_gemmt_kernelIlLi16ELi32ELi8ELc67ELc78ELc76ELb0ELb0EddPKPKdPKPdEviT_T9_T10_S7_lS9_S7_lS8_T11_S7_li.has_recursion, 0
	.set _ZL29rocblas_internal_gemmt_kernelIlLi16ELi32ELi8ELc67ELc78ELc76ELb0ELb0EddPKPKdPKPdEviT_T9_T10_S7_lS9_S7_lS8_T11_S7_li.has_indirect_call, 0
	.section	.AMDGPU.csdata,"",@progbits
; Kernel info:
; codeLenInByte = 1640
; TotalNumSgprs: 38
; NumVgprs: 54
; ScratchSize: 0
; MemoryBound: 0
; FloatMode: 240
; IeeeMode: 1
; LDSByteSize: 4096 bytes/workgroup (compile time only)
; SGPRBlocks: 0
; VGPRBlocks: 3
; NumSGPRsForWavesPerEU: 38
; NumVGPRsForWavesPerEU: 54
; NamedBarCnt: 0
; Occupancy: 16
; WaveLimiterHint : 1
; COMPUTE_PGM_RSRC2:SCRATCH_EN: 0
; COMPUTE_PGM_RSRC2:USER_SGPR: 2
; COMPUTE_PGM_RSRC2:TRAP_HANDLER: 0
; COMPUTE_PGM_RSRC2:TGID_X_EN: 1
; COMPUTE_PGM_RSRC2:TGID_Y_EN: 1
; COMPUTE_PGM_RSRC2:TGID_Z_EN: 1
; COMPUTE_PGM_RSRC2:TIDIG_COMP_CNT: 1
	.section	.text._ZL29rocblas_internal_gemmt_kernelIlLi16ELi32ELi8ELc67ELc84ELc76ELb0ELb0EddPKPKdPKPdEviT_T9_T10_S7_lS9_S7_lS8_T11_S7_li,"axG",@progbits,_ZL29rocblas_internal_gemmt_kernelIlLi16ELi32ELi8ELc67ELc84ELc76ELb0ELb0EddPKPKdPKPdEviT_T9_T10_S7_lS9_S7_lS8_T11_S7_li,comdat
	.globl	_ZL29rocblas_internal_gemmt_kernelIlLi16ELi32ELi8ELc67ELc84ELc76ELb0ELb0EddPKPKdPKPdEviT_T9_T10_S7_lS9_S7_lS8_T11_S7_li ; -- Begin function _ZL29rocblas_internal_gemmt_kernelIlLi16ELi32ELi8ELc67ELc84ELc76ELb0ELb0EddPKPKdPKPdEviT_T9_T10_S7_lS9_S7_lS8_T11_S7_li
	.p2align	8
	.type	_ZL29rocblas_internal_gemmt_kernelIlLi16ELi32ELi8ELc67ELc84ELc76ELb0ELb0EddPKPKdPKPdEviT_T9_T10_S7_lS9_S7_lS8_T11_S7_li,@function
_ZL29rocblas_internal_gemmt_kernelIlLi16ELi32ELi8ELc67ELc84ELc76ELb0ELb0EddPKPKdPKPdEviT_T9_T10_S7_lS9_S7_lS8_T11_S7_li: ; @_ZL29rocblas_internal_gemmt_kernelIlLi16ELi32ELi8ELc67ELc84ELc76ELb0ELb0EddPKPKdPKPdEviT_T9_T10_S7_lS9_S7_lS8_T11_S7_li
; %bb.0:
	s_clause 0x1
	s_load_b256 s[24:31], s[0:1], 0x48
	s_load_b512 s[8:23], s[0:1], 0x8
	s_wait_kmcnt 0x0
	v_cmp_neq_f64_e64 s2, s[24:25], 1.0
	s_and_b32 vcc_lo, exec_lo, s2
	s_cbranch_vccnz .LBB502_2
; %bb.1:
	v_cmp_neq_f64_e64 s2, s[10:11], 0
	s_cmp_lg_u64 s[8:9], 0
	s_cselect_b32 s3, -1, 0
	s_delay_alu instid0(SALU_CYCLE_1)
	s_and_b32 s2, s3, s2
.LBB502_2:
	s_delay_alu instid0(SALU_CYCLE_1)
	s_and_not1_b32 vcc_lo, exec_lo, s2
	s_cbranch_vccnz .LBB502_35
; %bb.3:
	s_load_b32 s33, s[0:1], 0x68
	s_bfe_u32 s2, ttmp6, 0x40014
	s_lshr_b32 s3, ttmp7, 16
	s_add_co_i32 s2, s2, 1
	s_bfe_u32 s5, ttmp6, 0x40008
	s_mul_i32 s4, s3, s2
	s_getreg_b32 s2, hwreg(HW_REG_IB_STS2, 6, 4)
	s_add_co_i32 s5, s5, s4
	s_cmp_eq_u32 s2, 0
	s_mov_b32 s7, 0
	s_cselect_b32 s6, s3, s5
	s_wait_kmcnt 0x0
	s_cmp_ge_u32 s6, s33
	s_cbranch_scc1 .LBB502_35
; %bb.4:
	s_load_b32 s4, s[0:1], 0x0
	s_wait_xcnt 0x0
	s_bfe_u32 s1, ttmp6, 0x4000c
	s_bfe_u32 s3, ttmp6, 0x40010
	s_add_co_i32 s1, s1, 1
	s_and_b32 s5, ttmp7, 0xffff
	s_add_co_i32 s3, s3, 1
	v_and_b32_e32 v15, 0x3ff, v0
	v_bfe_u32 v20, v0, 10, 10
	s_and_b32 s0, ttmp6, 15
	s_mul_i32 s1, ttmp9, s1
	s_mul_i32 s3, s5, s3
	s_bfe_u32 s34, ttmp6, 0x40004
	s_add_co_i32 s0, s0, s1
	s_add_co_i32 s34, s34, s3
	s_cmp_eq_u32 s2, 0
	v_lshl_add_u32 v1, v20, 4, v15
	s_cselect_b32 s1, s5, s34
	s_cselect_b32 s0, ttmp9, s0
	s_lshl_b32 s1, s1, 5
	s_lshl_b32 s2, s0, 5
	v_dual_add_nc_u32 v16, s1, v20 :: v_dual_bitop2_b32 v3, 31, v1 bitop3:0x40
	v_lshrrev_b32_e32 v5, 3, v1
	v_cmp_neq_f64_e64 s37, s[10:11], 0
	v_cmp_neq_f64_e64 s34, s[24:25], 0
	s_delay_alu instid0(VALU_DEP_4) | instskip(NEXT) | instid1(VALU_DEP_4)
	v_dual_add_nc_u32 v18, 16, v16 :: v_dual_bitop2_b32 v12, s2, v3 bitop3:0x54
	v_dual_add_nc_u32 v4, s1, v5 :: v_dual_ashrrev_i32 v17, 31, v16
	s_delay_alu instid0(VALU_DEP_2) | instskip(NEXT) | instid1(VALU_DEP_3)
	v_dual_lshlrev_b32 v3, 3, v3 :: v_dual_ashrrev_i32 v13, 31, v12
	v_dual_ashrrev_i32 v19, 31, v18 :: v_dual_lshrrev_b32 v2, 5, v1
	v_and_b32_e32 v0, 7, v0
	s_delay_alu instid0(VALU_DEP_4) | instskip(NEXT) | instid1(VALU_DEP_4)
	v_mul_u64_e32 v[8:9], s[28:29], v[16:17]
	v_mul_u64_e32 v[6:7], s[14:15], v[12:13]
	s_delay_alu instid0(VALU_DEP_4)
	v_mul_u64_e32 v[10:11], s[28:29], v[18:19]
	s_wait_kmcnt 0x0
	v_cmp_gt_i32_e64 s0, s4, v12
	v_dual_lshlrev_b32 v1, 3, v0 :: v_dual_add_nc_u32 v12, s2, v15
	v_cmp_gt_i64_e64 s14, s[8:9], 0
	v_cmp_gt_i32_e64 s1, s4, v4
	v_lshlrev_b32_e32 v36, 3, v15
	s_delay_alu instid0(VALU_DEP_4) | instskip(SKIP_4) | instid1(VALU_DEP_4)
	v_lshl_or_b32 v5, v5, 6, v1
	v_dual_add_nc_u32 v14, 16, v12 :: v_dual_ashrrev_i32 v13, 31, v12
	v_cmp_le_i32_e32 vcc_lo, v16, v12
	v_cmp_gt_i32_e64 s2, s4, v12
	v_lshl_or_b32 v1, v2, 8, v3
	v_cmp_le_i32_e64 s3, v16, v14
	v_cmp_gt_i32_e64 s4, s4, v14
	v_cmp_le_i32_e64 s5, v18, v14
	s_and_b32 s28, vcc_lo, s2
	v_cmp_le_i32_e32 vcc_lo, v18, v12
	v_add_nc_u32_e32 v3, 0x800, v5
	v_ashrrev_i32_e32 v5, 31, v4
	v_lshl_add_u32 v37, v20, 6, 0x800
	v_dual_ashrrev_i32 v15, 31, v14 :: v_dual_mov_b32 v17, 0
	s_and_b32 s29, s3, s4
	s_and_b32 s35, vcc_lo, s2
	s_and_b32 s36, s5, s4
	s_and_b32 s37, s37, s14
	s_lshl_b64 s[2:3], s[22:23], 3
	s_lshl_b64 s[4:5], s[16:17], 3
	s_lshl_b64 s[14:15], s[30:31], 3
	s_branch .LBB502_6
.LBB502_5:                              ;   in Loop: Header=BB502_6 Depth=1
	s_wait_xcnt 0x0
	s_or_b32 exec_lo, exec_lo, s16
	s_add_co_i32 s6, s6, 0x10000
	s_delay_alu instid0(SALU_CYCLE_1)
	s_cmp_lt_u32 s6, s33
	s_cbranch_scc0 .LBB502_35
.LBB502_6:                              ; =>This Loop Header: Depth=1
                                        ;     Child Loop BB502_9 Depth 2
	v_mov_b32_e32 v16, s6
	v_mov_b64_e32 v[26:27], 0
	v_mov_b64_e32 v[22:23], 0
	;; [unrolled: 1-line block ×4, first 2 shown]
	global_load_b64 v[24:25], v16, s[26:27] scale_offset
	s_and_not1_b32 vcc_lo, exec_lo, s37
	s_cbranch_vccnz .LBB502_15
; %bb.7:                                ;   in Loop: Header=BB502_6 Depth=1
	s_lshl_b64 s[16:17], s[6:7], 3
	v_mov_b64_e32 v[22:23], 0
	s_add_nc_u64 s[22:23], s[12:13], s[16:17]
	s_add_nc_u64 s[16:17], s[18:19], s[16:17]
	s_clause 0x1
	global_load_b64 v[18:19], v17, s[22:23]
	global_load_b64 v[20:21], v17, s[16:17]
	v_mov_b64_e32 v[26:27], 0
	s_wait_xcnt 0x0
	s_mov_b64 s[16:17], 0
	s_wait_loadcnt 0x1
	v_add_nc_u64_e32 v[28:29], s[4:5], v[18:19]
	s_wait_loadcnt 0x0
	v_add_nc_u64_e32 v[30:31], s[2:3], v[20:21]
	v_mov_b64_e32 v[18:19], 0
	v_mov_b64_e32 v[20:21], 0
	s_delay_alu instid0(VALU_DEP_4) | instskip(NEXT) | instid1(VALU_DEP_4)
	v_lshl_add_u64 v[28:29], v[6:7], 3, v[28:29]
	v_lshl_add_u64 v[30:31], v[4:5], 3, v[30:31]
	s_branch .LBB502_9
.LBB502_8:                              ;   in Loop: Header=BB502_9 Depth=2
	s_wait_xcnt 0x0
	s_or_b32 exec_lo, exec_lo, s22
	s_wait_loadcnt_dscnt 0x0
	ds_store_b64 v3, v[34:35]
	s_wait_dscnt 0x0
	s_barrier_signal -1
	s_barrier_wait -1
	ds_load_b128 v[32:35], v37
	ds_load_2addr_b64 v[38:41], v36 offset1:16
	ds_load_b128 v[42:45], v37 offset:1024
	ds_load_b128 v[46:49], v37 offset:16
	;; [unrolled: 1-line block ×3, first 2 shown]
	s_add_nc_u64 s[16:17], s[16:17], 8
	s_delay_alu instid0(SALU_CYCLE_1)
	v_cmp_gt_i64_e64 s22, s[8:9], s[16:17]
	s_and_b32 vcc_lo, exec_lo, s22
	s_wait_dscnt 0x3
	v_fmac_f64_e32 v[26:27], v[38:39], v[32:33]
	v_fmac_f64_e32 v[22:23], v[40:41], v[32:33]
	s_wait_dscnt 0x2
	v_fmac_f64_e32 v[20:21], v[38:39], v[42:43]
	v_fmac_f64_e32 v[18:19], v[40:41], v[42:43]
	ds_load_2addr_b64 v[38:41], v36 offset0:32 offset1:48
	s_wait_dscnt 0x0
	v_fmac_f64_e32 v[26:27], v[38:39], v[34:35]
	v_fmac_f64_e32 v[22:23], v[40:41], v[34:35]
	v_fmac_f64_e32 v[20:21], v[38:39], v[44:45]
	v_fmac_f64_e32 v[18:19], v[40:41], v[44:45]
	ds_load_2addr_b64 v[32:35], v36 offset0:64 offset1:80
	s_wait_dscnt 0x0
	v_fmac_f64_e32 v[26:27], v[32:33], v[46:47]
	v_fmac_f64_e32 v[22:23], v[34:35], v[46:47]
	;; [unrolled: 6-line block ×3, first 2 shown]
	v_fmac_f64_e32 v[20:21], v[32:33], v[52:53]
	v_fmac_f64_e32 v[18:19], v[34:35], v[52:53]
	ds_load_b128 v[32:35], v37 offset:32
	ds_load_2addr_b64 v[38:41], v36 offset0:128 offset1:144
	ds_load_b128 v[42:45], v37 offset:1056
	ds_load_b128 v[46:49], v37 offset:48
	;; [unrolled: 1-line block ×3, first 2 shown]
	s_wait_dscnt 0x3
	v_fmac_f64_e32 v[26:27], v[38:39], v[32:33]
	v_fmac_f64_e32 v[22:23], v[40:41], v[32:33]
	s_wait_dscnt 0x2
	v_fmac_f64_e32 v[20:21], v[38:39], v[42:43]
	v_fmac_f64_e32 v[18:19], v[40:41], v[42:43]
	ds_load_2addr_b64 v[38:41], v36 offset0:160 offset1:176
	s_wait_dscnt 0x0
	v_fmac_f64_e32 v[26:27], v[38:39], v[34:35]
	v_fmac_f64_e32 v[22:23], v[40:41], v[34:35]
	;; [unrolled: 1-line block ×4, first 2 shown]
	ds_load_2addr_b64 v[32:35], v36 offset0:192 offset1:208
	s_wait_dscnt 0x0
	v_fmac_f64_e32 v[26:27], v[32:33], v[46:47]
	v_fmac_f64_e32 v[22:23], v[34:35], v[46:47]
	;; [unrolled: 1-line block ×4, first 2 shown]
	ds_load_2addr_b64 v[32:35], v36 offset0:224 offset1:240
	s_wait_dscnt 0x0
	s_barrier_signal -1
	s_barrier_wait -1
	v_fmac_f64_e32 v[26:27], v[32:33], v[48:49]
	v_fmac_f64_e32 v[22:23], v[34:35], v[48:49]
	;; [unrolled: 1-line block ×4, first 2 shown]
	s_cbranch_vccz .LBB502_15
.LBB502_9:                              ;   Parent Loop BB502_6 Depth=1
                                        ; =>  This Inner Loop Header: Depth=2
	v_mov_b64_e32 v[32:33], 0
	s_and_saveexec_b32 s22, s0
	s_cbranch_execz .LBB502_13
; %bb.10:                               ;   in Loop: Header=BB502_9 Depth=2
	v_mov_b64_e32 v[32:33], 0
	v_add_nc_u32_e32 v16, s16, v2
	s_mov_b32 s23, exec_lo
	s_delay_alu instid0(VALU_DEP_1)
	v_cmpx_gt_u64_e64 s[8:9], v[16:17]
	s_cbranch_execz .LBB502_12
; %bb.11:                               ;   in Loop: Header=BB502_9 Depth=2
	v_lshl_add_u64 v[32:33], v[16:17], 3, v[28:29]
	flat_load_b64 v[32:33], v[32:33]
.LBB502_12:                             ;   in Loop: Header=BB502_9 Depth=2
	s_wait_xcnt 0x0
	s_or_b32 exec_lo, exec_lo, s23
.LBB502_13:                             ;   in Loop: Header=BB502_9 Depth=2
	s_delay_alu instid0(SALU_CYCLE_1)
	s_or_b32 exec_lo, exec_lo, s22
	v_add_nc_u32_e32 v16, s16, v0
	v_mov_b64_e32 v[34:35], 0
	s_wait_loadcnt_dscnt 0x0
	ds_store_b64 v1, v[32:33]
	v_cmp_gt_u64_e32 vcc_lo, s[8:9], v[16:17]
	s_and_b32 s23, vcc_lo, s1
	s_delay_alu instid0(SALU_CYCLE_1)
	s_and_saveexec_b32 s22, s23
	s_cbranch_execz .LBB502_8
; %bb.14:                               ;   in Loop: Header=BB502_9 Depth=2
	v_mul_u64_e32 v[32:33], s[20:21], v[16:17]
	s_delay_alu instid0(VALU_DEP_1)
	v_lshl_add_u64 v[32:33], v[32:33], 3, v[30:31]
	flat_load_b64 v[34:35], v[32:33]
	s_branch .LBB502_8
.LBB502_15:                             ;   in Loop: Header=BB502_6 Depth=1
	s_wait_loadcnt 0x0
	v_add_nc_u64_e32 v[24:25], s[14:15], v[24:25]
	s_delay_alu instid0(VALU_DEP_1)
	v_lshl_add_u64 v[28:29], v[8:9], 3, v[24:25]
	s_wait_xcnt 0x0
	s_and_saveexec_b32 s16, s28
	s_cbranch_execz .LBB502_19
; %bb.16:                               ;   in Loop: Header=BB502_6 Depth=1
	v_mul_f64_e32 v[26:27], s[10:11], v[26:27]
	v_lshl_add_u64 v[30:31], v[12:13], 3, v[28:29]
	s_and_b32 vcc_lo, exec_lo, s34
	s_cbranch_vccz .LBB502_30
; %bb.17:                               ;   in Loop: Header=BB502_6 Depth=1
	flat_load_b64 v[32:33], v[30:31]
	s_wait_loadcnt_dscnt 0x0
	v_fma_f64 v[32:33], s[24:25], v[32:33], v[26:27]
	flat_store_b64 v[30:31], v[32:33]
	s_cbranch_execnz .LBB502_19
.LBB502_18:                             ;   in Loop: Header=BB502_6 Depth=1
	flat_store_b64 v[30:31], v[26:27]
.LBB502_19:                             ;   in Loop: Header=BB502_6 Depth=1
	s_wait_xcnt 0x0
	s_or_b32 exec_lo, exec_lo, s16
	s_and_saveexec_b32 s16, s29
	s_cbranch_execz .LBB502_23
; %bb.20:                               ;   in Loop: Header=BB502_6 Depth=1
	v_mul_f64_e32 v[22:23], s[10:11], v[22:23]
	v_lshl_add_u64 v[26:27], v[14:15], 3, v[28:29]
	s_and_not1_b32 vcc_lo, exec_lo, s34
	s_cbranch_vccnz .LBB502_31
; %bb.21:                               ;   in Loop: Header=BB502_6 Depth=1
	flat_load_b64 v[28:29], v[26:27]
	s_wait_loadcnt_dscnt 0x0
	v_fma_f64 v[28:29], s[24:25], v[28:29], v[22:23]
	flat_store_b64 v[26:27], v[28:29]
	s_cbranch_execnz .LBB502_23
.LBB502_22:                             ;   in Loop: Header=BB502_6 Depth=1
	flat_store_b64 v[26:27], v[22:23]
.LBB502_23:                             ;   in Loop: Header=BB502_6 Depth=1
	s_wait_xcnt 0x0
	s_or_b32 exec_lo, exec_lo, s16
	v_lshl_add_u64 v[22:23], v[10:11], 3, v[24:25]
	s_and_saveexec_b32 s16, s35
	s_cbranch_execz .LBB502_27
; %bb.24:                               ;   in Loop: Header=BB502_6 Depth=1
	v_mul_f64_e32 v[20:21], s[10:11], v[20:21]
	s_delay_alu instid0(VALU_DEP_2)
	v_lshl_add_u64 v[24:25], v[12:13], 3, v[22:23]
	s_and_not1_b32 vcc_lo, exec_lo, s34
	s_cbranch_vccnz .LBB502_32
; %bb.25:                               ;   in Loop: Header=BB502_6 Depth=1
	flat_load_b64 v[26:27], v[24:25]
	s_wait_loadcnt_dscnt 0x0
	v_fma_f64 v[26:27], s[24:25], v[26:27], v[20:21]
	flat_store_b64 v[24:25], v[26:27]
	s_cbranch_execnz .LBB502_27
.LBB502_26:                             ;   in Loop: Header=BB502_6 Depth=1
	flat_store_b64 v[24:25], v[20:21]
.LBB502_27:                             ;   in Loop: Header=BB502_6 Depth=1
	s_wait_xcnt 0x0
	s_or_b32 exec_lo, exec_lo, s16
	s_and_saveexec_b32 s16, s36
	s_cbranch_execz .LBB502_5
; %bb.28:                               ;   in Loop: Header=BB502_6 Depth=1
	s_delay_alu instid0(VALU_DEP_4)
	v_mul_f64_e32 v[18:19], s[10:11], v[18:19]
	v_lshl_add_u64 v[20:21], v[14:15], 3, v[22:23]
	s_and_not1_b32 vcc_lo, exec_lo, s34
	s_cbranch_vccnz .LBB502_33
; %bb.29:                               ;   in Loop: Header=BB502_6 Depth=1
	flat_load_b64 v[22:23], v[20:21]
	s_wait_loadcnt_dscnt 0x0
	v_fma_f64 v[22:23], s[24:25], v[22:23], v[18:19]
	flat_store_b64 v[20:21], v[22:23]
	s_cbranch_execnz .LBB502_5
	s_branch .LBB502_34
.LBB502_30:                             ;   in Loop: Header=BB502_6 Depth=1
	s_branch .LBB502_18
.LBB502_31:                             ;   in Loop: Header=BB502_6 Depth=1
	s_branch .LBB502_22
.LBB502_32:                             ;   in Loop: Header=BB502_6 Depth=1
	s_branch .LBB502_26
.LBB502_33:                             ;   in Loop: Header=BB502_6 Depth=1
.LBB502_34:                             ;   in Loop: Header=BB502_6 Depth=1
	flat_store_b64 v[20:21], v[18:19]
	s_branch .LBB502_5
.LBB502_35:
	s_endpgm
	.section	.rodata,"a",@progbits
	.p2align	6, 0x0
	.amdhsa_kernel _ZL29rocblas_internal_gemmt_kernelIlLi16ELi32ELi8ELc67ELc84ELc76ELb0ELb0EddPKPKdPKPdEviT_T9_T10_S7_lS9_S7_lS8_T11_S7_li
		.amdhsa_group_segment_fixed_size 4096
		.amdhsa_private_segment_fixed_size 0
		.amdhsa_kernarg_size 108
		.amdhsa_user_sgpr_count 2
		.amdhsa_user_sgpr_dispatch_ptr 0
		.amdhsa_user_sgpr_queue_ptr 0
		.amdhsa_user_sgpr_kernarg_segment_ptr 1
		.amdhsa_user_sgpr_dispatch_id 0
		.amdhsa_user_sgpr_kernarg_preload_length 0
		.amdhsa_user_sgpr_kernarg_preload_offset 0
		.amdhsa_user_sgpr_private_segment_size 0
		.amdhsa_wavefront_size32 1
		.amdhsa_uses_dynamic_stack 0
		.amdhsa_enable_private_segment 0
		.amdhsa_system_sgpr_workgroup_id_x 1
		.amdhsa_system_sgpr_workgroup_id_y 1
		.amdhsa_system_sgpr_workgroup_id_z 1
		.amdhsa_system_sgpr_workgroup_info 0
		.amdhsa_system_vgpr_workitem_id 1
		.amdhsa_next_free_vgpr 54
		.amdhsa_next_free_sgpr 38
		.amdhsa_named_barrier_count 0
		.amdhsa_reserve_vcc 1
		.amdhsa_float_round_mode_32 0
		.amdhsa_float_round_mode_16_64 0
		.amdhsa_float_denorm_mode_32 3
		.amdhsa_float_denorm_mode_16_64 3
		.amdhsa_fp16_overflow 0
		.amdhsa_memory_ordered 1
		.amdhsa_forward_progress 1
		.amdhsa_inst_pref_size 13
		.amdhsa_round_robin_scheduling 0
		.amdhsa_exception_fp_ieee_invalid_op 0
		.amdhsa_exception_fp_denorm_src 0
		.amdhsa_exception_fp_ieee_div_zero 0
		.amdhsa_exception_fp_ieee_overflow 0
		.amdhsa_exception_fp_ieee_underflow 0
		.amdhsa_exception_fp_ieee_inexact 0
		.amdhsa_exception_int_div_zero 0
	.end_amdhsa_kernel
	.section	.text._ZL29rocblas_internal_gemmt_kernelIlLi16ELi32ELi8ELc67ELc84ELc76ELb0ELb0EddPKPKdPKPdEviT_T9_T10_S7_lS9_S7_lS8_T11_S7_li,"axG",@progbits,_ZL29rocblas_internal_gemmt_kernelIlLi16ELi32ELi8ELc67ELc84ELc76ELb0ELb0EddPKPKdPKPdEviT_T9_T10_S7_lS9_S7_lS8_T11_S7_li,comdat
.Lfunc_end502:
	.size	_ZL29rocblas_internal_gemmt_kernelIlLi16ELi32ELi8ELc67ELc84ELc76ELb0ELb0EddPKPKdPKPdEviT_T9_T10_S7_lS9_S7_lS8_T11_S7_li, .Lfunc_end502-_ZL29rocblas_internal_gemmt_kernelIlLi16ELi32ELi8ELc67ELc84ELc76ELb0ELb0EddPKPKdPKPdEviT_T9_T10_S7_lS9_S7_lS8_T11_S7_li
                                        ; -- End function
	.set _ZL29rocblas_internal_gemmt_kernelIlLi16ELi32ELi8ELc67ELc84ELc76ELb0ELb0EddPKPKdPKPdEviT_T9_T10_S7_lS9_S7_lS8_T11_S7_li.num_vgpr, 54
	.set _ZL29rocblas_internal_gemmt_kernelIlLi16ELi32ELi8ELc67ELc84ELc76ELb0ELb0EddPKPKdPKPdEviT_T9_T10_S7_lS9_S7_lS8_T11_S7_li.num_agpr, 0
	.set _ZL29rocblas_internal_gemmt_kernelIlLi16ELi32ELi8ELc67ELc84ELc76ELb0ELb0EddPKPKdPKPdEviT_T9_T10_S7_lS9_S7_lS8_T11_S7_li.numbered_sgpr, 38
	.set _ZL29rocblas_internal_gemmt_kernelIlLi16ELi32ELi8ELc67ELc84ELc76ELb0ELb0EddPKPKdPKPdEviT_T9_T10_S7_lS9_S7_lS8_T11_S7_li.num_named_barrier, 0
	.set _ZL29rocblas_internal_gemmt_kernelIlLi16ELi32ELi8ELc67ELc84ELc76ELb0ELb0EddPKPKdPKPdEviT_T9_T10_S7_lS9_S7_lS8_T11_S7_li.private_seg_size, 0
	.set _ZL29rocblas_internal_gemmt_kernelIlLi16ELi32ELi8ELc67ELc84ELc76ELb0ELb0EddPKPKdPKPdEviT_T9_T10_S7_lS9_S7_lS8_T11_S7_li.uses_vcc, 1
	.set _ZL29rocblas_internal_gemmt_kernelIlLi16ELi32ELi8ELc67ELc84ELc76ELb0ELb0EddPKPKdPKPdEviT_T9_T10_S7_lS9_S7_lS8_T11_S7_li.uses_flat_scratch, 0
	.set _ZL29rocblas_internal_gemmt_kernelIlLi16ELi32ELi8ELc67ELc84ELc76ELb0ELb0EddPKPKdPKPdEviT_T9_T10_S7_lS9_S7_lS8_T11_S7_li.has_dyn_sized_stack, 0
	.set _ZL29rocblas_internal_gemmt_kernelIlLi16ELi32ELi8ELc67ELc84ELc76ELb0ELb0EddPKPKdPKPdEviT_T9_T10_S7_lS9_S7_lS8_T11_S7_li.has_recursion, 0
	.set _ZL29rocblas_internal_gemmt_kernelIlLi16ELi32ELi8ELc67ELc84ELc76ELb0ELb0EddPKPKdPKPdEviT_T9_T10_S7_lS9_S7_lS8_T11_S7_li.has_indirect_call, 0
	.section	.AMDGPU.csdata,"",@progbits
; Kernel info:
; codeLenInByte = 1648
; TotalNumSgprs: 40
; NumVgprs: 54
; ScratchSize: 0
; MemoryBound: 0
; FloatMode: 240
; IeeeMode: 1
; LDSByteSize: 4096 bytes/workgroup (compile time only)
; SGPRBlocks: 0
; VGPRBlocks: 3
; NumSGPRsForWavesPerEU: 40
; NumVGPRsForWavesPerEU: 54
; NamedBarCnt: 0
; Occupancy: 16
; WaveLimiterHint : 1
; COMPUTE_PGM_RSRC2:SCRATCH_EN: 0
; COMPUTE_PGM_RSRC2:USER_SGPR: 2
; COMPUTE_PGM_RSRC2:TRAP_HANDLER: 0
; COMPUTE_PGM_RSRC2:TGID_X_EN: 1
; COMPUTE_PGM_RSRC2:TGID_Y_EN: 1
; COMPUTE_PGM_RSRC2:TGID_Z_EN: 1
; COMPUTE_PGM_RSRC2:TIDIG_COMP_CNT: 1
	.section	.text._ZL29rocblas_internal_gemmt_kernelIlLi16ELi32ELi8ELc67ELc67ELc76ELb0ELb0EddPKPKdPKPdEviT_T9_T10_S7_lS9_S7_lS8_T11_S7_li,"axG",@progbits,_ZL29rocblas_internal_gemmt_kernelIlLi16ELi32ELi8ELc67ELc67ELc76ELb0ELb0EddPKPKdPKPdEviT_T9_T10_S7_lS9_S7_lS8_T11_S7_li,comdat
	.globl	_ZL29rocblas_internal_gemmt_kernelIlLi16ELi32ELi8ELc67ELc67ELc76ELb0ELb0EddPKPKdPKPdEviT_T9_T10_S7_lS9_S7_lS8_T11_S7_li ; -- Begin function _ZL29rocblas_internal_gemmt_kernelIlLi16ELi32ELi8ELc67ELc67ELc76ELb0ELb0EddPKPKdPKPdEviT_T9_T10_S7_lS9_S7_lS8_T11_S7_li
	.p2align	8
	.type	_ZL29rocblas_internal_gemmt_kernelIlLi16ELi32ELi8ELc67ELc67ELc76ELb0ELb0EddPKPKdPKPdEviT_T9_T10_S7_lS9_S7_lS8_T11_S7_li,@function
_ZL29rocblas_internal_gemmt_kernelIlLi16ELi32ELi8ELc67ELc67ELc76ELb0ELb0EddPKPKdPKPdEviT_T9_T10_S7_lS9_S7_lS8_T11_S7_li: ; @_ZL29rocblas_internal_gemmt_kernelIlLi16ELi32ELi8ELc67ELc67ELc76ELb0ELb0EddPKPKdPKPdEviT_T9_T10_S7_lS9_S7_lS8_T11_S7_li
; %bb.0:
	s_clause 0x1
	s_load_b256 s[24:31], s[0:1], 0x48
	s_load_b512 s[8:23], s[0:1], 0x8
	s_wait_kmcnt 0x0
	v_cmp_neq_f64_e64 s2, s[24:25], 1.0
	s_and_b32 vcc_lo, exec_lo, s2
	s_cbranch_vccnz .LBB503_2
; %bb.1:
	v_cmp_neq_f64_e64 s2, s[10:11], 0
	s_cmp_lg_u64 s[8:9], 0
	s_cselect_b32 s3, -1, 0
	s_delay_alu instid0(SALU_CYCLE_1)
	s_and_b32 s2, s3, s2
.LBB503_2:
	s_delay_alu instid0(SALU_CYCLE_1)
	s_and_not1_b32 vcc_lo, exec_lo, s2
	s_cbranch_vccnz .LBB503_35
; %bb.3:
	s_load_b32 s33, s[0:1], 0x68
	s_bfe_u32 s2, ttmp6, 0x40014
	s_lshr_b32 s3, ttmp7, 16
	s_add_co_i32 s2, s2, 1
	s_bfe_u32 s5, ttmp6, 0x40008
	s_mul_i32 s4, s3, s2
	s_getreg_b32 s2, hwreg(HW_REG_IB_STS2, 6, 4)
	s_add_co_i32 s5, s5, s4
	s_cmp_eq_u32 s2, 0
	s_mov_b32 s7, 0
	s_cselect_b32 s6, s3, s5
	s_wait_kmcnt 0x0
	s_cmp_ge_u32 s6, s33
	s_cbranch_scc1 .LBB503_35
; %bb.4:
	s_load_b32 s4, s[0:1], 0x0
	s_wait_xcnt 0x0
	s_bfe_u32 s1, ttmp6, 0x4000c
	s_bfe_u32 s3, ttmp6, 0x40010
	s_add_co_i32 s1, s1, 1
	s_and_b32 s5, ttmp7, 0xffff
	s_add_co_i32 s3, s3, 1
	v_and_b32_e32 v15, 0x3ff, v0
	v_bfe_u32 v20, v0, 10, 10
	s_and_b32 s0, ttmp6, 15
	s_mul_i32 s1, ttmp9, s1
	s_mul_i32 s3, s5, s3
	s_bfe_u32 s34, ttmp6, 0x40004
	s_add_co_i32 s0, s0, s1
	s_add_co_i32 s34, s34, s3
	s_cmp_eq_u32 s2, 0
	v_lshl_add_u32 v1, v20, 4, v15
	s_cselect_b32 s1, s5, s34
	s_cselect_b32 s0, ttmp9, s0
	s_lshl_b32 s1, s1, 5
	s_lshl_b32 s2, s0, 5
	v_dual_add_nc_u32 v16, s1, v20 :: v_dual_bitop2_b32 v3, 31, v1 bitop3:0x40
	v_lshrrev_b32_e32 v5, 3, v1
	v_cmp_neq_f64_e64 s37, s[10:11], 0
	v_cmp_neq_f64_e64 s34, s[24:25], 0
	s_delay_alu instid0(VALU_DEP_4) | instskip(NEXT) | instid1(VALU_DEP_4)
	v_dual_add_nc_u32 v18, 16, v16 :: v_dual_bitop2_b32 v12, s2, v3 bitop3:0x54
	v_dual_add_nc_u32 v4, s1, v5 :: v_dual_ashrrev_i32 v17, 31, v16
	s_delay_alu instid0(VALU_DEP_2) | instskip(NEXT) | instid1(VALU_DEP_3)
	v_dual_lshlrev_b32 v3, 3, v3 :: v_dual_ashrrev_i32 v13, 31, v12
	v_dual_ashrrev_i32 v19, 31, v18 :: v_dual_lshrrev_b32 v2, 5, v1
	v_and_b32_e32 v0, 7, v0
	s_delay_alu instid0(VALU_DEP_4) | instskip(NEXT) | instid1(VALU_DEP_4)
	v_mul_u64_e32 v[8:9], s[28:29], v[16:17]
	v_mul_u64_e32 v[6:7], s[14:15], v[12:13]
	s_delay_alu instid0(VALU_DEP_4)
	v_mul_u64_e32 v[10:11], s[28:29], v[18:19]
	s_wait_kmcnt 0x0
	v_cmp_gt_i32_e64 s0, s4, v12
	v_dual_lshlrev_b32 v1, 3, v0 :: v_dual_add_nc_u32 v12, s2, v15
	v_cmp_gt_i64_e64 s14, s[8:9], 0
	v_cmp_gt_i32_e64 s1, s4, v4
	v_lshlrev_b32_e32 v36, 3, v15
	s_delay_alu instid0(VALU_DEP_4) | instskip(SKIP_4) | instid1(VALU_DEP_4)
	v_lshl_or_b32 v5, v5, 6, v1
	v_dual_add_nc_u32 v14, 16, v12 :: v_dual_ashrrev_i32 v13, 31, v12
	v_cmp_le_i32_e32 vcc_lo, v16, v12
	v_cmp_gt_i32_e64 s2, s4, v12
	v_lshl_or_b32 v1, v2, 8, v3
	v_cmp_le_i32_e64 s3, v16, v14
	v_cmp_gt_i32_e64 s4, s4, v14
	v_cmp_le_i32_e64 s5, v18, v14
	s_and_b32 s28, vcc_lo, s2
	v_cmp_le_i32_e32 vcc_lo, v18, v12
	v_add_nc_u32_e32 v3, 0x800, v5
	v_ashrrev_i32_e32 v5, 31, v4
	v_lshl_add_u32 v37, v20, 6, 0x800
	v_dual_ashrrev_i32 v15, 31, v14 :: v_dual_mov_b32 v17, 0
	s_and_b32 s29, s3, s4
	s_and_b32 s35, vcc_lo, s2
	s_and_b32 s36, s5, s4
	s_and_b32 s37, s37, s14
	s_lshl_b64 s[2:3], s[22:23], 3
	s_lshl_b64 s[4:5], s[16:17], 3
	;; [unrolled: 1-line block ×3, first 2 shown]
	s_branch .LBB503_6
.LBB503_5:                              ;   in Loop: Header=BB503_6 Depth=1
	s_wait_xcnt 0x0
	s_or_b32 exec_lo, exec_lo, s16
	s_add_co_i32 s6, s6, 0x10000
	s_delay_alu instid0(SALU_CYCLE_1)
	s_cmp_lt_u32 s6, s33
	s_cbranch_scc0 .LBB503_35
.LBB503_6:                              ; =>This Loop Header: Depth=1
                                        ;     Child Loop BB503_9 Depth 2
	v_mov_b32_e32 v16, s6
	v_mov_b64_e32 v[26:27], 0
	v_mov_b64_e32 v[22:23], 0
	;; [unrolled: 1-line block ×4, first 2 shown]
	global_load_b64 v[24:25], v16, s[26:27] scale_offset
	s_and_not1_b32 vcc_lo, exec_lo, s37
	s_cbranch_vccnz .LBB503_15
; %bb.7:                                ;   in Loop: Header=BB503_6 Depth=1
	s_lshl_b64 s[16:17], s[6:7], 3
	v_mov_b64_e32 v[22:23], 0
	s_add_nc_u64 s[22:23], s[12:13], s[16:17]
	s_add_nc_u64 s[16:17], s[18:19], s[16:17]
	s_clause 0x1
	global_load_b64 v[18:19], v17, s[22:23]
	global_load_b64 v[20:21], v17, s[16:17]
	v_mov_b64_e32 v[26:27], 0
	s_wait_xcnt 0x0
	s_mov_b64 s[16:17], 0
	s_wait_loadcnt 0x1
	v_add_nc_u64_e32 v[28:29], s[4:5], v[18:19]
	s_wait_loadcnt 0x0
	v_add_nc_u64_e32 v[30:31], s[2:3], v[20:21]
	v_mov_b64_e32 v[18:19], 0
	v_mov_b64_e32 v[20:21], 0
	s_delay_alu instid0(VALU_DEP_4) | instskip(NEXT) | instid1(VALU_DEP_4)
	v_lshl_add_u64 v[28:29], v[6:7], 3, v[28:29]
	v_lshl_add_u64 v[30:31], v[4:5], 3, v[30:31]
	s_branch .LBB503_9
.LBB503_8:                              ;   in Loop: Header=BB503_9 Depth=2
	s_wait_xcnt 0x0
	s_or_b32 exec_lo, exec_lo, s22
	s_wait_loadcnt_dscnt 0x0
	ds_store_b64 v3, v[34:35]
	s_wait_dscnt 0x0
	s_barrier_signal -1
	s_barrier_wait -1
	ds_load_b128 v[32:35], v37
	ds_load_2addr_b64 v[38:41], v36 offset1:16
	ds_load_b128 v[42:45], v37 offset:1024
	ds_load_b128 v[46:49], v37 offset:16
	;; [unrolled: 1-line block ×3, first 2 shown]
	s_add_nc_u64 s[16:17], s[16:17], 8
	s_delay_alu instid0(SALU_CYCLE_1)
	v_cmp_gt_i64_e64 s22, s[8:9], s[16:17]
	s_and_b32 vcc_lo, exec_lo, s22
	s_wait_dscnt 0x3
	v_fmac_f64_e32 v[26:27], v[38:39], v[32:33]
	v_fmac_f64_e32 v[22:23], v[40:41], v[32:33]
	s_wait_dscnt 0x2
	v_fmac_f64_e32 v[20:21], v[38:39], v[42:43]
	v_fmac_f64_e32 v[18:19], v[40:41], v[42:43]
	ds_load_2addr_b64 v[38:41], v36 offset0:32 offset1:48
	s_wait_dscnt 0x0
	v_fmac_f64_e32 v[26:27], v[38:39], v[34:35]
	v_fmac_f64_e32 v[22:23], v[40:41], v[34:35]
	v_fmac_f64_e32 v[20:21], v[38:39], v[44:45]
	v_fmac_f64_e32 v[18:19], v[40:41], v[44:45]
	ds_load_2addr_b64 v[32:35], v36 offset0:64 offset1:80
	s_wait_dscnt 0x0
	v_fmac_f64_e32 v[26:27], v[32:33], v[46:47]
	v_fmac_f64_e32 v[22:23], v[34:35], v[46:47]
	;; [unrolled: 6-line block ×3, first 2 shown]
	v_fmac_f64_e32 v[20:21], v[32:33], v[52:53]
	v_fmac_f64_e32 v[18:19], v[34:35], v[52:53]
	ds_load_b128 v[32:35], v37 offset:32
	ds_load_2addr_b64 v[38:41], v36 offset0:128 offset1:144
	ds_load_b128 v[42:45], v37 offset:1056
	ds_load_b128 v[46:49], v37 offset:48
	ds_load_b128 v[50:53], v37 offset:1072
	s_wait_dscnt 0x3
	v_fmac_f64_e32 v[26:27], v[38:39], v[32:33]
	v_fmac_f64_e32 v[22:23], v[40:41], v[32:33]
	s_wait_dscnt 0x2
	v_fmac_f64_e32 v[20:21], v[38:39], v[42:43]
	v_fmac_f64_e32 v[18:19], v[40:41], v[42:43]
	ds_load_2addr_b64 v[38:41], v36 offset0:160 offset1:176
	s_wait_dscnt 0x0
	v_fmac_f64_e32 v[26:27], v[38:39], v[34:35]
	v_fmac_f64_e32 v[22:23], v[40:41], v[34:35]
	;; [unrolled: 1-line block ×4, first 2 shown]
	ds_load_2addr_b64 v[32:35], v36 offset0:192 offset1:208
	s_wait_dscnt 0x0
	v_fmac_f64_e32 v[26:27], v[32:33], v[46:47]
	v_fmac_f64_e32 v[22:23], v[34:35], v[46:47]
	v_fmac_f64_e32 v[20:21], v[32:33], v[50:51]
	v_fmac_f64_e32 v[18:19], v[34:35], v[50:51]
	ds_load_2addr_b64 v[32:35], v36 offset0:224 offset1:240
	s_wait_dscnt 0x0
	s_barrier_signal -1
	s_barrier_wait -1
	v_fmac_f64_e32 v[26:27], v[32:33], v[48:49]
	v_fmac_f64_e32 v[22:23], v[34:35], v[48:49]
	;; [unrolled: 1-line block ×4, first 2 shown]
	s_cbranch_vccz .LBB503_15
.LBB503_9:                              ;   Parent Loop BB503_6 Depth=1
                                        ; =>  This Inner Loop Header: Depth=2
	v_mov_b64_e32 v[32:33], 0
	s_and_saveexec_b32 s22, s0
	s_cbranch_execz .LBB503_13
; %bb.10:                               ;   in Loop: Header=BB503_9 Depth=2
	v_mov_b64_e32 v[32:33], 0
	v_add_nc_u32_e32 v16, s16, v2
	s_mov_b32 s23, exec_lo
	s_delay_alu instid0(VALU_DEP_1)
	v_cmpx_gt_u64_e64 s[8:9], v[16:17]
	s_cbranch_execz .LBB503_12
; %bb.11:                               ;   in Loop: Header=BB503_9 Depth=2
	v_lshl_add_u64 v[32:33], v[16:17], 3, v[28:29]
	flat_load_b64 v[32:33], v[32:33]
.LBB503_12:                             ;   in Loop: Header=BB503_9 Depth=2
	s_wait_xcnt 0x0
	s_or_b32 exec_lo, exec_lo, s23
.LBB503_13:                             ;   in Loop: Header=BB503_9 Depth=2
	s_delay_alu instid0(SALU_CYCLE_1)
	s_or_b32 exec_lo, exec_lo, s22
	v_add_nc_u32_e32 v16, s16, v0
	v_mov_b64_e32 v[34:35], 0
	s_wait_loadcnt_dscnt 0x0
	ds_store_b64 v1, v[32:33]
	v_cmp_gt_u64_e32 vcc_lo, s[8:9], v[16:17]
	s_and_b32 s23, vcc_lo, s1
	s_delay_alu instid0(SALU_CYCLE_1)
	s_and_saveexec_b32 s22, s23
	s_cbranch_execz .LBB503_8
; %bb.14:                               ;   in Loop: Header=BB503_9 Depth=2
	v_mul_u64_e32 v[32:33], s[20:21], v[16:17]
	s_delay_alu instid0(VALU_DEP_1)
	v_lshl_add_u64 v[32:33], v[32:33], 3, v[30:31]
	flat_load_b64 v[34:35], v[32:33]
	s_branch .LBB503_8
.LBB503_15:                             ;   in Loop: Header=BB503_6 Depth=1
	s_wait_loadcnt 0x0
	v_add_nc_u64_e32 v[24:25], s[14:15], v[24:25]
	s_delay_alu instid0(VALU_DEP_1)
	v_lshl_add_u64 v[28:29], v[8:9], 3, v[24:25]
	s_wait_xcnt 0x0
	s_and_saveexec_b32 s16, s28
	s_cbranch_execz .LBB503_19
; %bb.16:                               ;   in Loop: Header=BB503_6 Depth=1
	v_mul_f64_e32 v[26:27], s[10:11], v[26:27]
	v_lshl_add_u64 v[30:31], v[12:13], 3, v[28:29]
	s_and_b32 vcc_lo, exec_lo, s34
	s_cbranch_vccz .LBB503_30
; %bb.17:                               ;   in Loop: Header=BB503_6 Depth=1
	flat_load_b64 v[32:33], v[30:31]
	s_wait_loadcnt_dscnt 0x0
	v_fma_f64 v[32:33], s[24:25], v[32:33], v[26:27]
	flat_store_b64 v[30:31], v[32:33]
	s_cbranch_execnz .LBB503_19
.LBB503_18:                             ;   in Loop: Header=BB503_6 Depth=1
	flat_store_b64 v[30:31], v[26:27]
.LBB503_19:                             ;   in Loop: Header=BB503_6 Depth=1
	s_wait_xcnt 0x0
	s_or_b32 exec_lo, exec_lo, s16
	s_and_saveexec_b32 s16, s29
	s_cbranch_execz .LBB503_23
; %bb.20:                               ;   in Loop: Header=BB503_6 Depth=1
	v_mul_f64_e32 v[22:23], s[10:11], v[22:23]
	v_lshl_add_u64 v[26:27], v[14:15], 3, v[28:29]
	s_and_not1_b32 vcc_lo, exec_lo, s34
	s_cbranch_vccnz .LBB503_31
; %bb.21:                               ;   in Loop: Header=BB503_6 Depth=1
	flat_load_b64 v[28:29], v[26:27]
	s_wait_loadcnt_dscnt 0x0
	v_fma_f64 v[28:29], s[24:25], v[28:29], v[22:23]
	flat_store_b64 v[26:27], v[28:29]
	s_cbranch_execnz .LBB503_23
.LBB503_22:                             ;   in Loop: Header=BB503_6 Depth=1
	flat_store_b64 v[26:27], v[22:23]
.LBB503_23:                             ;   in Loop: Header=BB503_6 Depth=1
	s_wait_xcnt 0x0
	s_or_b32 exec_lo, exec_lo, s16
	v_lshl_add_u64 v[22:23], v[10:11], 3, v[24:25]
	s_and_saveexec_b32 s16, s35
	s_cbranch_execz .LBB503_27
; %bb.24:                               ;   in Loop: Header=BB503_6 Depth=1
	v_mul_f64_e32 v[20:21], s[10:11], v[20:21]
	s_delay_alu instid0(VALU_DEP_2)
	v_lshl_add_u64 v[24:25], v[12:13], 3, v[22:23]
	s_and_not1_b32 vcc_lo, exec_lo, s34
	s_cbranch_vccnz .LBB503_32
; %bb.25:                               ;   in Loop: Header=BB503_6 Depth=1
	flat_load_b64 v[26:27], v[24:25]
	s_wait_loadcnt_dscnt 0x0
	v_fma_f64 v[26:27], s[24:25], v[26:27], v[20:21]
	flat_store_b64 v[24:25], v[26:27]
	s_cbranch_execnz .LBB503_27
.LBB503_26:                             ;   in Loop: Header=BB503_6 Depth=1
	flat_store_b64 v[24:25], v[20:21]
.LBB503_27:                             ;   in Loop: Header=BB503_6 Depth=1
	s_wait_xcnt 0x0
	s_or_b32 exec_lo, exec_lo, s16
	s_and_saveexec_b32 s16, s36
	s_cbranch_execz .LBB503_5
; %bb.28:                               ;   in Loop: Header=BB503_6 Depth=1
	s_delay_alu instid0(VALU_DEP_4)
	v_mul_f64_e32 v[18:19], s[10:11], v[18:19]
	v_lshl_add_u64 v[20:21], v[14:15], 3, v[22:23]
	s_and_not1_b32 vcc_lo, exec_lo, s34
	s_cbranch_vccnz .LBB503_33
; %bb.29:                               ;   in Loop: Header=BB503_6 Depth=1
	flat_load_b64 v[22:23], v[20:21]
	s_wait_loadcnt_dscnt 0x0
	v_fma_f64 v[22:23], s[24:25], v[22:23], v[18:19]
	flat_store_b64 v[20:21], v[22:23]
	s_cbranch_execnz .LBB503_5
	s_branch .LBB503_34
.LBB503_30:                             ;   in Loop: Header=BB503_6 Depth=1
	s_branch .LBB503_18
.LBB503_31:                             ;   in Loop: Header=BB503_6 Depth=1
	s_branch .LBB503_22
.LBB503_32:                             ;   in Loop: Header=BB503_6 Depth=1
	s_branch .LBB503_26
.LBB503_33:                             ;   in Loop: Header=BB503_6 Depth=1
.LBB503_34:                             ;   in Loop: Header=BB503_6 Depth=1
	flat_store_b64 v[20:21], v[18:19]
	s_branch .LBB503_5
.LBB503_35:
	s_endpgm
	.section	.rodata,"a",@progbits
	.p2align	6, 0x0
	.amdhsa_kernel _ZL29rocblas_internal_gemmt_kernelIlLi16ELi32ELi8ELc67ELc67ELc76ELb0ELb0EddPKPKdPKPdEviT_T9_T10_S7_lS9_S7_lS8_T11_S7_li
		.amdhsa_group_segment_fixed_size 4096
		.amdhsa_private_segment_fixed_size 0
		.amdhsa_kernarg_size 108
		.amdhsa_user_sgpr_count 2
		.amdhsa_user_sgpr_dispatch_ptr 0
		.amdhsa_user_sgpr_queue_ptr 0
		.amdhsa_user_sgpr_kernarg_segment_ptr 1
		.amdhsa_user_sgpr_dispatch_id 0
		.amdhsa_user_sgpr_kernarg_preload_length 0
		.amdhsa_user_sgpr_kernarg_preload_offset 0
		.amdhsa_user_sgpr_private_segment_size 0
		.amdhsa_wavefront_size32 1
		.amdhsa_uses_dynamic_stack 0
		.amdhsa_enable_private_segment 0
		.amdhsa_system_sgpr_workgroup_id_x 1
		.amdhsa_system_sgpr_workgroup_id_y 1
		.amdhsa_system_sgpr_workgroup_id_z 1
		.amdhsa_system_sgpr_workgroup_info 0
		.amdhsa_system_vgpr_workitem_id 1
		.amdhsa_next_free_vgpr 54
		.amdhsa_next_free_sgpr 38
		.amdhsa_named_barrier_count 0
		.amdhsa_reserve_vcc 1
		.amdhsa_float_round_mode_32 0
		.amdhsa_float_round_mode_16_64 0
		.amdhsa_float_denorm_mode_32 3
		.amdhsa_float_denorm_mode_16_64 3
		.amdhsa_fp16_overflow 0
		.amdhsa_memory_ordered 1
		.amdhsa_forward_progress 1
		.amdhsa_inst_pref_size 13
		.amdhsa_round_robin_scheduling 0
		.amdhsa_exception_fp_ieee_invalid_op 0
		.amdhsa_exception_fp_denorm_src 0
		.amdhsa_exception_fp_ieee_div_zero 0
		.amdhsa_exception_fp_ieee_overflow 0
		.amdhsa_exception_fp_ieee_underflow 0
		.amdhsa_exception_fp_ieee_inexact 0
		.amdhsa_exception_int_div_zero 0
	.end_amdhsa_kernel
	.section	.text._ZL29rocblas_internal_gemmt_kernelIlLi16ELi32ELi8ELc67ELc67ELc76ELb0ELb0EddPKPKdPKPdEviT_T9_T10_S7_lS9_S7_lS8_T11_S7_li,"axG",@progbits,_ZL29rocblas_internal_gemmt_kernelIlLi16ELi32ELi8ELc67ELc67ELc76ELb0ELb0EddPKPKdPKPdEviT_T9_T10_S7_lS9_S7_lS8_T11_S7_li,comdat
.Lfunc_end503:
	.size	_ZL29rocblas_internal_gemmt_kernelIlLi16ELi32ELi8ELc67ELc67ELc76ELb0ELb0EddPKPKdPKPdEviT_T9_T10_S7_lS9_S7_lS8_T11_S7_li, .Lfunc_end503-_ZL29rocblas_internal_gemmt_kernelIlLi16ELi32ELi8ELc67ELc67ELc76ELb0ELb0EddPKPKdPKPdEviT_T9_T10_S7_lS9_S7_lS8_T11_S7_li
                                        ; -- End function
	.set _ZL29rocblas_internal_gemmt_kernelIlLi16ELi32ELi8ELc67ELc67ELc76ELb0ELb0EddPKPKdPKPdEviT_T9_T10_S7_lS9_S7_lS8_T11_S7_li.num_vgpr, 54
	.set _ZL29rocblas_internal_gemmt_kernelIlLi16ELi32ELi8ELc67ELc67ELc76ELb0ELb0EddPKPKdPKPdEviT_T9_T10_S7_lS9_S7_lS8_T11_S7_li.num_agpr, 0
	.set _ZL29rocblas_internal_gemmt_kernelIlLi16ELi32ELi8ELc67ELc67ELc76ELb0ELb0EddPKPKdPKPdEviT_T9_T10_S7_lS9_S7_lS8_T11_S7_li.numbered_sgpr, 38
	.set _ZL29rocblas_internal_gemmt_kernelIlLi16ELi32ELi8ELc67ELc67ELc76ELb0ELb0EddPKPKdPKPdEviT_T9_T10_S7_lS9_S7_lS8_T11_S7_li.num_named_barrier, 0
	.set _ZL29rocblas_internal_gemmt_kernelIlLi16ELi32ELi8ELc67ELc67ELc76ELb0ELb0EddPKPKdPKPdEviT_T9_T10_S7_lS9_S7_lS8_T11_S7_li.private_seg_size, 0
	.set _ZL29rocblas_internal_gemmt_kernelIlLi16ELi32ELi8ELc67ELc67ELc76ELb0ELb0EddPKPKdPKPdEviT_T9_T10_S7_lS9_S7_lS8_T11_S7_li.uses_vcc, 1
	.set _ZL29rocblas_internal_gemmt_kernelIlLi16ELi32ELi8ELc67ELc67ELc76ELb0ELb0EddPKPKdPKPdEviT_T9_T10_S7_lS9_S7_lS8_T11_S7_li.uses_flat_scratch, 0
	.set _ZL29rocblas_internal_gemmt_kernelIlLi16ELi32ELi8ELc67ELc67ELc76ELb0ELb0EddPKPKdPKPdEviT_T9_T10_S7_lS9_S7_lS8_T11_S7_li.has_dyn_sized_stack, 0
	.set _ZL29rocblas_internal_gemmt_kernelIlLi16ELi32ELi8ELc67ELc67ELc76ELb0ELb0EddPKPKdPKPdEviT_T9_T10_S7_lS9_S7_lS8_T11_S7_li.has_recursion, 0
	.set _ZL29rocblas_internal_gemmt_kernelIlLi16ELi32ELi8ELc67ELc67ELc76ELb0ELb0EddPKPKdPKPdEviT_T9_T10_S7_lS9_S7_lS8_T11_S7_li.has_indirect_call, 0
	.section	.AMDGPU.csdata,"",@progbits
; Kernel info:
; codeLenInByte = 1648
; TotalNumSgprs: 40
; NumVgprs: 54
; ScratchSize: 0
; MemoryBound: 0
; FloatMode: 240
; IeeeMode: 1
; LDSByteSize: 4096 bytes/workgroup (compile time only)
; SGPRBlocks: 0
; VGPRBlocks: 3
; NumSGPRsForWavesPerEU: 40
; NumVGPRsForWavesPerEU: 54
; NamedBarCnt: 0
; Occupancy: 16
; WaveLimiterHint : 1
; COMPUTE_PGM_RSRC2:SCRATCH_EN: 0
; COMPUTE_PGM_RSRC2:USER_SGPR: 2
; COMPUTE_PGM_RSRC2:TRAP_HANDLER: 0
; COMPUTE_PGM_RSRC2:TGID_X_EN: 1
; COMPUTE_PGM_RSRC2:TGID_Y_EN: 1
; COMPUTE_PGM_RSRC2:TGID_Z_EN: 1
; COMPUTE_PGM_RSRC2:TIDIG_COMP_CNT: 1
	.section	.text._ZL29rocblas_internal_gemmt_kernelIlLi16ELi32ELi8ELc78ELc78ELc85ELb0ELb0E19rocblas_complex_numIfEPKS1_PKS3_PKPS1_EviT_T9_T10_S9_lSB_S9_lSA_T11_S9_li,"axG",@progbits,_ZL29rocblas_internal_gemmt_kernelIlLi16ELi32ELi8ELc78ELc78ELc85ELb0ELb0E19rocblas_complex_numIfEPKS1_PKS3_PKPS1_EviT_T9_T10_S9_lSB_S9_lSA_T11_S9_li,comdat
	.globl	_ZL29rocblas_internal_gemmt_kernelIlLi16ELi32ELi8ELc78ELc78ELc85ELb0ELb0E19rocblas_complex_numIfEPKS1_PKS3_PKPS1_EviT_T9_T10_S9_lSB_S9_lSA_T11_S9_li ; -- Begin function _ZL29rocblas_internal_gemmt_kernelIlLi16ELi32ELi8ELc78ELc78ELc85ELb0ELb0E19rocblas_complex_numIfEPKS1_PKS3_PKPS1_EviT_T9_T10_S9_lSB_S9_lSA_T11_S9_li
	.p2align	8
	.type	_ZL29rocblas_internal_gemmt_kernelIlLi16ELi32ELi8ELc78ELc78ELc85ELb0ELb0E19rocblas_complex_numIfEPKS1_PKS3_PKPS1_EviT_T9_T10_S9_lSB_S9_lSA_T11_S9_li,@function
_ZL29rocblas_internal_gemmt_kernelIlLi16ELi32ELi8ELc78ELc78ELc85ELb0ELb0E19rocblas_complex_numIfEPKS1_PKS3_PKPS1_EviT_T9_T10_S9_lSB_S9_lSA_T11_S9_li: ; @_ZL29rocblas_internal_gemmt_kernelIlLi16ELi32ELi8ELc78ELc78ELc85ELb0ELb0E19rocblas_complex_numIfEPKS1_PKS3_PKPS1_EviT_T9_T10_S9_lSB_S9_lSA_T11_S9_li
; %bb.0:
	s_load_b256 s[24:31], s[0:1], 0x48
	s_wait_kmcnt 0x0
	s_load_b64 s[6:7], s[24:25], 0x0
	s_load_b512 s[8:23], s[0:1], 0x8
	s_wait_kmcnt 0x0
	s_cmp_neq_f32 s6, 1.0
	s_load_b64 s[24:25], s[10:11], 0x0
	s_cselect_b32 s2, -1, 0
	s_and_b32 s4, s7, 0x7fffffff
	s_delay_alu instid0(SALU_CYCLE_1) | instskip(SKIP_3) | instid1(SALU_CYCLE_1)
	s_cmp_eq_u32 s4, 0
	s_cselect_b32 s3, -1, 0
	s_cmp_lg_u32 s4, 0
	s_cselect_b32 s4, -1, 0
	s_or_b32 s2, s2, s4
	s_delay_alu instid0(SALU_CYCLE_1)
	s_and_b32 vcc_lo, exec_lo, s2
	s_cbranch_vccnz .LBB504_2
; %bb.1:
	s_cmp_lg_u64 s[8:9], 0
	s_cselect_b32 s2, -1, 0
	s_wait_kmcnt 0x0
	s_cmp_neq_f32 s24, 0
	s_cselect_b32 s4, -1, 0
	s_cmp_neq_f32 s25, 0
	s_cselect_b32 s5, -1, 0
	s_delay_alu instid0(SALU_CYCLE_1) | instskip(NEXT) | instid1(SALU_CYCLE_1)
	s_or_b32 s4, s4, s5
	s_and_b32 s2, s2, s4
.LBB504_2:
	s_delay_alu instid0(SALU_CYCLE_1)
	s_and_not1_b32 vcc_lo, exec_lo, s2
	s_cbranch_vccnz .LBB504_35
; %bb.3:
	s_load_b32 s33, s[0:1], 0x68
	s_bfe_u32 s2, ttmp6, 0x40014
	s_lshr_b32 s4, ttmp7, 16
	s_add_co_i32 s2, s2, 1
	s_wait_xcnt 0x0
	s_bfe_u32 s10, ttmp6, 0x40008
	s_mul_i32 s5, s4, s2
	s_getreg_b32 s2, hwreg(HW_REG_IB_STS2, 6, 4)
	s_add_co_i32 s10, s10, s5
	s_cmp_eq_u32 s2, 0
	s_mov_b32 s11, 0
	s_cselect_b32 s10, s4, s10
	s_wait_kmcnt 0x0
	s_cmp_ge_u32 s10, s33
	s_cbranch_scc1 .LBB504_35
; %bb.4:
	v_and_b32_e32 v9, 0x3ff, v0
	v_bfe_u32 v15, v0, 10, 10
	s_load_b32 s4, s[0:1], 0x0
	s_wait_xcnt 0x0
	s_bfe_u32 s0, ttmp6, 0x4000c
	s_bfe_u32 s5, ttmp6, 0x40010
	s_add_co_i32 s0, s0, 1
	s_and_b32 s34, ttmp7, 0xffff
	s_add_co_i32 s5, s5, 1
	v_lshl_add_u32 v1, v15, 4, v9
	s_and_b32 s1, ttmp6, 15
	s_mul_i32 s0, ttmp9, s0
	s_mul_i32 s5, s34, s5
	s_bfe_u32 s35, ttmp6, 0x40004
	s_add_co_i32 s1, s1, s0
	s_add_co_i32 s35, s35, s5
	s_cmp_eq_u32 s2, 0
	v_dual_lshrrev_b32 v2, 5, v1 :: v_dual_bitop2_b32 v3, 31, v1 bitop3:0x40
	v_dual_lshrrev_b32 v8, 3, v1 :: v_dual_bitop2_b32 v0, 7, v0 bitop3:0x40
	s_cselect_b32 s0, ttmp9, s1
	s_cselect_b32 s1, s34, s35
	s_lshl_b32 s2, s0, 5
	s_lshl_b32 s0, s1, 5
	s_delay_alu instid0(SALU_CYCLE_1) | instskip(SKIP_3) | instid1(VALU_DEP_3)
	v_dual_add_nc_u32 v6, s0, v8 :: v_dual_bitop2_b32 v4, s2, v3 bitop3:0x54
	v_add_nc_u32_e32 v16, s0, v15
	s_cmp_neq_f32 s24, 0
	v_dual_lshlrev_b32 v1, 3, v3 :: v_dual_lshlrev_b32 v3, 3, v0
	v_ashrrev_i32_e32 v5, 31, v4
	s_delay_alu instid0(VALU_DEP_3) | instskip(SKIP_2) | instid1(VALU_DEP_1)
	v_dual_add_nc_u32 v18, 16, v16 :: v_dual_ashrrev_i32 v7, 31, v6
	s_cselect_b32 s1, -1, 0
	s_cmp_neq_f32 s25, 0
	v_dual_ashrrev_i32 v17, 31, v16 :: v_dual_ashrrev_i32 v19, 31, v18
	v_lshl_or_b32 v3, v8, 6, v3
	s_cselect_b32 s5, -1, 0
	v_dual_add_nc_u32 v8, s2, v9 :: v_dual_lshlrev_b32 v25, 3, v9
	s_or_b32 s39, s1, s5
	s_wait_kmcnt 0x0
	v_cmp_gt_i32_e64 s1, s4, v6
	v_mul_u64_e32 v[6:7], s[20:21], v[6:7]
	v_mul_u64_e32 v[10:11], s[28:29], v[16:17]
	;; [unrolled: 1-line block ×3, first 2 shown]
	s_cmp_neq_f32 s6, 0
	v_cmp_gt_i32_e32 vcc_lo, s4, v16
	v_cmp_le_i32_e64 s2, v8, v16
	v_dual_add_nc_u32 v14, 16, v8 :: v_dual_ashrrev_i32 v9, 31, v8
	v_cmp_gt_i64_e64 s40, s[8:9], 0
	s_cselect_b32 s5, -1, 0
	s_xor_b32 s3, s3, -1
	v_cmp_gt_i32_e64 s0, s4, v4
	s_or_b32 s34, s5, s3
	s_and_b32 s35, vcc_lo, s2
	v_cmp_le_i32_e64 s2, v14, v16
	v_cmp_gt_i32_e64 s3, s4, v18
	v_cmp_le_i32_e64 s4, v8, v18
	v_cmp_le_i32_e64 s5, v14, v18
	v_lshl_or_b32 v1, v2, 8, v1
	v_add_nc_u32_e32 v3, 0x800, v3
	v_lshl_add_u32 v27, v15, 6, 0x800
	v_dual_ashrrev_i32 v15, 31, v14 :: v_dual_mov_b32 v17, 0
	s_and_b32 s36, vcc_lo, s2
	s_and_b32 s37, s3, s4
	s_and_b32 s38, s3, s5
	s_mov_b32 s2, s6
	s_mov_b32 s3, s6
	;; [unrolled: 1-line block ×5, first 2 shown]
	s_and_b32 s39, s39, s40
	s_lshl_b64 s[20:21], s[22:23], 3
	s_lshl_b64 s[16:17], s[16:17], 3
	;; [unrolled: 1-line block ×3, first 2 shown]
	s_branch .LBB504_6
.LBB504_5:                              ;   in Loop: Header=BB504_6 Depth=1
	s_wait_xcnt 0x0
	s_or_b32 exec_lo, exec_lo, s28
	s_add_co_i32 s10, s10, 0x10000
	s_delay_alu instid0(SALU_CYCLE_1)
	s_cmp_lt_u32 s10, s33
	s_cbranch_scc0 .LBB504_35
.LBB504_6:                              ; =>This Loop Header: Depth=1
                                        ;     Child Loop BB504_9 Depth 2
	v_dual_mov_b32 v16, s10 :: v_dual_mov_b32 v36, v17
	v_dual_mov_b32 v38, v17 :: v_dual_mov_b32 v32, v17
	;; [unrolled: 1-line block ×3, first 2 shown]
	global_load_b64 v[18:19], v16, s[26:27] scale_offset
	v_dual_mov_b32 v30, v17 :: v_dual_mov_b32 v24, v17
	v_mov_b32_e32 v26, v17
	s_and_not1_b32 vcc_lo, exec_lo, s39
	s_cbranch_vccnz .LBB504_15
; %bb.7:                                ;   in Loop: Header=BB504_6 Depth=1
	s_lshl_b64 s[28:29], s[10:11], 3
	v_dual_mov_b32 v26, 0 :: v_dual_mov_b32 v24, 0
	s_add_nc_u64 s[30:31], s[12:13], s[28:29]
	s_add_nc_u64 s[28:29], s[18:19], s[28:29]
	s_clause 0x1
	global_load_b64 v[20:21], v17, s[30:31]
	global_load_b64 v[22:23], v17, s[28:29]
	v_dual_mov_b32 v30, 0 :: v_dual_mov_b32 v28, 0
	v_dual_mov_b32 v34, 0 :: v_dual_mov_b32 v32, 0
	;; [unrolled: 1-line block ×3, first 2 shown]
	s_wait_xcnt 0x0
	s_mov_b64 s[28:29], 0
	s_wait_loadcnt 0x1
	v_add_nc_u64_e32 v[20:21], s[16:17], v[20:21]
	s_wait_loadcnt 0x0
	v_add_nc_u64_e32 v[22:23], s[20:21], v[22:23]
	s_delay_alu instid0(VALU_DEP_2) | instskip(NEXT) | instid1(VALU_DEP_2)
	v_lshl_add_u64 v[20:21], v[4:5], 3, v[20:21]
	v_lshl_add_u64 v[22:23], v[6:7], 3, v[22:23]
	s_branch .LBB504_9
.LBB504_8:                              ;   in Loop: Header=BB504_9 Depth=2
	s_wait_xcnt 0x0
	s_or_b32 exec_lo, exec_lo, s30
	s_wait_loadcnt_dscnt 0x0
	ds_store_b64 v3, v[42:43]
	s_wait_dscnt 0x0
	s_barrier_signal -1
	s_barrier_wait -1
	ds_load_b128 v[40:43], v27
	ds_load_2addr_b64 v[44:47], v25 offset1:16
	ds_load_b128 v[48:51], v27 offset:1024
	ds_load_b128 v[52:55], v27 offset:16
	;; [unrolled: 1-line block ×4, first 2 shown]
	ds_load_2addr_b64 v[64:67], v25 offset0:32 offset1:48
	ds_load_b128 v[68:71], v27 offset:1040
	s_add_nc_u64 s[28:29], s[28:29], 8
	s_delay_alu instid0(SALU_CYCLE_1)
	v_cmp_gt_i64_e64 s30, s[8:9], s[28:29]
	s_and_b32 vcc_lo, exec_lo, s30
	s_wait_dscnt 0x6
	v_dual_mul_f32 v16, v41, v45 :: v_dual_mul_f32 v29, v40, v45
	v_dual_mul_f32 v31, v41, v47 :: v_dual_mul_f32 v33, v40, v47
	s_wait_dscnt 0x5
	v_dual_mul_f32 v35, v49, v45 :: v_dual_mul_f32 v37, v48, v45
	v_dual_mul_f32 v39, v49, v47 :: v_dual_mul_f32 v45, v48, v47
	v_dual_fma_f32 v16, v40, v44, -v16 :: v_dual_fmac_f32 v29, v41, v44
	v_dual_fma_f32 v31, v40, v46, -v31 :: v_dual_fmac_f32 v33, v41, v46
	s_delay_alu instid0(VALU_DEP_4) | instskip(NEXT) | instid1(VALU_DEP_3)
	v_dual_fma_f32 v35, v48, v44, -v35 :: v_dual_fmac_f32 v37, v49, v44
	v_dual_add_f32 v16, v36, v16 :: v_dual_add_f32 v36, v38, v29
	v_fma_f32 v29, v48, v46, -v39
	s_delay_alu instid0(VALU_DEP_4) | instskip(NEXT) | instid1(VALU_DEP_4)
	v_dual_add_f32 v32, v32, v31 :: v_dual_add_f32 v33, v34, v33
	v_dual_add_f32 v34, v28, v35 :: v_dual_add_f32 v35, v30, v37
	s_wait_dscnt 0x1
	v_dual_mul_f32 v37, v43, v65 :: v_dual_fmac_f32 v45, v49, v46
	v_add_f32_e32 v24, v24, v29
	ds_load_2addr_b64 v[28:31], v25 offset0:64 offset1:80
	v_dual_mul_f32 v38, v42, v65 :: v_dual_fma_f32 v37, v42, v64, -v37
	v_dual_mul_f32 v39, v43, v67 :: v_dual_add_f32 v26, v26, v45
	s_delay_alu instid0(VALU_DEP_2) | instskip(NEXT) | instid1(VALU_DEP_2)
	v_dual_mul_f32 v40, v42, v67 :: v_dual_fmac_f32 v38, v43, v64
	v_dual_add_f32 v16, v16, v37 :: v_dual_fma_f32 v37, v42, v66, -v39
	v_mul_f32_e32 v39, v51, v65
	s_delay_alu instid0(VALU_DEP_3) | instskip(NEXT) | instid1(VALU_DEP_4)
	v_fmac_f32_e32 v40, v43, v66
	v_dual_add_f32 v36, v36, v38 :: v_dual_mul_f32 v38, v50, v65
	s_delay_alu instid0(VALU_DEP_3) | instskip(NEXT) | instid1(VALU_DEP_3)
	v_dual_add_f32 v37, v32, v37 :: v_dual_fma_f32 v32, v50, v64, -v39
	v_dual_mul_f32 v39, v51, v67 :: v_dual_add_f32 v40, v33, v40
	s_delay_alu instid0(VALU_DEP_3) | instskip(SKIP_1) | instid1(VALU_DEP_3)
	v_dual_fmac_f32 v38, v51, v64 :: v_dual_mul_f32 v41, v50, v67
	s_wait_dscnt 0x0
	v_dual_add_f32 v42, v34, v32 :: v_dual_mul_f32 v33, v53, v29
	s_delay_alu instid0(VALU_DEP_3) | instskip(NEXT) | instid1(VALU_DEP_3)
	v_fma_f32 v32, v50, v66, -v39
	v_dual_add_f32 v38, v35, v38 :: v_dual_mul_f32 v39, v52, v29
	v_fmac_f32_e32 v41, v51, v66
	s_delay_alu instid0(VALU_DEP_4) | instskip(NEXT) | instid1(VALU_DEP_4)
	v_fma_f32 v43, v52, v28, -v33
	v_dual_add_f32 v24, v24, v32 :: v_dual_mul_f32 v44, v53, v31
	ds_load_2addr_b64 v[32:35], v25 offset0:96 offset1:112
	v_dual_fmac_f32 v39, v53, v28 :: v_dual_add_f32 v26, v26, v41
	v_add_f32_e32 v16, v16, v43
	v_dual_mul_f32 v41, v52, v31 :: v_dual_fma_f32 v43, v52, v30, -v44
	s_delay_alu instid0(VALU_DEP_3) | instskip(NEXT) | instid1(VALU_DEP_2)
	v_dual_add_f32 v36, v36, v39 :: v_dual_mul_f32 v39, v69, v29
	v_dual_mul_f32 v29, v68, v29 :: v_dual_fmac_f32 v41, v53, v30
	s_delay_alu instid0(VALU_DEP_3) | instskip(NEXT) | instid1(VALU_DEP_3)
	v_add_f32_e32 v37, v37, v43
	v_dual_mul_f32 v43, v69, v31 :: v_dual_fma_f32 v39, v68, v28, -v39
	s_delay_alu instid0(VALU_DEP_3) | instskip(NEXT) | instid1(VALU_DEP_4)
	v_dual_fmac_f32 v29, v69, v28 :: v_dual_mul_f32 v44, v68, v31
	v_add_f32_e32 v40, v40, v41
	s_delay_alu instid0(VALU_DEP_3) | instskip(NEXT) | instid1(VALU_DEP_3)
	v_dual_fma_f32 v28, v68, v30, -v43 :: v_dual_add_f32 v41, v42, v39
	v_dual_add_f32 v42, v38, v29 :: v_dual_fmac_f32 v44, v69, v30
	s_wait_dscnt 0x0
	s_delay_alu instid0(VALU_DEP_2) | instskip(SKIP_2) | instid1(VALU_DEP_1)
	v_dual_mul_f32 v38, v55, v33 :: v_dual_add_f32 v24, v24, v28
	ds_load_2addr_b64 v[28:31], v25 offset0:128 offset1:144
	v_dual_mul_f32 v39, v54, v33 :: v_dual_mul_f32 v43, v55, v35
	v_dual_fma_f32 v38, v54, v32, -v38 :: v_dual_fmac_f32 v39, v55, v32
	s_delay_alu instid0(VALU_DEP_1) | instskip(NEXT) | instid1(VALU_DEP_3)
	v_dual_add_f32 v26, v26, v44 :: v_dual_add_f32 v16, v16, v38
	v_dual_mul_f32 v44, v54, v35 :: v_dual_fma_f32 v43, v54, v34, -v43
	s_delay_alu instid0(VALU_DEP_3) | instskip(NEXT) | instid1(VALU_DEP_2)
	v_dual_mul_f32 v38, v71, v33 :: v_dual_add_f32 v45, v36, v39
	v_dual_mul_f32 v33, v70, v33 :: v_dual_fmac_f32 v44, v55, v34
	s_delay_alu instid0(VALU_DEP_2)
	v_dual_add_f32 v46, v37, v43 :: v_dual_fma_f32 v43, v70, v32, -v38
	v_mul_f32_e32 v47, v71, v35
	ds_load_b128 v[36:39], v27 offset:1056
	v_add_f32_e32 v44, v40, v44
	v_dual_fmac_f32 v33, v71, v32 :: v_dual_mul_f32 v40, v70, v35
	v_dual_fma_f32 v32, v70, v34, -v47 :: v_dual_add_f32 v47, v41, v43
	s_wait_dscnt 0x1
	v_mul_f32_e32 v35, v57, v29
	s_delay_alu instid0(VALU_DEP_3) | instskip(NEXT) | instid1(VALU_DEP_3)
	v_dual_add_f32 v48, v42, v33 :: v_dual_fmac_f32 v40, v71, v34
	v_add_f32_e32 v24, v24, v32
	s_delay_alu instid0(VALU_DEP_3) | instskip(NEXT) | instid1(VALU_DEP_3)
	v_dual_mul_f32 v49, v56, v29 :: v_dual_fma_f32 v41, v56, v28, -v35
	v_dual_mul_f32 v42, v57, v31 :: v_dual_add_f32 v26, v26, v40
	ds_load_2addr_b64 v[32:35], v25 offset0:160 offset1:176
	v_dual_fmac_f32 v49, v57, v28 :: v_dual_add_f32 v16, v16, v41
	v_dual_fma_f32 v50, v56, v30, -v42 :: v_dual_mul_f32 v51, v56, v31
	ds_load_b128 v[40:43], v27 offset:1072
	s_wait_dscnt 0x2
	v_dual_mul_f32 v52, v37, v29 :: v_dual_mul_f32 v29, v36, v29
	v_dual_add_f32 v45, v45, v49 :: v_dual_add_f32 v46, v46, v50
	s_delay_alu instid0(VALU_DEP_2) | instskip(NEXT) | instid1(VALU_DEP_3)
	v_dual_fmac_f32 v51, v57, v30 :: v_dual_fma_f32 v49, v36, v28, -v52
	v_dual_mul_f32 v50, v37, v31 :: v_dual_fmac_f32 v29, v37, v28
	s_delay_alu instid0(VALU_DEP_2) | instskip(NEXT) | instid1(VALU_DEP_2)
	v_dual_add_f32 v44, v44, v51 :: v_dual_add_f32 v47, v47, v49
	v_dual_mul_f32 v51, v36, v31 :: v_dual_fma_f32 v28, v36, v30, -v50
	s_delay_alu instid0(VALU_DEP_3) | instskip(SKIP_2) | instid1(VALU_DEP_3)
	v_add_f32_e32 v36, v48, v29
	s_wait_dscnt 0x1
	v_dual_mul_f32 v48, v59, v33 :: v_dual_mul_f32 v49, v59, v35
	v_dual_fmac_f32 v51, v37, v30 :: v_dual_add_f32 v24, v24, v28
	ds_load_2addr_b64 v[28:31], v25 offset0:192 offset1:208
	v_dual_mul_f32 v37, v58, v33 :: v_dual_fma_f32 v48, v58, v32, -v48
	s_delay_alu instid0(VALU_DEP_1) | instskip(NEXT) | instid1(VALU_DEP_2)
	v_dual_mul_f32 v50, v58, v35 :: v_dual_fmac_f32 v37, v59, v32
	v_dual_add_f32 v26, v26, v51 :: v_dual_add_f32 v16, v16, v48
	s_delay_alu instid0(VALU_DEP_2) | instskip(NEXT) | instid1(VALU_DEP_3)
	v_dual_fma_f32 v48, v58, v34, -v49 :: v_dual_fmac_f32 v50, v59, v34
	v_add_f32_e32 v37, v45, v37
	v_dual_mul_f32 v45, v39, v33 :: v_dual_mul_f32 v33, v38, v33
	s_delay_alu instid0(VALU_DEP_3) | instskip(NEXT) | instid1(VALU_DEP_2)
	v_dual_add_f32 v48, v46, v48 :: v_dual_mul_f32 v46, v39, v35
	v_dual_add_f32 v49, v44, v50 :: v_dual_fma_f32 v45, v38, v32, -v45
	s_delay_alu instid0(VALU_DEP_3) | instskip(SKIP_1) | instid1(VALU_DEP_3)
	v_dual_fmac_f32 v33, v39, v32 :: v_dual_mul_f32 v32, v38, v35
	s_wait_dscnt 0x0
	v_dual_fma_f32 v35, v38, v34, -v46 :: v_dual_mul_f32 v44, v61, v29
	s_delay_alu instid0(VALU_DEP_3) | instskip(NEXT) | instid1(VALU_DEP_3)
	v_add_f32_e32 v38, v47, v45
	v_dual_fmac_f32 v32, v39, v34 :: v_dual_mul_f32 v34, v60, v29
	s_delay_alu instid0(VALU_DEP_3) | instskip(NEXT) | instid1(VALU_DEP_4)
	v_add_f32_e32 v24, v24, v35
	v_fma_f32 v35, v60, v28, -v44
	ds_load_2addr_b64 v[44:47], v25 offset0:224 offset1:240
	v_dual_add_f32 v33, v36, v33 :: v_dual_add_f32 v26, v26, v32
	v_dual_mul_f32 v32, v61, v31 :: v_dual_fmac_f32 v34, v61, v28
	v_dual_add_f32 v16, v16, v35 :: v_dual_mul_f32 v36, v41, v29
	s_delay_alu instid0(VALU_DEP_2) | instskip(NEXT) | instid1(VALU_DEP_3)
	v_dual_mul_f32 v35, v60, v31 :: v_dual_fma_f32 v32, v60, v30, -v32
	v_dual_mul_f32 v29, v40, v29 :: v_dual_add_f32 v34, v37, v34
	s_delay_alu instid0(VALU_DEP_2) | instskip(NEXT) | instid1(VALU_DEP_3)
	v_dual_fma_f32 v36, v40, v28, -v36 :: v_dual_fmac_f32 v35, v61, v30
	v_add_f32_e32 v32, v48, v32
	s_delay_alu instid0(VALU_DEP_3) | instskip(SKIP_1) | instid1(VALU_DEP_4)
	v_dual_fmac_f32 v29, v41, v28 :: v_dual_mul_f32 v28, v41, v31
	v_mul_f32_e32 v31, v40, v31
	v_dual_add_f32 v35, v49, v35 :: v_dual_add_f32 v37, v38, v36
	s_delay_alu instid0(VALU_DEP_3) | instskip(SKIP_3) | instid1(VALU_DEP_3)
	v_dual_add_f32 v29, v33, v29 :: v_dual_fma_f32 v28, v40, v30, -v28
	s_wait_dscnt 0x0
	v_dual_mul_f32 v33, v63, v45 :: v_dual_mul_f32 v38, v62, v45
	v_dual_fmac_f32 v31, v41, v30 :: v_dual_mul_f32 v30, v63, v47
	v_add_f32_e32 v24, v24, v28
	s_delay_alu instid0(VALU_DEP_3) | instskip(NEXT) | instid1(VALU_DEP_3)
	v_dual_fma_f32 v28, v62, v44, -v33 :: v_dual_fmac_f32 v38, v63, v44
	v_dual_mul_f32 v33, v62, v47 :: v_dual_fma_f32 v30, v62, v46, -v30
	s_delay_alu instid0(VALU_DEP_2) | instskip(NEXT) | instid1(VALU_DEP_3)
	v_dual_add_f32 v26, v26, v31 :: v_dual_add_f32 v36, v16, v28
	v_dual_add_f32 v38, v34, v38 :: v_dual_mul_f32 v16, v43, v45
	s_delay_alu instid0(VALU_DEP_3) | instskip(NEXT) | instid1(VALU_DEP_4)
	v_fmac_f32_e32 v33, v63, v46
	v_dual_add_f32 v32, v32, v30 :: v_dual_mul_f32 v28, v43, v47
	v_dual_mul_f32 v30, v42, v45 :: v_dual_mul_f32 v31, v42, v47
	s_delay_alu instid0(VALU_DEP_3) | instskip(NEXT) | instid1(VALU_DEP_2)
	v_dual_add_f32 v34, v35, v33 :: v_dual_fma_f32 v16, v42, v44, -v16
	v_dual_fma_f32 v33, v42, v46, -v28 :: v_dual_fmac_f32 v30, v43, v44
	s_delay_alu instid0(VALU_DEP_3) | instskip(NEXT) | instid1(VALU_DEP_2)
	v_fmac_f32_e32 v31, v43, v46
	v_dual_add_f32 v28, v37, v16 :: v_dual_add_f32 v24, v24, v33
	s_delay_alu instid0(VALU_DEP_2)
	v_dual_add_f32 v30, v29, v30 :: v_dual_add_f32 v26, v26, v31
	s_barrier_signal -1
	s_barrier_wait -1
	s_cbranch_vccz .LBB504_15
.LBB504_9:                              ;   Parent Loop BB504_6 Depth=1
                                        ; =>  This Inner Loop Header: Depth=2
	v_dual_mov_b32 v40, 0 :: v_dual_mov_b32 v41, 0
	s_and_saveexec_b32 s30, s0
	s_cbranch_execz .LBB504_13
; %bb.10:                               ;   in Loop: Header=BB504_9 Depth=2
	v_dual_mov_b32 v41, 0 :: v_dual_add_nc_u32 v16, s28, v2
	v_mov_b32_e32 v40, 0
	s_mov_b32 s31, exec_lo
	s_delay_alu instid0(VALU_DEP_2)
	v_cmpx_gt_u64_e64 s[8:9], v[16:17]
	s_cbranch_execz .LBB504_12
; %bb.11:                               ;   in Loop: Header=BB504_9 Depth=2
	v_mul_u64_e32 v[40:41], s[14:15], v[16:17]
	s_delay_alu instid0(VALU_DEP_1)
	v_lshl_add_u64 v[40:41], v[40:41], 3, v[20:21]
	flat_load_b64 v[40:41], v[40:41]
.LBB504_12:                             ;   in Loop: Header=BB504_9 Depth=2
	s_wait_xcnt 0x0
	s_or_b32 exec_lo, exec_lo, s31
.LBB504_13:                             ;   in Loop: Header=BB504_9 Depth=2
	s_delay_alu instid0(SALU_CYCLE_1)
	s_or_b32 exec_lo, exec_lo, s30
	v_dual_add_nc_u32 v16, s28, v0 :: v_dual_mov_b32 v42, 0
	v_mov_b32_e32 v43, 0
	s_wait_loadcnt_dscnt 0x0
	ds_store_b64 v1, v[40:41]
	v_cmp_gt_u64_e32 vcc_lo, s[8:9], v[16:17]
	s_and_b32 s31, vcc_lo, s1
	s_delay_alu instid0(SALU_CYCLE_1)
	s_and_saveexec_b32 s30, s31
	s_cbranch_execz .LBB504_8
; %bb.14:                               ;   in Loop: Header=BB504_9 Depth=2
	v_lshl_add_u64 v[40:41], v[16:17], 3, v[22:23]
	flat_load_b64 v[42:43], v[40:41]
	s_branch .LBB504_8
.LBB504_15:                             ;   in Loop: Header=BB504_6 Depth=1
	s_wait_loadcnt 0x0
	v_add_nc_u64_e32 v[18:19], s[22:23], v[18:19]
	s_delay_alu instid0(VALU_DEP_1)
	v_lshl_add_u64 v[20:21], v[10:11], 3, v[18:19]
	s_wait_xcnt 0x0
	s_and_saveexec_b32 s28, s35
	s_cbranch_execz .LBB504_20
; %bb.16:                               ;   in Loop: Header=BB504_6 Depth=1
	v_mov_b64_e32 v[22:23], s[4:5]
	v_mov_b64_e32 v[40:41], s[24:25]
	s_and_b32 vcc_lo, exec_lo, s34
	s_mov_b32 s29, -1
	s_delay_alu instid0(VALU_DEP_2) | instskip(NEXT) | instid1(VALU_DEP_1)
	v_pk_mul_f32 v[22:23], v[38:39], v[22:23] op_sel_hi:[0,1]
	v_pk_fma_f32 v[38:39], v[36:37], v[40:41], v[22:23] op_sel_hi:[0,1,1]
	v_pk_fma_f32 v[22:23], v[36:37], v[40:41], v[22:23] neg_lo:[0,0,1] neg_hi:[0,0,1]
	v_lshl_add_u64 v[36:37], v[8:9], 3, v[20:21]
	s_delay_alu instid0(VALU_DEP_3)
	v_mov_b32_e32 v23, v39
	s_cbranch_vccz .LBB504_18
; %bb.17:                               ;   in Loop: Header=BB504_6 Depth=1
	flat_load_b64 v[38:39], v[36:37]
	v_mov_b64_e32 v[40:41], s[6:7]
	v_mov_b64_e32 v[42:43], s[2:3]
	s_mov_b32 s29, 0
	s_wait_loadcnt_dscnt 0x0
	s_delay_alu instid0(VALU_DEP_2) | instskip(NEXT) | instid1(VALU_DEP_1)
	v_pk_mul_f32 v[40:41], v[38:39], v[40:41]
	v_pk_fma_f32 v[44:45], v[38:39], v[42:43], v[40:41] op_sel:[0,0,1] op_sel_hi:[1,1,0]
	v_pk_fma_f32 v[38:39], v[38:39], v[42:43], v[40:41] op_sel:[0,0,1] op_sel_hi:[1,1,0] neg_lo:[0,0,1] neg_hi:[0,0,1]
	s_delay_alu instid0(VALU_DEP_2) | instskip(NEXT) | instid1(VALU_DEP_1)
	v_mov_b32_e32 v39, v45
	v_pk_add_f32 v[38:39], v[22:23], v[38:39]
	flat_store_b64 v[36:37], v[38:39]
.LBB504_18:                             ;   in Loop: Header=BB504_6 Depth=1
	s_and_not1_b32 vcc_lo, exec_lo, s29
	s_cbranch_vccnz .LBB504_20
; %bb.19:                               ;   in Loop: Header=BB504_6 Depth=1
	flat_store_b64 v[36:37], v[22:23]
.LBB504_20:                             ;   in Loop: Header=BB504_6 Depth=1
	s_wait_xcnt 0x0
	s_or_b32 exec_lo, exec_lo, s28
	s_and_saveexec_b32 s28, s36
	s_cbranch_execz .LBB504_25
; %bb.21:                               ;   in Loop: Header=BB504_6 Depth=1
	v_mov_b64_e32 v[22:23], s[4:5]
	v_mov_b64_e32 v[36:37], s[24:25]
	v_lshl_add_u64 v[20:21], v[14:15], 3, v[20:21]
	s_and_not1_b32 vcc_lo, exec_lo, s34
	s_mov_b32 s29, -1
	s_delay_alu instid0(VALU_DEP_3) | instskip(NEXT) | instid1(VALU_DEP_1)
	v_pk_mul_f32 v[22:23], v[34:35], v[22:23] op_sel_hi:[0,1]
	v_pk_fma_f32 v[34:35], v[32:33], v[36:37], v[22:23] op_sel_hi:[0,1,1]
	v_pk_fma_f32 v[22:23], v[32:33], v[36:37], v[22:23] neg_lo:[0,0,1] neg_hi:[0,0,1]
	s_delay_alu instid0(VALU_DEP_2)
	v_mov_b32_e32 v23, v35
	s_cbranch_vccnz .LBB504_23
; %bb.22:                               ;   in Loop: Header=BB504_6 Depth=1
	flat_load_b64 v[32:33], v[20:21]
	v_mov_b64_e32 v[34:35], s[6:7]
	v_mov_b64_e32 v[36:37], s[2:3]
	s_mov_b32 s29, 0
	s_wait_loadcnt_dscnt 0x0
	s_delay_alu instid0(VALU_DEP_2) | instskip(NEXT) | instid1(VALU_DEP_1)
	v_pk_mul_f32 v[34:35], v[32:33], v[34:35]
	v_pk_fma_f32 v[38:39], v[32:33], v[36:37], v[34:35] op_sel:[0,0,1] op_sel_hi:[1,1,0]
	v_pk_fma_f32 v[32:33], v[32:33], v[36:37], v[34:35] op_sel:[0,0,1] op_sel_hi:[1,1,0] neg_lo:[0,0,1] neg_hi:[0,0,1]
	s_delay_alu instid0(VALU_DEP_2) | instskip(NEXT) | instid1(VALU_DEP_1)
	v_mov_b32_e32 v33, v39
	v_pk_add_f32 v[32:33], v[22:23], v[32:33]
	flat_store_b64 v[20:21], v[32:33]
.LBB504_23:                             ;   in Loop: Header=BB504_6 Depth=1
	s_and_not1_b32 vcc_lo, exec_lo, s29
	s_cbranch_vccnz .LBB504_25
; %bb.24:                               ;   in Loop: Header=BB504_6 Depth=1
	flat_store_b64 v[20:21], v[22:23]
.LBB504_25:                             ;   in Loop: Header=BB504_6 Depth=1
	s_wait_xcnt 0x0
	s_or_b32 exec_lo, exec_lo, s28
	v_lshl_add_u64 v[18:19], v[12:13], 3, v[18:19]
	s_and_saveexec_b32 s28, s37
	s_cbranch_execz .LBB504_30
; %bb.26:                               ;   in Loop: Header=BB504_6 Depth=1
	v_mov_b64_e32 v[20:21], s[4:5]
	v_mov_b64_e32 v[22:23], s[24:25]
	s_and_not1_b32 vcc_lo, exec_lo, s34
	s_mov_b32 s29, -1
	s_delay_alu instid0(VALU_DEP_2) | instskip(NEXT) | instid1(VALU_DEP_1)
	v_pk_mul_f32 v[20:21], v[30:31], v[20:21] op_sel_hi:[0,1]
	v_pk_fma_f32 v[30:31], v[28:29], v[22:23], v[20:21] op_sel_hi:[0,1,1]
	v_pk_fma_f32 v[20:21], v[28:29], v[22:23], v[20:21] neg_lo:[0,0,1] neg_hi:[0,0,1]
	v_lshl_add_u64 v[22:23], v[8:9], 3, v[18:19]
	s_delay_alu instid0(VALU_DEP_3)
	v_mov_b32_e32 v21, v31
	s_cbranch_vccnz .LBB504_28
; %bb.27:                               ;   in Loop: Header=BB504_6 Depth=1
	flat_load_b64 v[28:29], v[22:23]
	v_mov_b64_e32 v[30:31], s[6:7]
	v_mov_b64_e32 v[32:33], s[2:3]
	s_mov_b32 s29, 0
	s_wait_loadcnt_dscnt 0x0
	s_delay_alu instid0(VALU_DEP_2) | instskip(NEXT) | instid1(VALU_DEP_1)
	v_pk_mul_f32 v[30:31], v[28:29], v[30:31]
	v_pk_fma_f32 v[34:35], v[28:29], v[32:33], v[30:31] op_sel:[0,0,1] op_sel_hi:[1,1,0]
	v_pk_fma_f32 v[28:29], v[28:29], v[32:33], v[30:31] op_sel:[0,0,1] op_sel_hi:[1,1,0] neg_lo:[0,0,1] neg_hi:[0,0,1]
	s_delay_alu instid0(VALU_DEP_2) | instskip(NEXT) | instid1(VALU_DEP_1)
	v_mov_b32_e32 v29, v35
	v_pk_add_f32 v[28:29], v[20:21], v[28:29]
	flat_store_b64 v[22:23], v[28:29]
.LBB504_28:                             ;   in Loop: Header=BB504_6 Depth=1
	s_and_not1_b32 vcc_lo, exec_lo, s29
	s_cbranch_vccnz .LBB504_30
; %bb.29:                               ;   in Loop: Header=BB504_6 Depth=1
	flat_store_b64 v[22:23], v[20:21]
.LBB504_30:                             ;   in Loop: Header=BB504_6 Depth=1
	s_wait_xcnt 0x0
	s_or_b32 exec_lo, exec_lo, s28
	s_and_saveexec_b32 s28, s38
	s_cbranch_execz .LBB504_5
; %bb.31:                               ;   in Loop: Header=BB504_6 Depth=1
	v_mov_b64_e32 v[20:21], s[4:5]
	v_mov_b64_e32 v[22:23], s[24:25]
	v_lshl_add_u64 v[18:19], v[14:15], 3, v[18:19]
	s_and_not1_b32 vcc_lo, exec_lo, s34
	s_mov_b32 s29, -1
	s_delay_alu instid0(VALU_DEP_3) | instskip(NEXT) | instid1(VALU_DEP_1)
	v_pk_mul_f32 v[20:21], v[26:27], v[20:21] op_sel_hi:[0,1]
	v_pk_fma_f32 v[28:29], v[24:25], v[22:23], v[20:21] op_sel_hi:[0,1,1]
	v_pk_fma_f32 v[20:21], v[24:25], v[22:23], v[20:21] neg_lo:[0,0,1] neg_hi:[0,0,1]
	s_delay_alu instid0(VALU_DEP_2)
	v_mov_b32_e32 v21, v29
	s_cbranch_vccnz .LBB504_33
; %bb.32:                               ;   in Loop: Header=BB504_6 Depth=1
	flat_load_b64 v[22:23], v[18:19]
	v_mov_b64_e32 v[28:29], s[6:7]
	v_mov_b64_e32 v[30:31], s[2:3]
	s_mov_b32 s29, 0
	s_wait_loadcnt_dscnt 0x0
	s_delay_alu instid0(VALU_DEP_2) | instskip(NEXT) | instid1(VALU_DEP_1)
	v_pk_mul_f32 v[28:29], v[22:23], v[28:29]
	v_pk_fma_f32 v[32:33], v[22:23], v[30:31], v[28:29] op_sel:[0,0,1] op_sel_hi:[1,1,0]
	v_pk_fma_f32 v[22:23], v[22:23], v[30:31], v[28:29] op_sel:[0,0,1] op_sel_hi:[1,1,0] neg_lo:[0,0,1] neg_hi:[0,0,1]
	s_delay_alu instid0(VALU_DEP_2) | instskip(NEXT) | instid1(VALU_DEP_1)
	v_mov_b32_e32 v23, v33
	v_pk_add_f32 v[22:23], v[20:21], v[22:23]
	flat_store_b64 v[18:19], v[22:23]
.LBB504_33:                             ;   in Loop: Header=BB504_6 Depth=1
	s_and_not1_b32 vcc_lo, exec_lo, s29
	s_cbranch_vccnz .LBB504_5
; %bb.34:                               ;   in Loop: Header=BB504_6 Depth=1
	flat_store_b64 v[18:19], v[20:21]
	s_branch .LBB504_5
.LBB504_35:
	s_sendmsg sendmsg(MSG_DEALLOC_VGPRS)
	s_endpgm
	.section	.rodata,"a",@progbits
	.p2align	6, 0x0
	.amdhsa_kernel _ZL29rocblas_internal_gemmt_kernelIlLi16ELi32ELi8ELc78ELc78ELc85ELb0ELb0E19rocblas_complex_numIfEPKS1_PKS3_PKPS1_EviT_T9_T10_S9_lSB_S9_lSA_T11_S9_li
		.amdhsa_group_segment_fixed_size 4096
		.amdhsa_private_segment_fixed_size 0
		.amdhsa_kernarg_size 108
		.amdhsa_user_sgpr_count 2
		.amdhsa_user_sgpr_dispatch_ptr 0
		.amdhsa_user_sgpr_queue_ptr 0
		.amdhsa_user_sgpr_kernarg_segment_ptr 1
		.amdhsa_user_sgpr_dispatch_id 0
		.amdhsa_user_sgpr_kernarg_preload_length 0
		.amdhsa_user_sgpr_kernarg_preload_offset 0
		.amdhsa_user_sgpr_private_segment_size 0
		.amdhsa_wavefront_size32 1
		.amdhsa_uses_dynamic_stack 0
		.amdhsa_enable_private_segment 0
		.amdhsa_system_sgpr_workgroup_id_x 1
		.amdhsa_system_sgpr_workgroup_id_y 1
		.amdhsa_system_sgpr_workgroup_id_z 1
		.amdhsa_system_sgpr_workgroup_info 0
		.amdhsa_system_vgpr_workitem_id 1
		.amdhsa_next_free_vgpr 72
		.amdhsa_next_free_sgpr 41
		.amdhsa_named_barrier_count 0
		.amdhsa_reserve_vcc 1
		.amdhsa_float_round_mode_32 0
		.amdhsa_float_round_mode_16_64 0
		.amdhsa_float_denorm_mode_32 3
		.amdhsa_float_denorm_mode_16_64 3
		.amdhsa_fp16_overflow 0
		.amdhsa_memory_ordered 1
		.amdhsa_forward_progress 1
		.amdhsa_inst_pref_size 26
		.amdhsa_round_robin_scheduling 0
		.amdhsa_exception_fp_ieee_invalid_op 0
		.amdhsa_exception_fp_denorm_src 0
		.amdhsa_exception_fp_ieee_div_zero 0
		.amdhsa_exception_fp_ieee_overflow 0
		.amdhsa_exception_fp_ieee_underflow 0
		.amdhsa_exception_fp_ieee_inexact 0
		.amdhsa_exception_int_div_zero 0
	.end_amdhsa_kernel
	.section	.text._ZL29rocblas_internal_gemmt_kernelIlLi16ELi32ELi8ELc78ELc78ELc85ELb0ELb0E19rocblas_complex_numIfEPKS1_PKS3_PKPS1_EviT_T9_T10_S9_lSB_S9_lSA_T11_S9_li,"axG",@progbits,_ZL29rocblas_internal_gemmt_kernelIlLi16ELi32ELi8ELc78ELc78ELc85ELb0ELb0E19rocblas_complex_numIfEPKS1_PKS3_PKPS1_EviT_T9_T10_S9_lSB_S9_lSA_T11_S9_li,comdat
.Lfunc_end504:
	.size	_ZL29rocblas_internal_gemmt_kernelIlLi16ELi32ELi8ELc78ELc78ELc85ELb0ELb0E19rocblas_complex_numIfEPKS1_PKS3_PKPS1_EviT_T9_T10_S9_lSB_S9_lSA_T11_S9_li, .Lfunc_end504-_ZL29rocblas_internal_gemmt_kernelIlLi16ELi32ELi8ELc78ELc78ELc85ELb0ELb0E19rocblas_complex_numIfEPKS1_PKS3_PKPS1_EviT_T9_T10_S9_lSB_S9_lSA_T11_S9_li
                                        ; -- End function
	.set _ZL29rocblas_internal_gemmt_kernelIlLi16ELi32ELi8ELc78ELc78ELc85ELb0ELb0E19rocblas_complex_numIfEPKS1_PKS3_PKPS1_EviT_T9_T10_S9_lSB_S9_lSA_T11_S9_li.num_vgpr, 72
	.set _ZL29rocblas_internal_gemmt_kernelIlLi16ELi32ELi8ELc78ELc78ELc85ELb0ELb0E19rocblas_complex_numIfEPKS1_PKS3_PKPS1_EviT_T9_T10_S9_lSB_S9_lSA_T11_S9_li.num_agpr, 0
	.set _ZL29rocblas_internal_gemmt_kernelIlLi16ELi32ELi8ELc78ELc78ELc85ELb0ELb0E19rocblas_complex_numIfEPKS1_PKS3_PKPS1_EviT_T9_T10_S9_lSB_S9_lSA_T11_S9_li.numbered_sgpr, 41
	.set _ZL29rocblas_internal_gemmt_kernelIlLi16ELi32ELi8ELc78ELc78ELc85ELb0ELb0E19rocblas_complex_numIfEPKS1_PKS3_PKPS1_EviT_T9_T10_S9_lSB_S9_lSA_T11_S9_li.num_named_barrier, 0
	.set _ZL29rocblas_internal_gemmt_kernelIlLi16ELi32ELi8ELc78ELc78ELc85ELb0ELb0E19rocblas_complex_numIfEPKS1_PKS3_PKPS1_EviT_T9_T10_S9_lSB_S9_lSA_T11_S9_li.private_seg_size, 0
	.set _ZL29rocblas_internal_gemmt_kernelIlLi16ELi32ELi8ELc78ELc78ELc85ELb0ELb0E19rocblas_complex_numIfEPKS1_PKS3_PKPS1_EviT_T9_T10_S9_lSB_S9_lSA_T11_S9_li.uses_vcc, 1
	.set _ZL29rocblas_internal_gemmt_kernelIlLi16ELi32ELi8ELc78ELc78ELc85ELb0ELb0E19rocblas_complex_numIfEPKS1_PKS3_PKPS1_EviT_T9_T10_S9_lSB_S9_lSA_T11_S9_li.uses_flat_scratch, 0
	.set _ZL29rocblas_internal_gemmt_kernelIlLi16ELi32ELi8ELc78ELc78ELc85ELb0ELb0E19rocblas_complex_numIfEPKS1_PKS3_PKPS1_EviT_T9_T10_S9_lSB_S9_lSA_T11_S9_li.has_dyn_sized_stack, 0
	.set _ZL29rocblas_internal_gemmt_kernelIlLi16ELi32ELi8ELc78ELc78ELc85ELb0ELb0E19rocblas_complex_numIfEPKS1_PKS3_PKPS1_EviT_T9_T10_S9_lSB_S9_lSA_T11_S9_li.has_recursion, 0
	.set _ZL29rocblas_internal_gemmt_kernelIlLi16ELi32ELi8ELc78ELc78ELc85ELb0ELb0E19rocblas_complex_numIfEPKS1_PKS3_PKPS1_EviT_T9_T10_S9_lSB_S9_lSA_T11_S9_li.has_indirect_call, 0
	.section	.AMDGPU.csdata,"",@progbits
; Kernel info:
; codeLenInByte = 3224
; TotalNumSgprs: 43
; NumVgprs: 72
; ScratchSize: 0
; MemoryBound: 0
; FloatMode: 240
; IeeeMode: 1
; LDSByteSize: 4096 bytes/workgroup (compile time only)
; SGPRBlocks: 0
; VGPRBlocks: 4
; NumSGPRsForWavesPerEU: 43
; NumVGPRsForWavesPerEU: 72
; NamedBarCnt: 0
; Occupancy: 12
; WaveLimiterHint : 1
; COMPUTE_PGM_RSRC2:SCRATCH_EN: 0
; COMPUTE_PGM_RSRC2:USER_SGPR: 2
; COMPUTE_PGM_RSRC2:TRAP_HANDLER: 0
; COMPUTE_PGM_RSRC2:TGID_X_EN: 1
; COMPUTE_PGM_RSRC2:TGID_Y_EN: 1
; COMPUTE_PGM_RSRC2:TGID_Z_EN: 1
; COMPUTE_PGM_RSRC2:TIDIG_COMP_CNT: 1
	.section	.text._ZL29rocblas_internal_gemmt_kernelIlLi16ELi32ELi8ELc78ELc84ELc85ELb0ELb0E19rocblas_complex_numIfEPKS1_PKS3_PKPS1_EviT_T9_T10_S9_lSB_S9_lSA_T11_S9_li,"axG",@progbits,_ZL29rocblas_internal_gemmt_kernelIlLi16ELi32ELi8ELc78ELc84ELc85ELb0ELb0E19rocblas_complex_numIfEPKS1_PKS3_PKPS1_EviT_T9_T10_S9_lSB_S9_lSA_T11_S9_li,comdat
	.globl	_ZL29rocblas_internal_gemmt_kernelIlLi16ELi32ELi8ELc78ELc84ELc85ELb0ELb0E19rocblas_complex_numIfEPKS1_PKS3_PKPS1_EviT_T9_T10_S9_lSB_S9_lSA_T11_S9_li ; -- Begin function _ZL29rocblas_internal_gemmt_kernelIlLi16ELi32ELi8ELc78ELc84ELc85ELb0ELb0E19rocblas_complex_numIfEPKS1_PKS3_PKPS1_EviT_T9_T10_S9_lSB_S9_lSA_T11_S9_li
	.p2align	8
	.type	_ZL29rocblas_internal_gemmt_kernelIlLi16ELi32ELi8ELc78ELc84ELc85ELb0ELb0E19rocblas_complex_numIfEPKS1_PKS3_PKPS1_EviT_T9_T10_S9_lSB_S9_lSA_T11_S9_li,@function
_ZL29rocblas_internal_gemmt_kernelIlLi16ELi32ELi8ELc78ELc84ELc85ELb0ELb0E19rocblas_complex_numIfEPKS1_PKS3_PKPS1_EviT_T9_T10_S9_lSB_S9_lSA_T11_S9_li: ; @_ZL29rocblas_internal_gemmt_kernelIlLi16ELi32ELi8ELc78ELc84ELc85ELb0ELb0E19rocblas_complex_numIfEPKS1_PKS3_PKPS1_EviT_T9_T10_S9_lSB_S9_lSA_T11_S9_li
; %bb.0:
	s_load_b256 s[24:31], s[0:1], 0x48
	s_wait_kmcnt 0x0
	s_load_b64 s[6:7], s[24:25], 0x0
	s_load_b512 s[8:23], s[0:1], 0x8
	s_wait_kmcnt 0x0
	s_cmp_neq_f32 s6, 1.0
	s_load_b64 s[24:25], s[10:11], 0x0
	s_cselect_b32 s2, -1, 0
	s_and_b32 s4, s7, 0x7fffffff
	s_delay_alu instid0(SALU_CYCLE_1) | instskip(SKIP_3) | instid1(SALU_CYCLE_1)
	s_cmp_eq_u32 s4, 0
	s_cselect_b32 s3, -1, 0
	s_cmp_lg_u32 s4, 0
	s_cselect_b32 s4, -1, 0
	s_or_b32 s2, s2, s4
	s_delay_alu instid0(SALU_CYCLE_1)
	s_and_b32 vcc_lo, exec_lo, s2
	s_cbranch_vccnz .LBB505_2
; %bb.1:
	s_cmp_lg_u64 s[8:9], 0
	s_cselect_b32 s2, -1, 0
	s_wait_kmcnt 0x0
	s_cmp_neq_f32 s24, 0
	s_cselect_b32 s4, -1, 0
	s_cmp_neq_f32 s25, 0
	s_cselect_b32 s5, -1, 0
	s_delay_alu instid0(SALU_CYCLE_1) | instskip(NEXT) | instid1(SALU_CYCLE_1)
	s_or_b32 s4, s4, s5
	s_and_b32 s2, s2, s4
.LBB505_2:
	s_delay_alu instid0(SALU_CYCLE_1)
	s_and_not1_b32 vcc_lo, exec_lo, s2
	s_cbranch_vccnz .LBB505_35
; %bb.3:
	s_load_b32 s33, s[0:1], 0x68
	s_bfe_u32 s2, ttmp6, 0x40014
	s_lshr_b32 s4, ttmp7, 16
	s_add_co_i32 s2, s2, 1
	s_wait_xcnt 0x0
	s_bfe_u32 s10, ttmp6, 0x40008
	s_mul_i32 s5, s4, s2
	s_getreg_b32 s2, hwreg(HW_REG_IB_STS2, 6, 4)
	s_add_co_i32 s10, s10, s5
	s_cmp_eq_u32 s2, 0
	s_mov_b32 s11, 0
	s_cselect_b32 s10, s4, s10
	s_wait_kmcnt 0x0
	s_cmp_ge_u32 s10, s33
	s_cbranch_scc1 .LBB505_35
; %bb.4:
	v_and_b32_e32 v9, 0x3ff, v0
	v_bfe_u32 v15, v0, 10, 10
	s_bfe_u32 s4, ttmp6, 0x4000c
	s_bfe_u32 s34, ttmp6, 0x40010
	s_add_co_i32 s4, s4, 1
	s_and_b32 s35, ttmp7, 0xffff
	s_add_co_i32 s34, s34, 1
	v_lshl_add_u32 v1, v15, 4, v9
	s_and_b32 s5, ttmp6, 15
	s_mul_i32 s4, ttmp9, s4
	s_mul_i32 s34, s35, s34
	s_bfe_u32 s36, ttmp6, 0x40004
	s_add_co_i32 s5, s5, s4
	s_add_co_i32 s36, s36, s34
	s_cmp_eq_u32 s2, 0
	v_dual_lshrrev_b32 v3, 3, v1 :: v_dual_bitop2_b32 v5, 31, v1 bitop3:0x40
	s_load_b32 s4, s[0:1], 0x0
	s_wait_xcnt 0x0
	s_cselect_b32 s0, ttmp9, s5
	s_cselect_b32 s1, s35, s36
	s_lshl_b32 s2, s0, 5
	s_lshl_b32 s0, s1, 5
	v_dual_lshrrev_b32 v2, 5, v1 :: v_dual_bitop2_b32 v0, 7, v0 bitop3:0x40
	v_dual_lshlrev_b32 v1, 3, v5 :: v_dual_add_nc_u32 v16, s0, v15
	v_dual_add_nc_u32 v6, s0, v3 :: v_dual_bitop2_b32 v4, s2, v5 bitop3:0x54
	s_cmp_neq_f32 s24, 0
	s_delay_alu instid0(VALU_DEP_2)
	v_dual_add_nc_u32 v8, s2, v9 :: v_dual_add_nc_u32 v18, 16, v16
	v_ashrrev_i32_e32 v17, 31, v16
	v_lshlrev_b32_e32 v5, 3, v0
	s_cselect_b32 s1, -1, 0
	s_cmp_neq_f32 s25, 0
	v_ashrrev_i32_e32 v19, 31, v18
	v_mul_u64_e32 v[10:11], s[28:29], v[16:17]
	v_lshl_or_b32 v3, v3, 6, v5
	v_ashrrev_i32_e32 v5, 31, v4
	s_cselect_b32 s5, -1, 0
	v_mul_u64_e32 v[12:13], s[28:29], v[18:19]
	s_or_b32 s39, s1, s5
	s_cmp_neq_f32 s6, 0
	s_wait_kmcnt 0x0
	v_cmp_gt_i32_e32 vcc_lo, s4, v16
	v_cmp_le_i32_e64 s2, v8, v16
	v_add_nc_u32_e32 v14, 16, v8
	v_cmp_gt_i64_e64 s40, s[8:9], 0
	s_cselect_b32 s5, -1, 0
	s_xor_b32 s3, s3, -1
	v_cmp_gt_i32_e64 s0, s4, v4
	v_cmp_gt_i32_e64 s1, s4, v6
	v_dual_ashrrev_i32 v7, 31, v6 :: v_dual_lshlrev_b32 v25, 3, v9
	s_or_b32 s34, s5, s3
	s_and_b32 s35, vcc_lo, s2
	v_cmp_gt_i32_e64 s3, s4, v18
	v_cmp_le_i32_e64 s4, v8, v18
	v_ashrrev_i32_e32 v9, 31, v8
	v_cmp_le_i32_e64 s2, v14, v16
	v_cmp_le_i32_e64 s5, v14, v18
	v_lshl_or_b32 v1, v2, 8, v1
	v_add_nc_u32_e32 v3, 0x800, v3
	v_lshl_add_u32 v27, v15, 6, 0x800
	v_dual_ashrrev_i32 v15, 31, v14 :: v_dual_mov_b32 v17, 0
	s_and_b32 s36, vcc_lo, s2
	s_and_b32 s37, s3, s4
	s_and_b32 s38, s3, s5
	s_mov_b32 s2, s6
	s_mov_b32 s3, s6
	;; [unrolled: 1-line block ×5, first 2 shown]
	s_and_b32 s39, s39, s40
	s_lshl_b64 s[22:23], s[22:23], 3
	s_lshl_b64 s[16:17], s[16:17], 3
	;; [unrolled: 1-line block ×3, first 2 shown]
	s_branch .LBB505_6
.LBB505_5:                              ;   in Loop: Header=BB505_6 Depth=1
	s_wait_xcnt 0x0
	s_or_b32 exec_lo, exec_lo, s30
	s_add_co_i32 s10, s10, 0x10000
	s_delay_alu instid0(SALU_CYCLE_1)
	s_cmp_lt_u32 s10, s33
	s_cbranch_scc0 .LBB505_35
.LBB505_6:                              ; =>This Loop Header: Depth=1
                                        ;     Child Loop BB505_9 Depth 2
	v_dual_mov_b32 v16, s10 :: v_dual_mov_b32 v36, v17
	v_dual_mov_b32 v38, v17 :: v_dual_mov_b32 v32, v17
	;; [unrolled: 1-line block ×3, first 2 shown]
	global_load_b64 v[18:19], v16, s[26:27] scale_offset
	v_dual_mov_b32 v30, v17 :: v_dual_mov_b32 v24, v17
	v_mov_b32_e32 v26, v17
	s_and_not1_b32 vcc_lo, exec_lo, s39
	s_cbranch_vccnz .LBB505_15
; %bb.7:                                ;   in Loop: Header=BB505_6 Depth=1
	s_lshl_b64 s[30:31], s[10:11], 3
	v_dual_mov_b32 v26, 0 :: v_dual_mov_b32 v24, 0
	s_add_nc_u64 s[40:41], s[12:13], s[30:31]
	s_add_nc_u64 s[30:31], s[18:19], s[30:31]
	s_clause 0x1
	global_load_b64 v[20:21], v17, s[40:41]
	global_load_b64 v[22:23], v17, s[30:31]
	v_dual_mov_b32 v30, 0 :: v_dual_mov_b32 v28, 0
	v_dual_mov_b32 v34, 0 :: v_dual_mov_b32 v32, 0
	;; [unrolled: 1-line block ×3, first 2 shown]
	s_wait_xcnt 0x0
	s_mov_b64 s[30:31], 0
	s_wait_loadcnt 0x1
	v_add_nc_u64_e32 v[20:21], s[16:17], v[20:21]
	s_wait_loadcnt 0x0
	v_add_nc_u64_e32 v[22:23], s[22:23], v[22:23]
	s_delay_alu instid0(VALU_DEP_2) | instskip(NEXT) | instid1(VALU_DEP_2)
	v_lshl_add_u64 v[20:21], v[4:5], 3, v[20:21]
	v_lshl_add_u64 v[22:23], v[6:7], 3, v[22:23]
	s_branch .LBB505_9
.LBB505_8:                              ;   in Loop: Header=BB505_9 Depth=2
	s_wait_xcnt 0x0
	s_or_b32 exec_lo, exec_lo, s40
	s_wait_loadcnt_dscnt 0x0
	ds_store_b64 v3, v[42:43]
	s_wait_dscnt 0x0
	s_barrier_signal -1
	s_barrier_wait -1
	ds_load_b128 v[40:43], v27
	ds_load_2addr_b64 v[44:47], v25 offset1:16
	ds_load_b128 v[48:51], v27 offset:1024
	ds_load_b128 v[52:55], v27 offset:16
	;; [unrolled: 1-line block ×4, first 2 shown]
	ds_load_2addr_b64 v[64:67], v25 offset0:32 offset1:48
	ds_load_b128 v[68:71], v27 offset:1040
	s_add_nc_u64 s[30:31], s[30:31], 8
	s_delay_alu instid0(SALU_CYCLE_1)
	v_cmp_gt_i64_e64 s40, s[8:9], s[30:31]
	s_and_b32 vcc_lo, exec_lo, s40
	s_wait_dscnt 0x6
	v_dual_mul_f32 v16, v41, v45 :: v_dual_mul_f32 v29, v40, v45
	v_dual_mul_f32 v31, v41, v47 :: v_dual_mul_f32 v33, v40, v47
	s_wait_dscnt 0x5
	v_dual_mul_f32 v35, v49, v45 :: v_dual_mul_f32 v37, v48, v45
	v_dual_mul_f32 v39, v49, v47 :: v_dual_mul_f32 v45, v48, v47
	v_dual_fma_f32 v16, v40, v44, -v16 :: v_dual_fmac_f32 v29, v41, v44
	v_dual_fma_f32 v31, v40, v46, -v31 :: v_dual_fmac_f32 v33, v41, v46
	s_delay_alu instid0(VALU_DEP_4) | instskip(NEXT) | instid1(VALU_DEP_3)
	v_dual_fma_f32 v35, v48, v44, -v35 :: v_dual_fmac_f32 v37, v49, v44
	v_dual_add_f32 v16, v36, v16 :: v_dual_add_f32 v36, v38, v29
	v_fma_f32 v29, v48, v46, -v39
	s_delay_alu instid0(VALU_DEP_4) | instskip(NEXT) | instid1(VALU_DEP_4)
	v_dual_add_f32 v32, v32, v31 :: v_dual_add_f32 v33, v34, v33
	v_dual_add_f32 v34, v28, v35 :: v_dual_add_f32 v35, v30, v37
	s_wait_dscnt 0x1
	v_dual_mul_f32 v37, v43, v65 :: v_dual_fmac_f32 v45, v49, v46
	v_add_f32_e32 v24, v24, v29
	ds_load_2addr_b64 v[28:31], v25 offset0:64 offset1:80
	v_dual_mul_f32 v38, v42, v65 :: v_dual_fma_f32 v37, v42, v64, -v37
	v_dual_mul_f32 v39, v43, v67 :: v_dual_add_f32 v26, v26, v45
	s_delay_alu instid0(VALU_DEP_2) | instskip(NEXT) | instid1(VALU_DEP_2)
	v_dual_mul_f32 v40, v42, v67 :: v_dual_fmac_f32 v38, v43, v64
	v_dual_add_f32 v16, v16, v37 :: v_dual_fma_f32 v37, v42, v66, -v39
	v_mul_f32_e32 v39, v51, v65
	s_delay_alu instid0(VALU_DEP_3) | instskip(NEXT) | instid1(VALU_DEP_4)
	v_fmac_f32_e32 v40, v43, v66
	v_dual_add_f32 v36, v36, v38 :: v_dual_mul_f32 v38, v50, v65
	s_delay_alu instid0(VALU_DEP_3) | instskip(NEXT) | instid1(VALU_DEP_3)
	v_dual_add_f32 v37, v32, v37 :: v_dual_fma_f32 v32, v50, v64, -v39
	v_dual_mul_f32 v39, v51, v67 :: v_dual_add_f32 v40, v33, v40
	s_delay_alu instid0(VALU_DEP_3) | instskip(SKIP_1) | instid1(VALU_DEP_3)
	v_dual_fmac_f32 v38, v51, v64 :: v_dual_mul_f32 v41, v50, v67
	s_wait_dscnt 0x0
	v_dual_add_f32 v42, v34, v32 :: v_dual_mul_f32 v33, v53, v29
	s_delay_alu instid0(VALU_DEP_3) | instskip(NEXT) | instid1(VALU_DEP_3)
	v_fma_f32 v32, v50, v66, -v39
	v_dual_add_f32 v38, v35, v38 :: v_dual_mul_f32 v39, v52, v29
	v_fmac_f32_e32 v41, v51, v66
	s_delay_alu instid0(VALU_DEP_4) | instskip(NEXT) | instid1(VALU_DEP_4)
	v_fma_f32 v43, v52, v28, -v33
	v_dual_add_f32 v24, v24, v32 :: v_dual_mul_f32 v44, v53, v31
	ds_load_2addr_b64 v[32:35], v25 offset0:96 offset1:112
	v_dual_fmac_f32 v39, v53, v28 :: v_dual_add_f32 v26, v26, v41
	v_add_f32_e32 v16, v16, v43
	v_dual_mul_f32 v41, v52, v31 :: v_dual_fma_f32 v43, v52, v30, -v44
	s_delay_alu instid0(VALU_DEP_3) | instskip(NEXT) | instid1(VALU_DEP_2)
	v_dual_add_f32 v36, v36, v39 :: v_dual_mul_f32 v39, v69, v29
	v_dual_mul_f32 v29, v68, v29 :: v_dual_fmac_f32 v41, v53, v30
	s_delay_alu instid0(VALU_DEP_3) | instskip(NEXT) | instid1(VALU_DEP_3)
	v_add_f32_e32 v37, v37, v43
	v_dual_mul_f32 v43, v69, v31 :: v_dual_fma_f32 v39, v68, v28, -v39
	s_delay_alu instid0(VALU_DEP_3) | instskip(NEXT) | instid1(VALU_DEP_4)
	v_dual_fmac_f32 v29, v69, v28 :: v_dual_mul_f32 v44, v68, v31
	v_add_f32_e32 v40, v40, v41
	s_delay_alu instid0(VALU_DEP_3) | instskip(NEXT) | instid1(VALU_DEP_3)
	v_dual_fma_f32 v28, v68, v30, -v43 :: v_dual_add_f32 v41, v42, v39
	v_dual_add_f32 v42, v38, v29 :: v_dual_fmac_f32 v44, v69, v30
	s_wait_dscnt 0x0
	s_delay_alu instid0(VALU_DEP_2) | instskip(SKIP_2) | instid1(VALU_DEP_1)
	v_dual_mul_f32 v38, v55, v33 :: v_dual_add_f32 v24, v24, v28
	ds_load_2addr_b64 v[28:31], v25 offset0:128 offset1:144
	v_dual_mul_f32 v39, v54, v33 :: v_dual_mul_f32 v43, v55, v35
	v_dual_fma_f32 v38, v54, v32, -v38 :: v_dual_fmac_f32 v39, v55, v32
	s_delay_alu instid0(VALU_DEP_1) | instskip(NEXT) | instid1(VALU_DEP_3)
	v_dual_add_f32 v26, v26, v44 :: v_dual_add_f32 v16, v16, v38
	v_dual_mul_f32 v44, v54, v35 :: v_dual_fma_f32 v43, v54, v34, -v43
	s_delay_alu instid0(VALU_DEP_3) | instskip(NEXT) | instid1(VALU_DEP_2)
	v_dual_mul_f32 v38, v71, v33 :: v_dual_add_f32 v45, v36, v39
	v_dual_mul_f32 v33, v70, v33 :: v_dual_fmac_f32 v44, v55, v34
	s_delay_alu instid0(VALU_DEP_2)
	v_dual_add_f32 v46, v37, v43 :: v_dual_fma_f32 v43, v70, v32, -v38
	v_mul_f32_e32 v47, v71, v35
	ds_load_b128 v[36:39], v27 offset:1056
	v_add_f32_e32 v44, v40, v44
	v_dual_fmac_f32 v33, v71, v32 :: v_dual_mul_f32 v40, v70, v35
	v_dual_fma_f32 v32, v70, v34, -v47 :: v_dual_add_f32 v47, v41, v43
	s_wait_dscnt 0x1
	v_mul_f32_e32 v35, v57, v29
	s_delay_alu instid0(VALU_DEP_3) | instskip(NEXT) | instid1(VALU_DEP_3)
	v_dual_add_f32 v48, v42, v33 :: v_dual_fmac_f32 v40, v71, v34
	v_add_f32_e32 v24, v24, v32
	s_delay_alu instid0(VALU_DEP_3) | instskip(NEXT) | instid1(VALU_DEP_3)
	v_dual_mul_f32 v49, v56, v29 :: v_dual_fma_f32 v41, v56, v28, -v35
	v_dual_mul_f32 v42, v57, v31 :: v_dual_add_f32 v26, v26, v40
	ds_load_2addr_b64 v[32:35], v25 offset0:160 offset1:176
	v_dual_fmac_f32 v49, v57, v28 :: v_dual_add_f32 v16, v16, v41
	v_dual_fma_f32 v50, v56, v30, -v42 :: v_dual_mul_f32 v51, v56, v31
	ds_load_b128 v[40:43], v27 offset:1072
	s_wait_dscnt 0x2
	v_dual_mul_f32 v52, v37, v29 :: v_dual_mul_f32 v29, v36, v29
	v_dual_add_f32 v45, v45, v49 :: v_dual_add_f32 v46, v46, v50
	s_delay_alu instid0(VALU_DEP_2) | instskip(NEXT) | instid1(VALU_DEP_3)
	v_dual_fmac_f32 v51, v57, v30 :: v_dual_fma_f32 v49, v36, v28, -v52
	v_dual_mul_f32 v50, v37, v31 :: v_dual_fmac_f32 v29, v37, v28
	s_delay_alu instid0(VALU_DEP_2) | instskip(NEXT) | instid1(VALU_DEP_2)
	v_dual_add_f32 v44, v44, v51 :: v_dual_add_f32 v47, v47, v49
	v_dual_mul_f32 v51, v36, v31 :: v_dual_fma_f32 v28, v36, v30, -v50
	s_delay_alu instid0(VALU_DEP_3) | instskip(SKIP_2) | instid1(VALU_DEP_3)
	v_add_f32_e32 v36, v48, v29
	s_wait_dscnt 0x1
	v_dual_mul_f32 v48, v59, v33 :: v_dual_mul_f32 v49, v59, v35
	v_dual_fmac_f32 v51, v37, v30 :: v_dual_add_f32 v24, v24, v28
	ds_load_2addr_b64 v[28:31], v25 offset0:192 offset1:208
	v_dual_mul_f32 v37, v58, v33 :: v_dual_fma_f32 v48, v58, v32, -v48
	s_delay_alu instid0(VALU_DEP_1) | instskip(NEXT) | instid1(VALU_DEP_2)
	v_dual_mul_f32 v50, v58, v35 :: v_dual_fmac_f32 v37, v59, v32
	v_dual_add_f32 v26, v26, v51 :: v_dual_add_f32 v16, v16, v48
	s_delay_alu instid0(VALU_DEP_2) | instskip(NEXT) | instid1(VALU_DEP_3)
	v_dual_fma_f32 v48, v58, v34, -v49 :: v_dual_fmac_f32 v50, v59, v34
	v_add_f32_e32 v37, v45, v37
	v_dual_mul_f32 v45, v39, v33 :: v_dual_mul_f32 v33, v38, v33
	s_delay_alu instid0(VALU_DEP_3) | instskip(NEXT) | instid1(VALU_DEP_2)
	v_dual_add_f32 v48, v46, v48 :: v_dual_mul_f32 v46, v39, v35
	v_dual_add_f32 v49, v44, v50 :: v_dual_fma_f32 v45, v38, v32, -v45
	s_delay_alu instid0(VALU_DEP_3) | instskip(SKIP_1) | instid1(VALU_DEP_3)
	v_dual_fmac_f32 v33, v39, v32 :: v_dual_mul_f32 v32, v38, v35
	s_wait_dscnt 0x0
	v_dual_fma_f32 v35, v38, v34, -v46 :: v_dual_mul_f32 v44, v61, v29
	s_delay_alu instid0(VALU_DEP_3) | instskip(NEXT) | instid1(VALU_DEP_3)
	v_add_f32_e32 v38, v47, v45
	v_dual_fmac_f32 v32, v39, v34 :: v_dual_mul_f32 v34, v60, v29
	s_delay_alu instid0(VALU_DEP_3) | instskip(NEXT) | instid1(VALU_DEP_4)
	v_add_f32_e32 v24, v24, v35
	v_fma_f32 v35, v60, v28, -v44
	ds_load_2addr_b64 v[44:47], v25 offset0:224 offset1:240
	v_dual_add_f32 v33, v36, v33 :: v_dual_add_f32 v26, v26, v32
	v_dual_mul_f32 v32, v61, v31 :: v_dual_fmac_f32 v34, v61, v28
	v_dual_add_f32 v16, v16, v35 :: v_dual_mul_f32 v36, v41, v29
	s_delay_alu instid0(VALU_DEP_2) | instskip(NEXT) | instid1(VALU_DEP_3)
	v_dual_mul_f32 v35, v60, v31 :: v_dual_fma_f32 v32, v60, v30, -v32
	v_dual_mul_f32 v29, v40, v29 :: v_dual_add_f32 v34, v37, v34
	s_delay_alu instid0(VALU_DEP_2) | instskip(NEXT) | instid1(VALU_DEP_3)
	v_dual_fma_f32 v36, v40, v28, -v36 :: v_dual_fmac_f32 v35, v61, v30
	v_add_f32_e32 v32, v48, v32
	s_delay_alu instid0(VALU_DEP_3) | instskip(SKIP_1) | instid1(VALU_DEP_4)
	v_dual_fmac_f32 v29, v41, v28 :: v_dual_mul_f32 v28, v41, v31
	v_mul_f32_e32 v31, v40, v31
	v_dual_add_f32 v35, v49, v35 :: v_dual_add_f32 v37, v38, v36
	s_delay_alu instid0(VALU_DEP_3) | instskip(SKIP_3) | instid1(VALU_DEP_3)
	v_dual_add_f32 v29, v33, v29 :: v_dual_fma_f32 v28, v40, v30, -v28
	s_wait_dscnt 0x0
	v_dual_mul_f32 v33, v63, v45 :: v_dual_mul_f32 v38, v62, v45
	v_dual_fmac_f32 v31, v41, v30 :: v_dual_mul_f32 v30, v63, v47
	v_add_f32_e32 v24, v24, v28
	s_delay_alu instid0(VALU_DEP_3) | instskip(NEXT) | instid1(VALU_DEP_3)
	v_dual_fma_f32 v28, v62, v44, -v33 :: v_dual_fmac_f32 v38, v63, v44
	v_dual_mul_f32 v33, v62, v47 :: v_dual_fma_f32 v30, v62, v46, -v30
	s_delay_alu instid0(VALU_DEP_2) | instskip(NEXT) | instid1(VALU_DEP_3)
	v_dual_add_f32 v26, v26, v31 :: v_dual_add_f32 v36, v16, v28
	v_dual_add_f32 v38, v34, v38 :: v_dual_mul_f32 v16, v43, v45
	s_delay_alu instid0(VALU_DEP_3) | instskip(NEXT) | instid1(VALU_DEP_4)
	v_fmac_f32_e32 v33, v63, v46
	v_dual_add_f32 v32, v32, v30 :: v_dual_mul_f32 v28, v43, v47
	v_dual_mul_f32 v30, v42, v45 :: v_dual_mul_f32 v31, v42, v47
	s_delay_alu instid0(VALU_DEP_3) | instskip(NEXT) | instid1(VALU_DEP_2)
	v_dual_add_f32 v34, v35, v33 :: v_dual_fma_f32 v16, v42, v44, -v16
	v_dual_fma_f32 v33, v42, v46, -v28 :: v_dual_fmac_f32 v30, v43, v44
	s_delay_alu instid0(VALU_DEP_3) | instskip(NEXT) | instid1(VALU_DEP_2)
	v_fmac_f32_e32 v31, v43, v46
	v_dual_add_f32 v28, v37, v16 :: v_dual_add_f32 v24, v24, v33
	s_delay_alu instid0(VALU_DEP_2)
	v_dual_add_f32 v30, v29, v30 :: v_dual_add_f32 v26, v26, v31
	s_barrier_signal -1
	s_barrier_wait -1
	s_cbranch_vccz .LBB505_15
.LBB505_9:                              ;   Parent Loop BB505_6 Depth=1
                                        ; =>  This Inner Loop Header: Depth=2
	v_dual_mov_b32 v40, 0 :: v_dual_mov_b32 v41, 0
	s_and_saveexec_b32 s40, s0
	s_cbranch_execz .LBB505_13
; %bb.10:                               ;   in Loop: Header=BB505_9 Depth=2
	v_dual_mov_b32 v41, 0 :: v_dual_add_nc_u32 v16, s30, v2
	v_mov_b32_e32 v40, 0
	s_mov_b32 s41, exec_lo
	s_delay_alu instid0(VALU_DEP_2)
	v_cmpx_gt_u64_e64 s[8:9], v[16:17]
	s_cbranch_execz .LBB505_12
; %bb.11:                               ;   in Loop: Header=BB505_9 Depth=2
	v_mul_u64_e32 v[40:41], s[14:15], v[16:17]
	s_delay_alu instid0(VALU_DEP_1)
	v_lshl_add_u64 v[40:41], v[40:41], 3, v[20:21]
	flat_load_b64 v[40:41], v[40:41]
.LBB505_12:                             ;   in Loop: Header=BB505_9 Depth=2
	s_wait_xcnt 0x0
	s_or_b32 exec_lo, exec_lo, s41
.LBB505_13:                             ;   in Loop: Header=BB505_9 Depth=2
	s_delay_alu instid0(SALU_CYCLE_1)
	s_or_b32 exec_lo, exec_lo, s40
	v_dual_add_nc_u32 v16, s30, v0 :: v_dual_mov_b32 v42, 0
	v_mov_b32_e32 v43, 0
	s_wait_loadcnt_dscnt 0x0
	ds_store_b64 v1, v[40:41]
	v_cmp_gt_u64_e32 vcc_lo, s[8:9], v[16:17]
	s_and_b32 s41, vcc_lo, s1
	s_delay_alu instid0(SALU_CYCLE_1)
	s_and_saveexec_b32 s40, s41
	s_cbranch_execz .LBB505_8
; %bb.14:                               ;   in Loop: Header=BB505_9 Depth=2
	v_mul_u64_e32 v[40:41], s[20:21], v[16:17]
	s_delay_alu instid0(VALU_DEP_1)
	v_lshl_add_u64 v[40:41], v[40:41], 3, v[22:23]
	flat_load_b64 v[42:43], v[40:41]
	s_branch .LBB505_8
.LBB505_15:                             ;   in Loop: Header=BB505_6 Depth=1
	s_wait_loadcnt 0x0
	v_add_nc_u64_e32 v[18:19], s[28:29], v[18:19]
	s_delay_alu instid0(VALU_DEP_1)
	v_lshl_add_u64 v[20:21], v[10:11], 3, v[18:19]
	s_wait_xcnt 0x0
	s_and_saveexec_b32 s30, s35
	s_cbranch_execz .LBB505_20
; %bb.16:                               ;   in Loop: Header=BB505_6 Depth=1
	v_mov_b64_e32 v[22:23], s[4:5]
	v_mov_b64_e32 v[40:41], s[24:25]
	s_and_b32 vcc_lo, exec_lo, s34
	s_mov_b32 s31, -1
	s_delay_alu instid0(VALU_DEP_2) | instskip(NEXT) | instid1(VALU_DEP_1)
	v_pk_mul_f32 v[22:23], v[38:39], v[22:23] op_sel_hi:[0,1]
	v_pk_fma_f32 v[38:39], v[36:37], v[40:41], v[22:23] op_sel_hi:[0,1,1]
	v_pk_fma_f32 v[22:23], v[36:37], v[40:41], v[22:23] neg_lo:[0,0,1] neg_hi:[0,0,1]
	v_lshl_add_u64 v[36:37], v[8:9], 3, v[20:21]
	s_delay_alu instid0(VALU_DEP_3)
	v_mov_b32_e32 v23, v39
	s_cbranch_vccz .LBB505_18
; %bb.17:                               ;   in Loop: Header=BB505_6 Depth=1
	flat_load_b64 v[38:39], v[36:37]
	v_mov_b64_e32 v[40:41], s[6:7]
	v_mov_b64_e32 v[42:43], s[2:3]
	s_mov_b32 s31, 0
	s_wait_loadcnt_dscnt 0x0
	s_delay_alu instid0(VALU_DEP_2) | instskip(NEXT) | instid1(VALU_DEP_1)
	v_pk_mul_f32 v[40:41], v[38:39], v[40:41]
	v_pk_fma_f32 v[44:45], v[38:39], v[42:43], v[40:41] op_sel:[0,0,1] op_sel_hi:[1,1,0]
	v_pk_fma_f32 v[38:39], v[38:39], v[42:43], v[40:41] op_sel:[0,0,1] op_sel_hi:[1,1,0] neg_lo:[0,0,1] neg_hi:[0,0,1]
	s_delay_alu instid0(VALU_DEP_2) | instskip(NEXT) | instid1(VALU_DEP_1)
	v_mov_b32_e32 v39, v45
	v_pk_add_f32 v[38:39], v[22:23], v[38:39]
	flat_store_b64 v[36:37], v[38:39]
.LBB505_18:                             ;   in Loop: Header=BB505_6 Depth=1
	s_and_not1_b32 vcc_lo, exec_lo, s31
	s_cbranch_vccnz .LBB505_20
; %bb.19:                               ;   in Loop: Header=BB505_6 Depth=1
	flat_store_b64 v[36:37], v[22:23]
.LBB505_20:                             ;   in Loop: Header=BB505_6 Depth=1
	s_wait_xcnt 0x0
	s_or_b32 exec_lo, exec_lo, s30
	s_and_saveexec_b32 s30, s36
	s_cbranch_execz .LBB505_25
; %bb.21:                               ;   in Loop: Header=BB505_6 Depth=1
	v_mov_b64_e32 v[22:23], s[4:5]
	v_mov_b64_e32 v[36:37], s[24:25]
	v_lshl_add_u64 v[20:21], v[14:15], 3, v[20:21]
	s_and_not1_b32 vcc_lo, exec_lo, s34
	s_mov_b32 s31, -1
	s_delay_alu instid0(VALU_DEP_3) | instskip(NEXT) | instid1(VALU_DEP_1)
	v_pk_mul_f32 v[22:23], v[34:35], v[22:23] op_sel_hi:[0,1]
	v_pk_fma_f32 v[34:35], v[32:33], v[36:37], v[22:23] op_sel_hi:[0,1,1]
	v_pk_fma_f32 v[22:23], v[32:33], v[36:37], v[22:23] neg_lo:[0,0,1] neg_hi:[0,0,1]
	s_delay_alu instid0(VALU_DEP_2)
	v_mov_b32_e32 v23, v35
	s_cbranch_vccnz .LBB505_23
; %bb.22:                               ;   in Loop: Header=BB505_6 Depth=1
	flat_load_b64 v[32:33], v[20:21]
	v_mov_b64_e32 v[34:35], s[6:7]
	v_mov_b64_e32 v[36:37], s[2:3]
	s_mov_b32 s31, 0
	s_wait_loadcnt_dscnt 0x0
	s_delay_alu instid0(VALU_DEP_2) | instskip(NEXT) | instid1(VALU_DEP_1)
	v_pk_mul_f32 v[34:35], v[32:33], v[34:35]
	v_pk_fma_f32 v[38:39], v[32:33], v[36:37], v[34:35] op_sel:[0,0,1] op_sel_hi:[1,1,0]
	v_pk_fma_f32 v[32:33], v[32:33], v[36:37], v[34:35] op_sel:[0,0,1] op_sel_hi:[1,1,0] neg_lo:[0,0,1] neg_hi:[0,0,1]
	s_delay_alu instid0(VALU_DEP_2) | instskip(NEXT) | instid1(VALU_DEP_1)
	v_mov_b32_e32 v33, v39
	v_pk_add_f32 v[32:33], v[22:23], v[32:33]
	flat_store_b64 v[20:21], v[32:33]
.LBB505_23:                             ;   in Loop: Header=BB505_6 Depth=1
	s_and_not1_b32 vcc_lo, exec_lo, s31
	s_cbranch_vccnz .LBB505_25
; %bb.24:                               ;   in Loop: Header=BB505_6 Depth=1
	flat_store_b64 v[20:21], v[22:23]
.LBB505_25:                             ;   in Loop: Header=BB505_6 Depth=1
	s_wait_xcnt 0x0
	s_or_b32 exec_lo, exec_lo, s30
	v_lshl_add_u64 v[18:19], v[12:13], 3, v[18:19]
	s_and_saveexec_b32 s30, s37
	s_cbranch_execz .LBB505_30
; %bb.26:                               ;   in Loop: Header=BB505_6 Depth=1
	v_mov_b64_e32 v[20:21], s[4:5]
	v_mov_b64_e32 v[22:23], s[24:25]
	s_and_not1_b32 vcc_lo, exec_lo, s34
	s_mov_b32 s31, -1
	s_delay_alu instid0(VALU_DEP_2) | instskip(NEXT) | instid1(VALU_DEP_1)
	v_pk_mul_f32 v[20:21], v[30:31], v[20:21] op_sel_hi:[0,1]
	v_pk_fma_f32 v[30:31], v[28:29], v[22:23], v[20:21] op_sel_hi:[0,1,1]
	v_pk_fma_f32 v[20:21], v[28:29], v[22:23], v[20:21] neg_lo:[0,0,1] neg_hi:[0,0,1]
	v_lshl_add_u64 v[22:23], v[8:9], 3, v[18:19]
	s_delay_alu instid0(VALU_DEP_3)
	v_mov_b32_e32 v21, v31
	s_cbranch_vccnz .LBB505_28
; %bb.27:                               ;   in Loop: Header=BB505_6 Depth=1
	flat_load_b64 v[28:29], v[22:23]
	v_mov_b64_e32 v[30:31], s[6:7]
	v_mov_b64_e32 v[32:33], s[2:3]
	s_mov_b32 s31, 0
	s_wait_loadcnt_dscnt 0x0
	s_delay_alu instid0(VALU_DEP_2) | instskip(NEXT) | instid1(VALU_DEP_1)
	v_pk_mul_f32 v[30:31], v[28:29], v[30:31]
	v_pk_fma_f32 v[34:35], v[28:29], v[32:33], v[30:31] op_sel:[0,0,1] op_sel_hi:[1,1,0]
	v_pk_fma_f32 v[28:29], v[28:29], v[32:33], v[30:31] op_sel:[0,0,1] op_sel_hi:[1,1,0] neg_lo:[0,0,1] neg_hi:[0,0,1]
	s_delay_alu instid0(VALU_DEP_2) | instskip(NEXT) | instid1(VALU_DEP_1)
	v_mov_b32_e32 v29, v35
	v_pk_add_f32 v[28:29], v[20:21], v[28:29]
	flat_store_b64 v[22:23], v[28:29]
.LBB505_28:                             ;   in Loop: Header=BB505_6 Depth=1
	s_and_not1_b32 vcc_lo, exec_lo, s31
	s_cbranch_vccnz .LBB505_30
; %bb.29:                               ;   in Loop: Header=BB505_6 Depth=1
	flat_store_b64 v[22:23], v[20:21]
.LBB505_30:                             ;   in Loop: Header=BB505_6 Depth=1
	s_wait_xcnt 0x0
	s_or_b32 exec_lo, exec_lo, s30
	s_and_saveexec_b32 s30, s38
	s_cbranch_execz .LBB505_5
; %bb.31:                               ;   in Loop: Header=BB505_6 Depth=1
	v_mov_b64_e32 v[20:21], s[4:5]
	v_mov_b64_e32 v[22:23], s[24:25]
	v_lshl_add_u64 v[18:19], v[14:15], 3, v[18:19]
	s_and_not1_b32 vcc_lo, exec_lo, s34
	s_mov_b32 s31, -1
	s_delay_alu instid0(VALU_DEP_3) | instskip(NEXT) | instid1(VALU_DEP_1)
	v_pk_mul_f32 v[20:21], v[26:27], v[20:21] op_sel_hi:[0,1]
	v_pk_fma_f32 v[28:29], v[24:25], v[22:23], v[20:21] op_sel_hi:[0,1,1]
	v_pk_fma_f32 v[20:21], v[24:25], v[22:23], v[20:21] neg_lo:[0,0,1] neg_hi:[0,0,1]
	s_delay_alu instid0(VALU_DEP_2)
	v_mov_b32_e32 v21, v29
	s_cbranch_vccnz .LBB505_33
; %bb.32:                               ;   in Loop: Header=BB505_6 Depth=1
	flat_load_b64 v[22:23], v[18:19]
	v_mov_b64_e32 v[28:29], s[6:7]
	v_mov_b64_e32 v[30:31], s[2:3]
	s_mov_b32 s31, 0
	s_wait_loadcnt_dscnt 0x0
	s_delay_alu instid0(VALU_DEP_2) | instskip(NEXT) | instid1(VALU_DEP_1)
	v_pk_mul_f32 v[28:29], v[22:23], v[28:29]
	v_pk_fma_f32 v[32:33], v[22:23], v[30:31], v[28:29] op_sel:[0,0,1] op_sel_hi:[1,1,0]
	v_pk_fma_f32 v[22:23], v[22:23], v[30:31], v[28:29] op_sel:[0,0,1] op_sel_hi:[1,1,0] neg_lo:[0,0,1] neg_hi:[0,0,1]
	s_delay_alu instid0(VALU_DEP_2) | instskip(NEXT) | instid1(VALU_DEP_1)
	v_mov_b32_e32 v23, v33
	v_pk_add_f32 v[22:23], v[20:21], v[22:23]
	flat_store_b64 v[18:19], v[22:23]
.LBB505_33:                             ;   in Loop: Header=BB505_6 Depth=1
	s_and_not1_b32 vcc_lo, exec_lo, s31
	s_cbranch_vccnz .LBB505_5
; %bb.34:                               ;   in Loop: Header=BB505_6 Depth=1
	flat_store_b64 v[18:19], v[20:21]
	s_branch .LBB505_5
.LBB505_35:
	s_sendmsg sendmsg(MSG_DEALLOC_VGPRS)
	s_endpgm
	.section	.rodata,"a",@progbits
	.p2align	6, 0x0
	.amdhsa_kernel _ZL29rocblas_internal_gemmt_kernelIlLi16ELi32ELi8ELc78ELc84ELc85ELb0ELb0E19rocblas_complex_numIfEPKS1_PKS3_PKPS1_EviT_T9_T10_S9_lSB_S9_lSA_T11_S9_li
		.amdhsa_group_segment_fixed_size 4096
		.amdhsa_private_segment_fixed_size 0
		.amdhsa_kernarg_size 108
		.amdhsa_user_sgpr_count 2
		.amdhsa_user_sgpr_dispatch_ptr 0
		.amdhsa_user_sgpr_queue_ptr 0
		.amdhsa_user_sgpr_kernarg_segment_ptr 1
		.amdhsa_user_sgpr_dispatch_id 0
		.amdhsa_user_sgpr_kernarg_preload_length 0
		.amdhsa_user_sgpr_kernarg_preload_offset 0
		.amdhsa_user_sgpr_private_segment_size 0
		.amdhsa_wavefront_size32 1
		.amdhsa_uses_dynamic_stack 0
		.amdhsa_enable_private_segment 0
		.amdhsa_system_sgpr_workgroup_id_x 1
		.amdhsa_system_sgpr_workgroup_id_y 1
		.amdhsa_system_sgpr_workgroup_id_z 1
		.amdhsa_system_sgpr_workgroup_info 0
		.amdhsa_system_vgpr_workitem_id 1
		.amdhsa_next_free_vgpr 72
		.amdhsa_next_free_sgpr 42
		.amdhsa_named_barrier_count 0
		.amdhsa_reserve_vcc 1
		.amdhsa_float_round_mode_32 0
		.amdhsa_float_round_mode_16_64 0
		.amdhsa_float_denorm_mode_32 3
		.amdhsa_float_denorm_mode_16_64 3
		.amdhsa_fp16_overflow 0
		.amdhsa_memory_ordered 1
		.amdhsa_forward_progress 1
		.amdhsa_inst_pref_size 26
		.amdhsa_round_robin_scheduling 0
		.amdhsa_exception_fp_ieee_invalid_op 0
		.amdhsa_exception_fp_denorm_src 0
		.amdhsa_exception_fp_ieee_div_zero 0
		.amdhsa_exception_fp_ieee_overflow 0
		.amdhsa_exception_fp_ieee_underflow 0
		.amdhsa_exception_fp_ieee_inexact 0
		.amdhsa_exception_int_div_zero 0
	.end_amdhsa_kernel
	.section	.text._ZL29rocblas_internal_gemmt_kernelIlLi16ELi32ELi8ELc78ELc84ELc85ELb0ELb0E19rocblas_complex_numIfEPKS1_PKS3_PKPS1_EviT_T9_T10_S9_lSB_S9_lSA_T11_S9_li,"axG",@progbits,_ZL29rocblas_internal_gemmt_kernelIlLi16ELi32ELi8ELc78ELc84ELc85ELb0ELb0E19rocblas_complex_numIfEPKS1_PKS3_PKPS1_EviT_T9_T10_S9_lSB_S9_lSA_T11_S9_li,comdat
.Lfunc_end505:
	.size	_ZL29rocblas_internal_gemmt_kernelIlLi16ELi32ELi8ELc78ELc84ELc85ELb0ELb0E19rocblas_complex_numIfEPKS1_PKS3_PKPS1_EviT_T9_T10_S9_lSB_S9_lSA_T11_S9_li, .Lfunc_end505-_ZL29rocblas_internal_gemmt_kernelIlLi16ELi32ELi8ELc78ELc84ELc85ELb0ELb0E19rocblas_complex_numIfEPKS1_PKS3_PKPS1_EviT_T9_T10_S9_lSB_S9_lSA_T11_S9_li
                                        ; -- End function
	.set _ZL29rocblas_internal_gemmt_kernelIlLi16ELi32ELi8ELc78ELc84ELc85ELb0ELb0E19rocblas_complex_numIfEPKS1_PKS3_PKPS1_EviT_T9_T10_S9_lSB_S9_lSA_T11_S9_li.num_vgpr, 72
	.set _ZL29rocblas_internal_gemmt_kernelIlLi16ELi32ELi8ELc78ELc84ELc85ELb0ELb0E19rocblas_complex_numIfEPKS1_PKS3_PKPS1_EviT_T9_T10_S9_lSB_S9_lSA_T11_S9_li.num_agpr, 0
	.set _ZL29rocblas_internal_gemmt_kernelIlLi16ELi32ELi8ELc78ELc84ELc85ELb0ELb0E19rocblas_complex_numIfEPKS1_PKS3_PKPS1_EviT_T9_T10_S9_lSB_S9_lSA_T11_S9_li.numbered_sgpr, 42
	.set _ZL29rocblas_internal_gemmt_kernelIlLi16ELi32ELi8ELc78ELc84ELc85ELb0ELb0E19rocblas_complex_numIfEPKS1_PKS3_PKPS1_EviT_T9_T10_S9_lSB_S9_lSA_T11_S9_li.num_named_barrier, 0
	.set _ZL29rocblas_internal_gemmt_kernelIlLi16ELi32ELi8ELc78ELc84ELc85ELb0ELb0E19rocblas_complex_numIfEPKS1_PKS3_PKPS1_EviT_T9_T10_S9_lSB_S9_lSA_T11_S9_li.private_seg_size, 0
	.set _ZL29rocblas_internal_gemmt_kernelIlLi16ELi32ELi8ELc78ELc84ELc85ELb0ELb0E19rocblas_complex_numIfEPKS1_PKS3_PKPS1_EviT_T9_T10_S9_lSB_S9_lSA_T11_S9_li.uses_vcc, 1
	.set _ZL29rocblas_internal_gemmt_kernelIlLi16ELi32ELi8ELc78ELc84ELc85ELb0ELb0E19rocblas_complex_numIfEPKS1_PKS3_PKPS1_EviT_T9_T10_S9_lSB_S9_lSA_T11_S9_li.uses_flat_scratch, 0
	.set _ZL29rocblas_internal_gemmt_kernelIlLi16ELi32ELi8ELc78ELc84ELc85ELb0ELb0E19rocblas_complex_numIfEPKS1_PKS3_PKPS1_EviT_T9_T10_S9_lSB_S9_lSA_T11_S9_li.has_dyn_sized_stack, 0
	.set _ZL29rocblas_internal_gemmt_kernelIlLi16ELi32ELi8ELc78ELc84ELc85ELb0ELb0E19rocblas_complex_numIfEPKS1_PKS3_PKPS1_EviT_T9_T10_S9_lSB_S9_lSA_T11_S9_li.has_recursion, 0
	.set _ZL29rocblas_internal_gemmt_kernelIlLi16ELi32ELi8ELc78ELc84ELc85ELb0ELb0E19rocblas_complex_numIfEPKS1_PKS3_PKPS1_EviT_T9_T10_S9_lSB_S9_lSA_T11_S9_li.has_indirect_call, 0
	.section	.AMDGPU.csdata,"",@progbits
; Kernel info:
; codeLenInByte = 3216
; TotalNumSgprs: 44
; NumVgprs: 72
; ScratchSize: 0
; MemoryBound: 0
; FloatMode: 240
; IeeeMode: 1
; LDSByteSize: 4096 bytes/workgroup (compile time only)
; SGPRBlocks: 0
; VGPRBlocks: 4
; NumSGPRsForWavesPerEU: 44
; NumVGPRsForWavesPerEU: 72
; NamedBarCnt: 0
; Occupancy: 12
; WaveLimiterHint : 1
; COMPUTE_PGM_RSRC2:SCRATCH_EN: 0
; COMPUTE_PGM_RSRC2:USER_SGPR: 2
; COMPUTE_PGM_RSRC2:TRAP_HANDLER: 0
; COMPUTE_PGM_RSRC2:TGID_X_EN: 1
; COMPUTE_PGM_RSRC2:TGID_Y_EN: 1
; COMPUTE_PGM_RSRC2:TGID_Z_EN: 1
; COMPUTE_PGM_RSRC2:TIDIG_COMP_CNT: 1
	.section	.text._ZL29rocblas_internal_gemmt_kernelIlLi16ELi32ELi8ELc78ELc67ELc85ELb0ELb1E19rocblas_complex_numIfEPKS1_PKS3_PKPS1_EviT_T9_T10_S9_lSB_S9_lSA_T11_S9_li,"axG",@progbits,_ZL29rocblas_internal_gemmt_kernelIlLi16ELi32ELi8ELc78ELc67ELc85ELb0ELb1E19rocblas_complex_numIfEPKS1_PKS3_PKPS1_EviT_T9_T10_S9_lSB_S9_lSA_T11_S9_li,comdat
	.globl	_ZL29rocblas_internal_gemmt_kernelIlLi16ELi32ELi8ELc78ELc67ELc85ELb0ELb1E19rocblas_complex_numIfEPKS1_PKS3_PKPS1_EviT_T9_T10_S9_lSB_S9_lSA_T11_S9_li ; -- Begin function _ZL29rocblas_internal_gemmt_kernelIlLi16ELi32ELi8ELc78ELc67ELc85ELb0ELb1E19rocblas_complex_numIfEPKS1_PKS3_PKPS1_EviT_T9_T10_S9_lSB_S9_lSA_T11_S9_li
	.p2align	8
	.type	_ZL29rocblas_internal_gemmt_kernelIlLi16ELi32ELi8ELc78ELc67ELc85ELb0ELb1E19rocblas_complex_numIfEPKS1_PKS3_PKPS1_EviT_T9_T10_S9_lSB_S9_lSA_T11_S9_li,@function
_ZL29rocblas_internal_gemmt_kernelIlLi16ELi32ELi8ELc78ELc67ELc85ELb0ELb1E19rocblas_complex_numIfEPKS1_PKS3_PKPS1_EviT_T9_T10_S9_lSB_S9_lSA_T11_S9_li: ; @_ZL29rocblas_internal_gemmt_kernelIlLi16ELi32ELi8ELc78ELc67ELc85ELb0ELb1E19rocblas_complex_numIfEPKS1_PKS3_PKPS1_EviT_T9_T10_S9_lSB_S9_lSA_T11_S9_li
; %bb.0:
	s_load_b256 s[24:31], s[0:1], 0x48
	s_wait_kmcnt 0x0
	s_load_b64 s[6:7], s[24:25], 0x0
	s_load_b512 s[8:23], s[0:1], 0x8
	s_wait_kmcnt 0x0
	s_cmp_neq_f32 s6, 1.0
	s_load_b64 s[24:25], s[10:11], 0x0
	s_cselect_b32 s2, -1, 0
	s_and_b32 s4, s7, 0x7fffffff
	s_delay_alu instid0(SALU_CYCLE_1) | instskip(SKIP_3) | instid1(SALU_CYCLE_1)
	s_cmp_eq_u32 s4, 0
	s_cselect_b32 s3, -1, 0
	s_cmp_lg_u32 s4, 0
	s_cselect_b32 s4, -1, 0
	s_or_b32 s2, s2, s4
	s_delay_alu instid0(SALU_CYCLE_1)
	s_and_b32 vcc_lo, exec_lo, s2
	s_cbranch_vccnz .LBB506_2
; %bb.1:
	s_cmp_lg_u64 s[8:9], 0
	s_cselect_b32 s2, -1, 0
	s_wait_kmcnt 0x0
	s_cmp_neq_f32 s24, 0
	s_cselect_b32 s4, -1, 0
	s_cmp_neq_f32 s25, 0
	s_cselect_b32 s5, -1, 0
	s_delay_alu instid0(SALU_CYCLE_1) | instskip(NEXT) | instid1(SALU_CYCLE_1)
	s_or_b32 s4, s4, s5
	s_and_b32 s2, s2, s4
.LBB506_2:
	s_delay_alu instid0(SALU_CYCLE_1)
	s_and_not1_b32 vcc_lo, exec_lo, s2
	s_cbranch_vccnz .LBB506_37
; %bb.3:
	s_load_b32 s33, s[0:1], 0x68
	s_bfe_u32 s2, ttmp6, 0x40014
	s_lshr_b32 s4, ttmp7, 16
	s_add_co_i32 s2, s2, 1
	s_wait_xcnt 0x0
	s_bfe_u32 s10, ttmp6, 0x40008
	s_mul_i32 s5, s4, s2
	s_getreg_b32 s2, hwreg(HW_REG_IB_STS2, 6, 4)
	s_add_co_i32 s10, s10, s5
	s_cmp_eq_u32 s2, 0
	s_mov_b32 s11, 0
	s_cselect_b32 s10, s4, s10
	s_wait_kmcnt 0x0
	s_cmp_ge_u32 s10, s33
	s_cbranch_scc1 .LBB506_37
; %bb.4:
	v_and_b32_e32 v9, 0x3ff, v0
	v_bfe_u32 v15, v0, 10, 10
	s_bfe_u32 s4, ttmp6, 0x4000c
	s_bfe_u32 s34, ttmp6, 0x40010
	s_add_co_i32 s4, s4, 1
	s_and_b32 s35, ttmp7, 0xffff
	s_add_co_i32 s34, s34, 1
	v_lshl_add_u32 v1, v15, 4, v9
	s_and_b32 s5, ttmp6, 15
	s_mul_i32 s4, ttmp9, s4
	s_mul_i32 s34, s35, s34
	s_bfe_u32 s36, ttmp6, 0x40004
	s_add_co_i32 s5, s5, s4
	s_add_co_i32 s36, s36, s34
	s_cmp_eq_u32 s2, 0
	v_dual_lshrrev_b32 v3, 3, v1 :: v_dual_bitop2_b32 v5, 31, v1 bitop3:0x40
	v_dual_lshrrev_b32 v2, 5, v1 :: v_dual_bitop2_b32 v0, 7, v0 bitop3:0x40
	s_load_b32 s4, s[0:1], 0x0
	s_wait_xcnt 0x0
	s_cselect_b32 s0, ttmp9, s5
	s_cselect_b32 s1, s35, s36
	s_lshl_b32 s2, s0, 5
	s_lshl_b32 s0, s1, 5
	s_delay_alu instid0(SALU_CYCLE_1) | instskip(SKIP_3) | instid1(VALU_DEP_2)
	v_dual_add_nc_u32 v6, s0, v3 :: v_dual_bitop2_b32 v4, s2, v5 bitop3:0x54
	v_dual_lshlrev_b32 v1, 3, v0 :: v_dual_lshlrev_b32 v5, 3, v5
	v_dual_add_nc_u32 v16, s0, v15 :: v_dual_add_nc_u32 v8, s2, v9
	s_cmp_neq_f32 s24, 0
	v_lshl_or_b32 v3, v3, 6, v1
	s_delay_alu instid0(VALU_DEP_3)
	v_lshl_or_b32 v1, v2, 8, v5
	v_ashrrev_i32_e32 v5, 31, v4
	v_dual_add_nc_u32 v18, 16, v16 :: v_dual_ashrrev_i32 v17, 31, v16
	s_cselect_b32 s1, -1, 0
	s_cmp_neq_f32 s25, 0
	v_cmp_le_i32_e64 s2, v8, v16
	s_delay_alu instid0(VALU_DEP_2)
	v_ashrrev_i32_e32 v19, 31, v18
	v_mul_u64_e32 v[10:11], s[28:29], v[16:17]
	s_cselect_b32 s5, -1, 0
	v_add_nc_u32_e32 v14, 16, v8
	s_or_b32 s38, s1, s5
	v_mul_u64_e32 v[12:13], s[28:29], v[18:19]
	s_cmp_neq_f32 s6, 0
	s_wait_kmcnt 0x0
	v_cmp_gt_i32_e64 s1, s4, v16
	v_cmp_gt_i64_e64 s39, s[8:9], 0
	v_cmp_gt_i32_e64 s0, s4, v4
	s_cselect_b32 s5, -1, 0
	s_xor_b32 s3, s3, -1
	v_cmp_gt_i32_e32 vcc_lo, s4, v6
	v_dual_ashrrev_i32 v7, 31, v6 :: v_dual_lshlrev_b32 v25, 3, v9
	s_or_b32 s34, s5, s3
	s_and_b32 s35, s1, s2
	v_cmp_gt_i32_e64 s3, s4, v18
	v_cmp_le_i32_e64 s4, v8, v18
	v_ashrrev_i32_e32 v9, 31, v8
	v_cmp_le_i32_e64 s2, v14, v16
	v_cmp_le_i32_e64 s5, v14, v18
	v_add_nc_u32_e32 v3, 0x800, v3
	v_lshl_add_u32 v27, v15, 6, 0x800
	v_dual_ashrrev_i32 v15, 31, v14 :: v_dual_mov_b32 v17, 0
	s_and_b32 s1, s1, s2
	s_and_b32 s36, s3, s4
	;; [unrolled: 1-line block ×3, first 2 shown]
	s_mov_b32 s2, s6
	s_mov_b32 s3, s6
	;; [unrolled: 1-line block ×5, first 2 shown]
	s_and_b32 s38, s38, s39
	s_lshl_b64 s[22:23], s[22:23], 3
	s_lshl_b64 s[16:17], s[16:17], 3
	s_xor_b32 s39, vcc_lo, -1
	s_lshl_b64 s[28:29], s[30:31], 3
	s_branch .LBB506_6
.LBB506_5:                              ;   in Loop: Header=BB506_6 Depth=1
	s_wait_xcnt 0x0
	s_or_b32 exec_lo, exec_lo, s30
	s_add_co_i32 s10, s10, 0x10000
	s_delay_alu instid0(SALU_CYCLE_1)
	s_cmp_lt_u32 s10, s33
	s_cbranch_scc0 .LBB506_37
.LBB506_6:                              ; =>This Loop Header: Depth=1
                                        ;     Child Loop BB506_9 Depth 2
	v_dual_mov_b32 v16, s10 :: v_dual_mov_b32 v36, v17
	v_dual_mov_b32 v38, v17 :: v_dual_mov_b32 v32, v17
	;; [unrolled: 1-line block ×3, first 2 shown]
	global_load_b64 v[18:19], v16, s[26:27] scale_offset
	v_dual_mov_b32 v30, v17 :: v_dual_mov_b32 v24, v17
	v_mov_b32_e32 v26, v17
	s_and_not1_b32 vcc_lo, exec_lo, s38
	s_cbranch_vccnz .LBB506_17
; %bb.7:                                ;   in Loop: Header=BB506_6 Depth=1
	s_lshl_b64 s[30:31], s[10:11], 3
	v_dual_mov_b32 v26, 0 :: v_dual_mov_b32 v24, 0
	s_add_nc_u64 s[40:41], s[12:13], s[30:31]
	s_add_nc_u64 s[30:31], s[18:19], s[30:31]
	s_clause 0x1
	global_load_b64 v[20:21], v17, s[40:41]
	global_load_b64 v[22:23], v17, s[30:31]
	v_dual_mov_b32 v30, 0 :: v_dual_mov_b32 v28, 0
	v_dual_mov_b32 v34, 0 :: v_dual_mov_b32 v32, 0
	;; [unrolled: 1-line block ×3, first 2 shown]
	s_wait_xcnt 0x0
	s_mov_b64 s[30:31], 0
	s_wait_loadcnt 0x1
	v_add_nc_u64_e32 v[20:21], s[16:17], v[20:21]
	s_wait_loadcnt 0x0
	v_add_nc_u64_e32 v[22:23], s[22:23], v[22:23]
	s_delay_alu instid0(VALU_DEP_2) | instskip(NEXT) | instid1(VALU_DEP_2)
	v_lshl_add_u64 v[20:21], v[4:5], 3, v[20:21]
	v_lshl_add_u64 v[22:23], v[6:7], 3, v[22:23]
	s_branch .LBB506_9
.LBB506_8:                              ;   in Loop: Header=BB506_9 Depth=2
	s_wait_xcnt 0x0
	s_or_b32 exec_lo, exec_lo, s40
	ds_store_b32 v3, v29 offset:4
	s_wait_dscnt 0x0
	s_barrier_signal -1
	s_barrier_wait -1
	ds_load_b128 v[40:43], v27
	ds_load_2addr_b64 v[44:47], v25 offset1:16
	ds_load_b128 v[48:51], v27 offset:1024
	ds_load_b128 v[52:55], v27 offset:16
	;; [unrolled: 1-line block ×4, first 2 shown]
	ds_load_2addr_b64 v[64:67], v25 offset0:32 offset1:48
	ds_load_b128 v[68:71], v27 offset:1040
	s_add_nc_u64 s[30:31], s[30:31], 8
	s_delay_alu instid0(SALU_CYCLE_1)
	v_cmp_gt_i64_e64 s40, s[8:9], s[30:31]
	s_and_b32 vcc_lo, exec_lo, s40
	s_wait_dscnt 0x6
	v_dual_mul_f32 v16, v41, v45 :: v_dual_mul_f32 v29, v40, v45
	v_dual_mul_f32 v31, v41, v47 :: v_dual_mul_f32 v33, v40, v47
	s_wait_dscnt 0x5
	v_dual_mul_f32 v35, v49, v45 :: v_dual_mul_f32 v37, v48, v45
	v_dual_mul_f32 v39, v49, v47 :: v_dual_mul_f32 v45, v48, v47
	v_dual_fma_f32 v16, v40, v44, -v16 :: v_dual_fmac_f32 v29, v41, v44
	v_dual_fma_f32 v31, v40, v46, -v31 :: v_dual_fmac_f32 v33, v41, v46
	s_delay_alu instid0(VALU_DEP_4) | instskip(NEXT) | instid1(VALU_DEP_3)
	v_dual_fma_f32 v35, v48, v44, -v35 :: v_dual_fmac_f32 v37, v49, v44
	v_dual_add_f32 v16, v36, v16 :: v_dual_add_f32 v36, v38, v29
	v_fma_f32 v29, v48, v46, -v39
	s_delay_alu instid0(VALU_DEP_4) | instskip(NEXT) | instid1(VALU_DEP_4)
	v_dual_add_f32 v32, v32, v31 :: v_dual_add_f32 v33, v34, v33
	v_dual_add_f32 v34, v28, v35 :: v_dual_add_f32 v35, v30, v37
	s_wait_dscnt 0x1
	v_dual_mul_f32 v37, v43, v65 :: v_dual_fmac_f32 v45, v49, v46
	v_add_f32_e32 v24, v24, v29
	ds_load_2addr_b64 v[28:31], v25 offset0:64 offset1:80
	v_dual_mul_f32 v38, v42, v65 :: v_dual_fma_f32 v37, v42, v64, -v37
	v_dual_mul_f32 v39, v43, v67 :: v_dual_add_f32 v26, v26, v45
	s_delay_alu instid0(VALU_DEP_2) | instskip(NEXT) | instid1(VALU_DEP_2)
	v_dual_mul_f32 v40, v42, v67 :: v_dual_fmac_f32 v38, v43, v64
	v_dual_add_f32 v16, v16, v37 :: v_dual_fma_f32 v37, v42, v66, -v39
	v_mul_f32_e32 v39, v51, v65
	s_delay_alu instid0(VALU_DEP_3) | instskip(NEXT) | instid1(VALU_DEP_4)
	v_fmac_f32_e32 v40, v43, v66
	v_dual_add_f32 v36, v36, v38 :: v_dual_mul_f32 v38, v50, v65
	s_delay_alu instid0(VALU_DEP_3) | instskip(NEXT) | instid1(VALU_DEP_3)
	v_dual_add_f32 v37, v32, v37 :: v_dual_fma_f32 v32, v50, v64, -v39
	v_dual_mul_f32 v39, v51, v67 :: v_dual_add_f32 v40, v33, v40
	s_delay_alu instid0(VALU_DEP_3) | instskip(SKIP_1) | instid1(VALU_DEP_3)
	v_dual_fmac_f32 v38, v51, v64 :: v_dual_mul_f32 v41, v50, v67
	s_wait_dscnt 0x0
	v_dual_add_f32 v42, v34, v32 :: v_dual_mul_f32 v33, v53, v29
	s_delay_alu instid0(VALU_DEP_3) | instskip(NEXT) | instid1(VALU_DEP_3)
	v_fma_f32 v32, v50, v66, -v39
	v_dual_add_f32 v38, v35, v38 :: v_dual_mul_f32 v39, v52, v29
	v_fmac_f32_e32 v41, v51, v66
	s_delay_alu instid0(VALU_DEP_4) | instskip(NEXT) | instid1(VALU_DEP_4)
	v_fma_f32 v43, v52, v28, -v33
	v_dual_add_f32 v24, v24, v32 :: v_dual_mul_f32 v44, v53, v31
	ds_load_2addr_b64 v[32:35], v25 offset0:96 offset1:112
	v_dual_fmac_f32 v39, v53, v28 :: v_dual_add_f32 v26, v26, v41
	v_add_f32_e32 v16, v16, v43
	v_dual_mul_f32 v41, v52, v31 :: v_dual_fma_f32 v43, v52, v30, -v44
	s_delay_alu instid0(VALU_DEP_3) | instskip(NEXT) | instid1(VALU_DEP_2)
	v_dual_add_f32 v36, v36, v39 :: v_dual_mul_f32 v39, v69, v29
	v_dual_mul_f32 v29, v68, v29 :: v_dual_fmac_f32 v41, v53, v30
	s_delay_alu instid0(VALU_DEP_3) | instskip(NEXT) | instid1(VALU_DEP_3)
	v_add_f32_e32 v37, v37, v43
	v_dual_mul_f32 v43, v69, v31 :: v_dual_fma_f32 v39, v68, v28, -v39
	s_delay_alu instid0(VALU_DEP_3) | instskip(NEXT) | instid1(VALU_DEP_4)
	v_dual_fmac_f32 v29, v69, v28 :: v_dual_mul_f32 v44, v68, v31
	v_add_f32_e32 v40, v40, v41
	s_delay_alu instid0(VALU_DEP_3) | instskip(NEXT) | instid1(VALU_DEP_3)
	v_dual_fma_f32 v28, v68, v30, -v43 :: v_dual_add_f32 v41, v42, v39
	v_dual_add_f32 v42, v38, v29 :: v_dual_fmac_f32 v44, v69, v30
	s_wait_dscnt 0x0
	s_delay_alu instid0(VALU_DEP_2) | instskip(SKIP_2) | instid1(VALU_DEP_1)
	v_dual_mul_f32 v38, v55, v33 :: v_dual_add_f32 v24, v24, v28
	ds_load_2addr_b64 v[28:31], v25 offset0:128 offset1:144
	v_dual_mul_f32 v39, v54, v33 :: v_dual_mul_f32 v43, v55, v35
	v_dual_fma_f32 v38, v54, v32, -v38 :: v_dual_fmac_f32 v39, v55, v32
	s_delay_alu instid0(VALU_DEP_1) | instskip(NEXT) | instid1(VALU_DEP_3)
	v_dual_add_f32 v26, v26, v44 :: v_dual_add_f32 v16, v16, v38
	v_dual_mul_f32 v44, v54, v35 :: v_dual_fma_f32 v43, v54, v34, -v43
	s_delay_alu instid0(VALU_DEP_3) | instskip(NEXT) | instid1(VALU_DEP_2)
	v_dual_mul_f32 v38, v71, v33 :: v_dual_add_f32 v45, v36, v39
	v_dual_mul_f32 v33, v70, v33 :: v_dual_fmac_f32 v44, v55, v34
	s_delay_alu instid0(VALU_DEP_2)
	v_dual_add_f32 v46, v37, v43 :: v_dual_fma_f32 v43, v70, v32, -v38
	v_mul_f32_e32 v47, v71, v35
	ds_load_b128 v[36:39], v27 offset:1056
	v_add_f32_e32 v44, v40, v44
	v_dual_fmac_f32 v33, v71, v32 :: v_dual_mul_f32 v40, v70, v35
	v_dual_fma_f32 v32, v70, v34, -v47 :: v_dual_add_f32 v47, v41, v43
	s_wait_dscnt 0x1
	v_mul_f32_e32 v35, v57, v29
	s_delay_alu instid0(VALU_DEP_3) | instskip(NEXT) | instid1(VALU_DEP_3)
	v_dual_add_f32 v48, v42, v33 :: v_dual_fmac_f32 v40, v71, v34
	v_add_f32_e32 v24, v24, v32
	s_delay_alu instid0(VALU_DEP_3) | instskip(NEXT) | instid1(VALU_DEP_3)
	v_dual_mul_f32 v49, v56, v29 :: v_dual_fma_f32 v41, v56, v28, -v35
	v_dual_mul_f32 v42, v57, v31 :: v_dual_add_f32 v26, v26, v40
	ds_load_2addr_b64 v[32:35], v25 offset0:160 offset1:176
	v_dual_fmac_f32 v49, v57, v28 :: v_dual_add_f32 v16, v16, v41
	v_dual_fma_f32 v50, v56, v30, -v42 :: v_dual_mul_f32 v51, v56, v31
	ds_load_b128 v[40:43], v27 offset:1072
	s_wait_dscnt 0x2
	v_dual_mul_f32 v52, v37, v29 :: v_dual_mul_f32 v29, v36, v29
	v_dual_add_f32 v45, v45, v49 :: v_dual_add_f32 v46, v46, v50
	s_delay_alu instid0(VALU_DEP_2) | instskip(NEXT) | instid1(VALU_DEP_3)
	v_dual_fmac_f32 v51, v57, v30 :: v_dual_fma_f32 v49, v36, v28, -v52
	v_dual_mul_f32 v50, v37, v31 :: v_dual_fmac_f32 v29, v37, v28
	s_delay_alu instid0(VALU_DEP_2) | instskip(NEXT) | instid1(VALU_DEP_2)
	v_dual_add_f32 v44, v44, v51 :: v_dual_add_f32 v47, v47, v49
	v_dual_mul_f32 v51, v36, v31 :: v_dual_fma_f32 v28, v36, v30, -v50
	s_delay_alu instid0(VALU_DEP_3) | instskip(SKIP_2) | instid1(VALU_DEP_3)
	v_add_f32_e32 v36, v48, v29
	s_wait_dscnt 0x1
	v_dual_mul_f32 v48, v59, v33 :: v_dual_mul_f32 v49, v59, v35
	v_dual_fmac_f32 v51, v37, v30 :: v_dual_add_f32 v24, v24, v28
	ds_load_2addr_b64 v[28:31], v25 offset0:192 offset1:208
	v_dual_mul_f32 v37, v58, v33 :: v_dual_fma_f32 v48, v58, v32, -v48
	s_delay_alu instid0(VALU_DEP_1) | instskip(NEXT) | instid1(VALU_DEP_2)
	v_dual_mul_f32 v50, v58, v35 :: v_dual_fmac_f32 v37, v59, v32
	v_dual_add_f32 v26, v26, v51 :: v_dual_add_f32 v16, v16, v48
	s_delay_alu instid0(VALU_DEP_2) | instskip(NEXT) | instid1(VALU_DEP_3)
	v_dual_fma_f32 v48, v58, v34, -v49 :: v_dual_fmac_f32 v50, v59, v34
	v_add_f32_e32 v37, v45, v37
	v_dual_mul_f32 v45, v39, v33 :: v_dual_mul_f32 v33, v38, v33
	s_delay_alu instid0(VALU_DEP_3) | instskip(NEXT) | instid1(VALU_DEP_2)
	v_dual_add_f32 v48, v46, v48 :: v_dual_mul_f32 v46, v39, v35
	v_dual_add_f32 v49, v44, v50 :: v_dual_fma_f32 v45, v38, v32, -v45
	s_delay_alu instid0(VALU_DEP_3) | instskip(SKIP_1) | instid1(VALU_DEP_3)
	v_dual_fmac_f32 v33, v39, v32 :: v_dual_mul_f32 v32, v38, v35
	s_wait_dscnt 0x0
	v_dual_fma_f32 v35, v38, v34, -v46 :: v_dual_mul_f32 v44, v61, v29
	s_delay_alu instid0(VALU_DEP_3) | instskip(NEXT) | instid1(VALU_DEP_3)
	v_add_f32_e32 v38, v47, v45
	v_dual_fmac_f32 v32, v39, v34 :: v_dual_mul_f32 v34, v60, v29
	s_delay_alu instid0(VALU_DEP_3) | instskip(NEXT) | instid1(VALU_DEP_4)
	v_add_f32_e32 v24, v24, v35
	v_fma_f32 v35, v60, v28, -v44
	ds_load_2addr_b64 v[44:47], v25 offset0:224 offset1:240
	v_dual_add_f32 v33, v36, v33 :: v_dual_add_f32 v26, v26, v32
	v_dual_mul_f32 v32, v61, v31 :: v_dual_fmac_f32 v34, v61, v28
	v_dual_add_f32 v16, v16, v35 :: v_dual_mul_f32 v36, v41, v29
	s_delay_alu instid0(VALU_DEP_2) | instskip(NEXT) | instid1(VALU_DEP_3)
	v_dual_mul_f32 v35, v60, v31 :: v_dual_fma_f32 v32, v60, v30, -v32
	v_dual_mul_f32 v29, v40, v29 :: v_dual_add_f32 v34, v37, v34
	s_delay_alu instid0(VALU_DEP_2) | instskip(NEXT) | instid1(VALU_DEP_3)
	v_dual_fma_f32 v36, v40, v28, -v36 :: v_dual_fmac_f32 v35, v61, v30
	v_add_f32_e32 v32, v48, v32
	s_delay_alu instid0(VALU_DEP_3) | instskip(SKIP_1) | instid1(VALU_DEP_4)
	v_dual_fmac_f32 v29, v41, v28 :: v_dual_mul_f32 v28, v41, v31
	v_mul_f32_e32 v31, v40, v31
	v_dual_add_f32 v35, v49, v35 :: v_dual_add_f32 v37, v38, v36
	s_delay_alu instid0(VALU_DEP_3) | instskip(SKIP_3) | instid1(VALU_DEP_3)
	v_dual_add_f32 v29, v33, v29 :: v_dual_fma_f32 v28, v40, v30, -v28
	s_wait_dscnt 0x0
	v_dual_mul_f32 v33, v63, v45 :: v_dual_mul_f32 v38, v62, v45
	v_dual_fmac_f32 v31, v41, v30 :: v_dual_mul_f32 v30, v63, v47
	v_add_f32_e32 v24, v24, v28
	s_delay_alu instid0(VALU_DEP_3) | instskip(NEXT) | instid1(VALU_DEP_3)
	v_dual_fma_f32 v28, v62, v44, -v33 :: v_dual_fmac_f32 v38, v63, v44
	v_dual_mul_f32 v33, v62, v47 :: v_dual_fma_f32 v30, v62, v46, -v30
	s_delay_alu instid0(VALU_DEP_2) | instskip(NEXT) | instid1(VALU_DEP_3)
	v_dual_add_f32 v26, v26, v31 :: v_dual_add_f32 v36, v16, v28
	v_dual_add_f32 v38, v34, v38 :: v_dual_mul_f32 v16, v43, v45
	s_delay_alu instid0(VALU_DEP_3) | instskip(NEXT) | instid1(VALU_DEP_4)
	v_fmac_f32_e32 v33, v63, v46
	v_dual_add_f32 v32, v32, v30 :: v_dual_mul_f32 v28, v43, v47
	v_dual_mul_f32 v30, v42, v45 :: v_dual_mul_f32 v31, v42, v47
	s_delay_alu instid0(VALU_DEP_3) | instskip(NEXT) | instid1(VALU_DEP_2)
	v_dual_add_f32 v34, v35, v33 :: v_dual_fma_f32 v16, v42, v44, -v16
	v_dual_fma_f32 v33, v42, v46, -v28 :: v_dual_fmac_f32 v30, v43, v44
	s_delay_alu instid0(VALU_DEP_3) | instskip(NEXT) | instid1(VALU_DEP_2)
	v_fmac_f32_e32 v31, v43, v46
	v_dual_add_f32 v28, v37, v16 :: v_dual_add_f32 v24, v24, v33
	s_delay_alu instid0(VALU_DEP_2)
	v_dual_add_f32 v30, v29, v30 :: v_dual_add_f32 v26, v26, v31
	s_barrier_signal -1
	s_barrier_wait -1
	s_cbranch_vccz .LBB506_17
.LBB506_9:                              ;   Parent Loop BB506_6 Depth=1
                                        ; =>  This Inner Loop Header: Depth=2
	v_dual_mov_b32 v40, 0 :: v_dual_mov_b32 v41, 0
	s_and_saveexec_b32 s40, s0
	s_cbranch_execz .LBB506_13
; %bb.10:                               ;   in Loop: Header=BB506_9 Depth=2
	v_dual_mov_b32 v41, 0 :: v_dual_add_nc_u32 v16, s30, v2
	v_mov_b32_e32 v40, 0
	s_mov_b32 s41, exec_lo
	s_delay_alu instid0(VALU_DEP_2)
	v_cmpx_gt_u64_e64 s[8:9], v[16:17]
	s_cbranch_execz .LBB506_12
; %bb.11:                               ;   in Loop: Header=BB506_9 Depth=2
	v_mul_u64_e32 v[40:41], s[14:15], v[16:17]
	s_delay_alu instid0(VALU_DEP_1)
	v_lshl_add_u64 v[40:41], v[40:41], 3, v[20:21]
	flat_load_b64 v[40:41], v[40:41]
.LBB506_12:                             ;   in Loop: Header=BB506_9 Depth=2
	s_wait_xcnt 0x0
	s_or_b32 exec_lo, exec_lo, s41
.LBB506_13:                             ;   in Loop: Header=BB506_9 Depth=2
	s_delay_alu instid0(SALU_CYCLE_1)
	s_or_b32 exec_lo, exec_lo, s40
	v_add_nc_u32_e32 v16, s30, v0
	s_wait_loadcnt_dscnt 0x0
	ds_store_b64 v1, v[40:41]
	v_cmp_le_u64_e32 vcc_lo, s[8:9], v[16:17]
	s_or_b32 s40, vcc_lo, s39
	s_delay_alu instid0(SALU_CYCLE_1) | instskip(NEXT) | instid1(SALU_CYCLE_1)
	s_and_saveexec_b32 s41, s40
	s_xor_b32 s40, exec_lo, s41
; %bb.14:                               ;   in Loop: Header=BB506_9 Depth=2
	ds_store_b32 v3, v17
; %bb.15:                               ;   in Loop: Header=BB506_9 Depth=2
	s_or_saveexec_b32 s40, s40
	v_mov_b32_e32 v29, 0
	s_xor_b32 exec_lo, exec_lo, s40
	s_cbranch_execz .LBB506_8
; %bb.16:                               ;   in Loop: Header=BB506_9 Depth=2
	v_mul_u64_e32 v[40:41], s[20:21], v[16:17]
	s_delay_alu instid0(VALU_DEP_1)
	v_lshl_add_u64 v[40:41], v[40:41], 3, v[22:23]
	flat_load_b64 v[40:41], v[40:41]
	s_wait_loadcnt_dscnt 0x0
	v_xor_b32_e32 v29, 0x80000000, v41
	ds_store_b32 v3, v40
	s_branch .LBB506_8
.LBB506_17:                             ;   in Loop: Header=BB506_6 Depth=1
	s_wait_loadcnt 0x0
	v_add_nc_u64_e32 v[18:19], s[28:29], v[18:19]
	s_delay_alu instid0(VALU_DEP_1)
	v_lshl_add_u64 v[20:21], v[10:11], 3, v[18:19]
	s_wait_xcnt 0x0
	s_and_saveexec_b32 s30, s35
	s_cbranch_execz .LBB506_22
; %bb.18:                               ;   in Loop: Header=BB506_6 Depth=1
	v_mov_b64_e32 v[22:23], s[4:5]
	v_mov_b64_e32 v[40:41], s[24:25]
	s_and_b32 vcc_lo, exec_lo, s34
	s_mov_b32 s31, -1
	s_delay_alu instid0(VALU_DEP_2) | instskip(NEXT) | instid1(VALU_DEP_1)
	v_pk_mul_f32 v[22:23], v[38:39], v[22:23] op_sel_hi:[0,1]
	v_pk_fma_f32 v[38:39], v[36:37], v[40:41], v[22:23] op_sel_hi:[0,1,1]
	v_pk_fma_f32 v[22:23], v[36:37], v[40:41], v[22:23] neg_lo:[0,0,1] neg_hi:[0,0,1]
	v_lshl_add_u64 v[36:37], v[8:9], 3, v[20:21]
	s_delay_alu instid0(VALU_DEP_3)
	v_mov_b32_e32 v23, v39
	s_cbranch_vccz .LBB506_20
; %bb.19:                               ;   in Loop: Header=BB506_6 Depth=1
	flat_load_b64 v[38:39], v[36:37]
	v_mov_b64_e32 v[40:41], s[6:7]
	v_mov_b64_e32 v[42:43], s[2:3]
	s_mov_b32 s31, 0
	s_wait_loadcnt_dscnt 0x0
	s_delay_alu instid0(VALU_DEP_2) | instskip(NEXT) | instid1(VALU_DEP_1)
	v_pk_mul_f32 v[40:41], v[38:39], v[40:41]
	v_pk_fma_f32 v[44:45], v[38:39], v[42:43], v[40:41] op_sel:[0,0,1] op_sel_hi:[1,1,0]
	v_pk_fma_f32 v[38:39], v[38:39], v[42:43], v[40:41] op_sel:[0,0,1] op_sel_hi:[1,1,0] neg_lo:[0,0,1] neg_hi:[0,0,1]
	s_delay_alu instid0(VALU_DEP_2) | instskip(NEXT) | instid1(VALU_DEP_1)
	v_mov_b32_e32 v39, v45
	v_pk_add_f32 v[38:39], v[22:23], v[38:39]
	flat_store_b64 v[36:37], v[38:39]
.LBB506_20:                             ;   in Loop: Header=BB506_6 Depth=1
	s_and_not1_b32 vcc_lo, exec_lo, s31
	s_cbranch_vccnz .LBB506_22
; %bb.21:                               ;   in Loop: Header=BB506_6 Depth=1
	flat_store_b64 v[36:37], v[22:23]
.LBB506_22:                             ;   in Loop: Header=BB506_6 Depth=1
	s_wait_xcnt 0x0
	s_or_b32 exec_lo, exec_lo, s30
	s_and_saveexec_b32 s30, s1
	s_cbranch_execz .LBB506_27
; %bb.23:                               ;   in Loop: Header=BB506_6 Depth=1
	v_mov_b64_e32 v[22:23], s[4:5]
	v_mov_b64_e32 v[36:37], s[24:25]
	v_lshl_add_u64 v[20:21], v[14:15], 3, v[20:21]
	s_and_not1_b32 vcc_lo, exec_lo, s34
	s_mov_b32 s31, -1
	s_delay_alu instid0(VALU_DEP_3) | instskip(NEXT) | instid1(VALU_DEP_1)
	v_pk_mul_f32 v[22:23], v[34:35], v[22:23] op_sel_hi:[0,1]
	v_pk_fma_f32 v[34:35], v[32:33], v[36:37], v[22:23] op_sel_hi:[0,1,1]
	v_pk_fma_f32 v[22:23], v[32:33], v[36:37], v[22:23] neg_lo:[0,0,1] neg_hi:[0,0,1]
	s_delay_alu instid0(VALU_DEP_2)
	v_mov_b32_e32 v23, v35
	s_cbranch_vccnz .LBB506_25
; %bb.24:                               ;   in Loop: Header=BB506_6 Depth=1
	flat_load_b64 v[32:33], v[20:21]
	v_mov_b64_e32 v[34:35], s[6:7]
	v_mov_b64_e32 v[36:37], s[2:3]
	s_mov_b32 s31, 0
	s_wait_loadcnt_dscnt 0x0
	s_delay_alu instid0(VALU_DEP_2) | instskip(NEXT) | instid1(VALU_DEP_1)
	v_pk_mul_f32 v[34:35], v[32:33], v[34:35]
	v_pk_fma_f32 v[38:39], v[32:33], v[36:37], v[34:35] op_sel:[0,0,1] op_sel_hi:[1,1,0]
	v_pk_fma_f32 v[32:33], v[32:33], v[36:37], v[34:35] op_sel:[0,0,1] op_sel_hi:[1,1,0] neg_lo:[0,0,1] neg_hi:[0,0,1]
	s_delay_alu instid0(VALU_DEP_2) | instskip(NEXT) | instid1(VALU_DEP_1)
	v_mov_b32_e32 v33, v39
	v_pk_add_f32 v[32:33], v[22:23], v[32:33]
	flat_store_b64 v[20:21], v[32:33]
.LBB506_25:                             ;   in Loop: Header=BB506_6 Depth=1
	s_and_not1_b32 vcc_lo, exec_lo, s31
	s_cbranch_vccnz .LBB506_27
; %bb.26:                               ;   in Loop: Header=BB506_6 Depth=1
	flat_store_b64 v[20:21], v[22:23]
.LBB506_27:                             ;   in Loop: Header=BB506_6 Depth=1
	s_wait_xcnt 0x0
	s_or_b32 exec_lo, exec_lo, s30
	v_lshl_add_u64 v[18:19], v[12:13], 3, v[18:19]
	s_and_saveexec_b32 s30, s36
	s_cbranch_execz .LBB506_32
; %bb.28:                               ;   in Loop: Header=BB506_6 Depth=1
	v_mov_b64_e32 v[20:21], s[4:5]
	v_mov_b64_e32 v[22:23], s[24:25]
	s_and_not1_b32 vcc_lo, exec_lo, s34
	s_mov_b32 s31, -1
	s_delay_alu instid0(VALU_DEP_2) | instskip(NEXT) | instid1(VALU_DEP_1)
	v_pk_mul_f32 v[20:21], v[30:31], v[20:21] op_sel_hi:[0,1]
	v_pk_fma_f32 v[30:31], v[28:29], v[22:23], v[20:21] op_sel_hi:[0,1,1]
	v_pk_fma_f32 v[20:21], v[28:29], v[22:23], v[20:21] neg_lo:[0,0,1] neg_hi:[0,0,1]
	v_lshl_add_u64 v[22:23], v[8:9], 3, v[18:19]
	s_delay_alu instid0(VALU_DEP_3)
	v_mov_b32_e32 v21, v31
	s_cbranch_vccnz .LBB506_30
; %bb.29:                               ;   in Loop: Header=BB506_6 Depth=1
	flat_load_b64 v[28:29], v[22:23]
	v_mov_b64_e32 v[30:31], s[6:7]
	v_mov_b64_e32 v[32:33], s[2:3]
	s_mov_b32 s31, 0
	s_wait_loadcnt_dscnt 0x0
	s_delay_alu instid0(VALU_DEP_2) | instskip(NEXT) | instid1(VALU_DEP_1)
	v_pk_mul_f32 v[30:31], v[28:29], v[30:31]
	v_pk_fma_f32 v[34:35], v[28:29], v[32:33], v[30:31] op_sel:[0,0,1] op_sel_hi:[1,1,0]
	v_pk_fma_f32 v[28:29], v[28:29], v[32:33], v[30:31] op_sel:[0,0,1] op_sel_hi:[1,1,0] neg_lo:[0,0,1] neg_hi:[0,0,1]
	s_delay_alu instid0(VALU_DEP_2) | instskip(NEXT) | instid1(VALU_DEP_1)
	v_mov_b32_e32 v29, v35
	v_pk_add_f32 v[28:29], v[20:21], v[28:29]
	flat_store_b64 v[22:23], v[28:29]
.LBB506_30:                             ;   in Loop: Header=BB506_6 Depth=1
	s_and_not1_b32 vcc_lo, exec_lo, s31
	s_cbranch_vccnz .LBB506_32
; %bb.31:                               ;   in Loop: Header=BB506_6 Depth=1
	flat_store_b64 v[22:23], v[20:21]
.LBB506_32:                             ;   in Loop: Header=BB506_6 Depth=1
	s_wait_xcnt 0x0
	s_or_b32 exec_lo, exec_lo, s30
	s_and_saveexec_b32 s30, s37
	s_cbranch_execz .LBB506_5
; %bb.33:                               ;   in Loop: Header=BB506_6 Depth=1
	v_mov_b64_e32 v[20:21], s[4:5]
	v_mov_b64_e32 v[22:23], s[24:25]
	v_lshl_add_u64 v[18:19], v[14:15], 3, v[18:19]
	s_and_not1_b32 vcc_lo, exec_lo, s34
	s_mov_b32 s31, -1
	s_delay_alu instid0(VALU_DEP_3) | instskip(NEXT) | instid1(VALU_DEP_1)
	v_pk_mul_f32 v[20:21], v[26:27], v[20:21] op_sel_hi:[0,1]
	v_pk_fma_f32 v[28:29], v[24:25], v[22:23], v[20:21] op_sel_hi:[0,1,1]
	v_pk_fma_f32 v[20:21], v[24:25], v[22:23], v[20:21] neg_lo:[0,0,1] neg_hi:[0,0,1]
	s_delay_alu instid0(VALU_DEP_2)
	v_mov_b32_e32 v21, v29
	s_cbranch_vccnz .LBB506_35
; %bb.34:                               ;   in Loop: Header=BB506_6 Depth=1
	flat_load_b64 v[22:23], v[18:19]
	v_mov_b64_e32 v[28:29], s[6:7]
	v_mov_b64_e32 v[30:31], s[2:3]
	s_mov_b32 s31, 0
	s_wait_loadcnt_dscnt 0x0
	s_delay_alu instid0(VALU_DEP_2) | instskip(NEXT) | instid1(VALU_DEP_1)
	v_pk_mul_f32 v[28:29], v[22:23], v[28:29]
	v_pk_fma_f32 v[32:33], v[22:23], v[30:31], v[28:29] op_sel:[0,0,1] op_sel_hi:[1,1,0]
	v_pk_fma_f32 v[22:23], v[22:23], v[30:31], v[28:29] op_sel:[0,0,1] op_sel_hi:[1,1,0] neg_lo:[0,0,1] neg_hi:[0,0,1]
	s_delay_alu instid0(VALU_DEP_2) | instskip(NEXT) | instid1(VALU_DEP_1)
	v_mov_b32_e32 v23, v33
	v_pk_add_f32 v[22:23], v[20:21], v[22:23]
	flat_store_b64 v[18:19], v[22:23]
.LBB506_35:                             ;   in Loop: Header=BB506_6 Depth=1
	s_and_not1_b32 vcc_lo, exec_lo, s31
	s_cbranch_vccnz .LBB506_5
; %bb.36:                               ;   in Loop: Header=BB506_6 Depth=1
	flat_store_b64 v[18:19], v[20:21]
	s_branch .LBB506_5
.LBB506_37:
	s_sendmsg sendmsg(MSG_DEALLOC_VGPRS)
	s_endpgm
	.section	.rodata,"a",@progbits
	.p2align	6, 0x0
	.amdhsa_kernel _ZL29rocblas_internal_gemmt_kernelIlLi16ELi32ELi8ELc78ELc67ELc85ELb0ELb1E19rocblas_complex_numIfEPKS1_PKS3_PKPS1_EviT_T9_T10_S9_lSB_S9_lSA_T11_S9_li
		.amdhsa_group_segment_fixed_size 4096
		.amdhsa_private_segment_fixed_size 0
		.amdhsa_kernarg_size 108
		.amdhsa_user_sgpr_count 2
		.amdhsa_user_sgpr_dispatch_ptr 0
		.amdhsa_user_sgpr_queue_ptr 0
		.amdhsa_user_sgpr_kernarg_segment_ptr 1
		.amdhsa_user_sgpr_dispatch_id 0
		.amdhsa_user_sgpr_kernarg_preload_length 0
		.amdhsa_user_sgpr_kernarg_preload_offset 0
		.amdhsa_user_sgpr_private_segment_size 0
		.amdhsa_wavefront_size32 1
		.amdhsa_uses_dynamic_stack 0
		.amdhsa_enable_private_segment 0
		.amdhsa_system_sgpr_workgroup_id_x 1
		.amdhsa_system_sgpr_workgroup_id_y 1
		.amdhsa_system_sgpr_workgroup_id_z 1
		.amdhsa_system_sgpr_workgroup_info 0
		.amdhsa_system_vgpr_workitem_id 1
		.amdhsa_next_free_vgpr 72
		.amdhsa_next_free_sgpr 42
		.amdhsa_named_barrier_count 0
		.amdhsa_reserve_vcc 1
		.amdhsa_float_round_mode_32 0
		.amdhsa_float_round_mode_16_64 0
		.amdhsa_float_denorm_mode_32 3
		.amdhsa_float_denorm_mode_16_64 3
		.amdhsa_fp16_overflow 0
		.amdhsa_memory_ordered 1
		.amdhsa_forward_progress 1
		.amdhsa_inst_pref_size 26
		.amdhsa_round_robin_scheduling 0
		.amdhsa_exception_fp_ieee_invalid_op 0
		.amdhsa_exception_fp_denorm_src 0
		.amdhsa_exception_fp_ieee_div_zero 0
		.amdhsa_exception_fp_ieee_overflow 0
		.amdhsa_exception_fp_ieee_underflow 0
		.amdhsa_exception_fp_ieee_inexact 0
		.amdhsa_exception_int_div_zero 0
	.end_amdhsa_kernel
	.section	.text._ZL29rocblas_internal_gemmt_kernelIlLi16ELi32ELi8ELc78ELc67ELc85ELb0ELb1E19rocblas_complex_numIfEPKS1_PKS3_PKPS1_EviT_T9_T10_S9_lSB_S9_lSA_T11_S9_li,"axG",@progbits,_ZL29rocblas_internal_gemmt_kernelIlLi16ELi32ELi8ELc78ELc67ELc85ELb0ELb1E19rocblas_complex_numIfEPKS1_PKS3_PKPS1_EviT_T9_T10_S9_lSB_S9_lSA_T11_S9_li,comdat
.Lfunc_end506:
	.size	_ZL29rocblas_internal_gemmt_kernelIlLi16ELi32ELi8ELc78ELc67ELc85ELb0ELb1E19rocblas_complex_numIfEPKS1_PKS3_PKPS1_EviT_T9_T10_S9_lSB_S9_lSA_T11_S9_li, .Lfunc_end506-_ZL29rocblas_internal_gemmt_kernelIlLi16ELi32ELi8ELc78ELc67ELc85ELb0ELb1E19rocblas_complex_numIfEPKS1_PKS3_PKPS1_EviT_T9_T10_S9_lSB_S9_lSA_T11_S9_li
                                        ; -- End function
	.set _ZL29rocblas_internal_gemmt_kernelIlLi16ELi32ELi8ELc78ELc67ELc85ELb0ELb1E19rocblas_complex_numIfEPKS1_PKS3_PKPS1_EviT_T9_T10_S9_lSB_S9_lSA_T11_S9_li.num_vgpr, 72
	.set _ZL29rocblas_internal_gemmt_kernelIlLi16ELi32ELi8ELc78ELc67ELc85ELb0ELb1E19rocblas_complex_numIfEPKS1_PKS3_PKPS1_EviT_T9_T10_S9_lSB_S9_lSA_T11_S9_li.num_agpr, 0
	.set _ZL29rocblas_internal_gemmt_kernelIlLi16ELi32ELi8ELc78ELc67ELc85ELb0ELb1E19rocblas_complex_numIfEPKS1_PKS3_PKPS1_EviT_T9_T10_S9_lSB_S9_lSA_T11_S9_li.numbered_sgpr, 42
	.set _ZL29rocblas_internal_gemmt_kernelIlLi16ELi32ELi8ELc78ELc67ELc85ELb0ELb1E19rocblas_complex_numIfEPKS1_PKS3_PKPS1_EviT_T9_T10_S9_lSB_S9_lSA_T11_S9_li.num_named_barrier, 0
	.set _ZL29rocblas_internal_gemmt_kernelIlLi16ELi32ELi8ELc78ELc67ELc85ELb0ELb1E19rocblas_complex_numIfEPKS1_PKS3_PKPS1_EviT_T9_T10_S9_lSB_S9_lSA_T11_S9_li.private_seg_size, 0
	.set _ZL29rocblas_internal_gemmt_kernelIlLi16ELi32ELi8ELc78ELc67ELc85ELb0ELb1E19rocblas_complex_numIfEPKS1_PKS3_PKPS1_EviT_T9_T10_S9_lSB_S9_lSA_T11_S9_li.uses_vcc, 1
	.set _ZL29rocblas_internal_gemmt_kernelIlLi16ELi32ELi8ELc78ELc67ELc85ELb0ELb1E19rocblas_complex_numIfEPKS1_PKS3_PKPS1_EviT_T9_T10_S9_lSB_S9_lSA_T11_S9_li.uses_flat_scratch, 0
	.set _ZL29rocblas_internal_gemmt_kernelIlLi16ELi32ELi8ELc78ELc67ELc85ELb0ELb1E19rocblas_complex_numIfEPKS1_PKS3_PKPS1_EviT_T9_T10_S9_lSB_S9_lSA_T11_S9_li.has_dyn_sized_stack, 0
	.set _ZL29rocblas_internal_gemmt_kernelIlLi16ELi32ELi8ELc78ELc67ELc85ELb0ELb1E19rocblas_complex_numIfEPKS1_PKS3_PKPS1_EviT_T9_T10_S9_lSB_S9_lSA_T11_S9_li.has_recursion, 0
	.set _ZL29rocblas_internal_gemmt_kernelIlLi16ELi32ELi8ELc78ELc67ELc85ELb0ELb1E19rocblas_complex_numIfEPKS1_PKS3_PKPS1_EviT_T9_T10_S9_lSB_S9_lSA_T11_S9_li.has_indirect_call, 0
	.section	.AMDGPU.csdata,"",@progbits
; Kernel info:
; codeLenInByte = 3260
; TotalNumSgprs: 44
; NumVgprs: 72
; ScratchSize: 0
; MemoryBound: 0
; FloatMode: 240
; IeeeMode: 1
; LDSByteSize: 4096 bytes/workgroup (compile time only)
; SGPRBlocks: 0
; VGPRBlocks: 4
; NumSGPRsForWavesPerEU: 44
; NumVGPRsForWavesPerEU: 72
; NamedBarCnt: 0
; Occupancy: 12
; WaveLimiterHint : 1
; COMPUTE_PGM_RSRC2:SCRATCH_EN: 0
; COMPUTE_PGM_RSRC2:USER_SGPR: 2
; COMPUTE_PGM_RSRC2:TRAP_HANDLER: 0
; COMPUTE_PGM_RSRC2:TGID_X_EN: 1
; COMPUTE_PGM_RSRC2:TGID_Y_EN: 1
; COMPUTE_PGM_RSRC2:TGID_Z_EN: 1
; COMPUTE_PGM_RSRC2:TIDIG_COMP_CNT: 1
	.section	.text._ZL29rocblas_internal_gemmt_kernelIlLi16ELi32ELi8ELc84ELc78ELc85ELb0ELb0E19rocblas_complex_numIfEPKS1_PKS3_PKPS1_EviT_T9_T10_S9_lSB_S9_lSA_T11_S9_li,"axG",@progbits,_ZL29rocblas_internal_gemmt_kernelIlLi16ELi32ELi8ELc84ELc78ELc85ELb0ELb0E19rocblas_complex_numIfEPKS1_PKS3_PKPS1_EviT_T9_T10_S9_lSB_S9_lSA_T11_S9_li,comdat
	.globl	_ZL29rocblas_internal_gemmt_kernelIlLi16ELi32ELi8ELc84ELc78ELc85ELb0ELb0E19rocblas_complex_numIfEPKS1_PKS3_PKPS1_EviT_T9_T10_S9_lSB_S9_lSA_T11_S9_li ; -- Begin function _ZL29rocblas_internal_gemmt_kernelIlLi16ELi32ELi8ELc84ELc78ELc85ELb0ELb0E19rocblas_complex_numIfEPKS1_PKS3_PKPS1_EviT_T9_T10_S9_lSB_S9_lSA_T11_S9_li
	.p2align	8
	.type	_ZL29rocblas_internal_gemmt_kernelIlLi16ELi32ELi8ELc84ELc78ELc85ELb0ELb0E19rocblas_complex_numIfEPKS1_PKS3_PKPS1_EviT_T9_T10_S9_lSB_S9_lSA_T11_S9_li,@function
_ZL29rocblas_internal_gemmt_kernelIlLi16ELi32ELi8ELc84ELc78ELc85ELb0ELb0E19rocblas_complex_numIfEPKS1_PKS3_PKPS1_EviT_T9_T10_S9_lSB_S9_lSA_T11_S9_li: ; @_ZL29rocblas_internal_gemmt_kernelIlLi16ELi32ELi8ELc84ELc78ELc85ELb0ELb0E19rocblas_complex_numIfEPKS1_PKS3_PKPS1_EviT_T9_T10_S9_lSB_S9_lSA_T11_S9_li
; %bb.0:
	s_load_b256 s[24:31], s[0:1], 0x48
	s_wait_kmcnt 0x0
	s_load_b64 s[6:7], s[24:25], 0x0
	s_load_b512 s[8:23], s[0:1], 0x8
	s_wait_kmcnt 0x0
	s_cmp_neq_f32 s6, 1.0
	s_load_b64 s[24:25], s[10:11], 0x0
	s_cselect_b32 s2, -1, 0
	s_and_b32 s4, s7, 0x7fffffff
	s_delay_alu instid0(SALU_CYCLE_1) | instskip(SKIP_3) | instid1(SALU_CYCLE_1)
	s_cmp_eq_u32 s4, 0
	s_cselect_b32 s3, -1, 0
	s_cmp_lg_u32 s4, 0
	s_cselect_b32 s4, -1, 0
	s_or_b32 s2, s2, s4
	s_delay_alu instid0(SALU_CYCLE_1)
	s_and_b32 vcc_lo, exec_lo, s2
	s_cbranch_vccnz .LBB507_2
; %bb.1:
	s_cmp_lg_u64 s[8:9], 0
	s_cselect_b32 s2, -1, 0
	s_wait_kmcnt 0x0
	s_cmp_neq_f32 s24, 0
	s_cselect_b32 s4, -1, 0
	s_cmp_neq_f32 s25, 0
	s_cselect_b32 s5, -1, 0
	s_delay_alu instid0(SALU_CYCLE_1) | instskip(NEXT) | instid1(SALU_CYCLE_1)
	s_or_b32 s4, s4, s5
	s_and_b32 s2, s2, s4
.LBB507_2:
	s_delay_alu instid0(SALU_CYCLE_1)
	s_and_not1_b32 vcc_lo, exec_lo, s2
	s_cbranch_vccnz .LBB507_35
; %bb.3:
	s_load_b32 s33, s[0:1], 0x68
	s_bfe_u32 s2, ttmp6, 0x40014
	s_lshr_b32 s4, ttmp7, 16
	s_add_co_i32 s2, s2, 1
	s_wait_xcnt 0x0
	s_bfe_u32 s10, ttmp6, 0x40008
	s_mul_i32 s5, s4, s2
	s_getreg_b32 s2, hwreg(HW_REG_IB_STS2, 6, 4)
	s_add_co_i32 s10, s10, s5
	s_cmp_eq_u32 s2, 0
	s_mov_b32 s11, 0
	s_cselect_b32 s10, s4, s10
	s_wait_kmcnt 0x0
	s_cmp_ge_u32 s10, s33
	s_cbranch_scc1 .LBB507_35
; %bb.4:
	s_bfe_u32 s4, ttmp6, 0x4000c
	s_bfe_u32 s34, ttmp6, 0x40010
	s_add_co_i32 s4, s4, 1
	s_and_b32 s35, ttmp7, 0xffff
	s_add_co_i32 s34, s34, 1
	v_and_b32_e32 v9, 0x3ff, v0
	v_bfe_u32 v15, v0, 10, 10
	s_and_b32 s5, ttmp6, 15
	s_mul_i32 s4, ttmp9, s4
	s_mul_i32 s34, s35, s34
	s_bfe_u32 s36, ttmp6, 0x40004
	s_add_co_i32 s5, s5, s4
	s_add_co_i32 s36, s36, s34
	s_cmp_eq_u32 s2, 0
	v_lshl_add_u32 v1, v15, 4, v9
	s_load_b32 s4, s[0:1], 0x0
	s_wait_xcnt 0x0
	s_cselect_b32 s0, ttmp9, s5
	s_cselect_b32 s1, s35, s36
	s_lshl_b32 s2, s0, 5
	s_lshl_b32 s0, s1, 5
	v_dual_lshrrev_b32 v3, 3, v1 :: v_dual_bitop2_b32 v5, 31, v1 bitop3:0x40
	v_dual_lshrrev_b32 v2, 5, v1 :: v_dual_bitop2_b32 v0, 7, v0 bitop3:0x40
	v_add_nc_u32_e32 v16, s0, v15
	s_cmp_neq_f32 s24, 0
	s_delay_alu instid0(VALU_DEP_3) | instskip(NEXT) | instid1(VALU_DEP_3)
	v_dual_add_nc_u32 v6, s0, v3 :: v_dual_bitop2_b32 v4, s2, v5 bitop3:0x54
	v_lshlrev_b32_e32 v8, 3, v0
	s_delay_alu instid0(VALU_DEP_3)
	v_add_nc_u32_e32 v18, 16, v16
	s_cselect_b32 s1, -1, 0
	s_cmp_neq_f32 s25, 0
	v_dual_lshlrev_b32 v1, 3, v5 :: v_dual_ashrrev_i32 v5, 31, v4
	v_dual_ashrrev_i32 v7, 31, v6 :: v_dual_ashrrev_i32 v17, 31, v16
	v_ashrrev_i32_e32 v19, 31, v18
	s_cselect_b32 s5, -1, 0
	s_wait_kmcnt 0x0
	v_cmp_gt_i32_e64 s0, s4, v4
	s_or_b32 s37, s1, s5
	v_mul_u64_e32 v[4:5], s[14:15], v[4:5]
	v_cmp_gt_i32_e64 s1, s4, v6
	v_mul_u64_e32 v[6:7], s[20:21], v[6:7]
	v_mul_u64_e32 v[10:11], s[28:29], v[16:17]
	;; [unrolled: 1-line block ×3, first 2 shown]
	v_lshl_or_b32 v3, v3, 6, v8
	v_dual_add_nc_u32 v8, s2, v9 :: v_dual_lshlrev_b32 v25, 3, v9
	s_cmp_neq_f32 s6, 0
	v_cmp_gt_i32_e32 vcc_lo, s4, v16
	v_cmp_gt_i64_e64 s38, s[8:9], 0
	s_delay_alu instid0(VALU_DEP_3)
	v_cmp_le_i32_e64 s2, v8, v16
	v_dual_add_nc_u32 v14, 16, v8 :: v_dual_ashrrev_i32 v9, 31, v8
	s_cselect_b32 s5, -1, 0
	s_xor_b32 s3, s3, -1
	s_and_b32 s29, vcc_lo, s2
	s_or_b32 s28, s5, s3
	v_cmp_le_i32_e64 s2, v14, v16
	v_cmp_gt_i32_e64 s3, s4, v18
	v_cmp_le_i32_e64 s4, v8, v18
	v_cmp_le_i32_e64 s5, v14, v18
	v_lshl_or_b32 v1, v2, 8, v1
	v_add_nc_u32_e32 v3, 0x800, v3
	v_lshl_add_u32 v27, v15, 6, 0x800
	v_dual_ashrrev_i32 v15, 31, v14 :: v_dual_mov_b32 v17, 0
	s_and_b32 s34, vcc_lo, s2
	s_and_b32 s35, s3, s4
	s_and_b32 s36, s3, s5
	s_mov_b32 s2, s6
	s_mov_b32 s3, s6
	;; [unrolled: 1-line block ×5, first 2 shown]
	s_and_b32 s37, s37, s38
	s_lshl_b64 s[14:15], s[22:23], 3
	s_lshl_b64 s[16:17], s[16:17], 3
	;; [unrolled: 1-line block ×3, first 2 shown]
	s_branch .LBB507_6
.LBB507_5:                              ;   in Loop: Header=BB507_6 Depth=1
	s_wait_xcnt 0x0
	s_or_b32 exec_lo, exec_lo, s22
	s_add_co_i32 s10, s10, 0x10000
	s_delay_alu instid0(SALU_CYCLE_1)
	s_cmp_lt_u32 s10, s33
	s_cbranch_scc0 .LBB507_35
.LBB507_6:                              ; =>This Loop Header: Depth=1
                                        ;     Child Loop BB507_9 Depth 2
	v_dual_mov_b32 v16, s10 :: v_dual_mov_b32 v36, v17
	v_dual_mov_b32 v38, v17 :: v_dual_mov_b32 v32, v17
	;; [unrolled: 1-line block ×3, first 2 shown]
	global_load_b64 v[18:19], v16, s[26:27] scale_offset
	v_dual_mov_b32 v30, v17 :: v_dual_mov_b32 v24, v17
	v_mov_b32_e32 v26, v17
	s_and_not1_b32 vcc_lo, exec_lo, s37
	s_cbranch_vccnz .LBB507_15
; %bb.7:                                ;   in Loop: Header=BB507_6 Depth=1
	s_lshl_b64 s[22:23], s[10:11], 3
	v_dual_mov_b32 v26, 0 :: v_dual_mov_b32 v24, 0
	s_add_nc_u64 s[30:31], s[12:13], s[22:23]
	s_add_nc_u64 s[22:23], s[18:19], s[22:23]
	s_clause 0x1
	global_load_b64 v[20:21], v17, s[30:31]
	global_load_b64 v[22:23], v17, s[22:23]
	v_dual_mov_b32 v30, 0 :: v_dual_mov_b32 v28, 0
	v_dual_mov_b32 v34, 0 :: v_dual_mov_b32 v32, 0
	;; [unrolled: 1-line block ×3, first 2 shown]
	s_wait_xcnt 0x0
	s_mov_b64 s[22:23], 0
	s_wait_loadcnt 0x1
	v_add_nc_u64_e32 v[20:21], s[16:17], v[20:21]
	s_wait_loadcnt 0x0
	v_add_nc_u64_e32 v[22:23], s[14:15], v[22:23]
	s_delay_alu instid0(VALU_DEP_2) | instskip(NEXT) | instid1(VALU_DEP_2)
	v_lshl_add_u64 v[20:21], v[4:5], 3, v[20:21]
	v_lshl_add_u64 v[22:23], v[6:7], 3, v[22:23]
	s_branch .LBB507_9
.LBB507_8:                              ;   in Loop: Header=BB507_9 Depth=2
	s_wait_xcnt 0x0
	s_or_b32 exec_lo, exec_lo, s30
	s_wait_loadcnt_dscnt 0x0
	ds_store_b64 v3, v[42:43]
	s_wait_dscnt 0x0
	s_barrier_signal -1
	s_barrier_wait -1
	ds_load_b128 v[40:43], v27
	ds_load_2addr_b64 v[44:47], v25 offset1:16
	ds_load_b128 v[48:51], v27 offset:1024
	ds_load_b128 v[52:55], v27 offset:16
	;; [unrolled: 1-line block ×4, first 2 shown]
	ds_load_2addr_b64 v[64:67], v25 offset0:32 offset1:48
	ds_load_b128 v[68:71], v27 offset:1040
	s_add_nc_u64 s[22:23], s[22:23], 8
	s_delay_alu instid0(SALU_CYCLE_1)
	v_cmp_gt_i64_e64 s30, s[8:9], s[22:23]
	s_and_b32 vcc_lo, exec_lo, s30
	s_wait_dscnt 0x6
	v_dual_mul_f32 v16, v41, v45 :: v_dual_mul_f32 v29, v40, v45
	v_dual_mul_f32 v31, v41, v47 :: v_dual_mul_f32 v33, v40, v47
	s_wait_dscnt 0x5
	v_dual_mul_f32 v35, v49, v45 :: v_dual_mul_f32 v37, v48, v45
	v_dual_mul_f32 v39, v49, v47 :: v_dual_mul_f32 v45, v48, v47
	v_dual_fma_f32 v16, v40, v44, -v16 :: v_dual_fmac_f32 v29, v41, v44
	v_dual_fma_f32 v31, v40, v46, -v31 :: v_dual_fmac_f32 v33, v41, v46
	s_delay_alu instid0(VALU_DEP_4) | instskip(NEXT) | instid1(VALU_DEP_3)
	v_dual_fma_f32 v35, v48, v44, -v35 :: v_dual_fmac_f32 v37, v49, v44
	v_dual_add_f32 v16, v36, v16 :: v_dual_add_f32 v36, v38, v29
	v_fma_f32 v29, v48, v46, -v39
	s_delay_alu instid0(VALU_DEP_4) | instskip(NEXT) | instid1(VALU_DEP_4)
	v_dual_add_f32 v32, v32, v31 :: v_dual_add_f32 v33, v34, v33
	v_dual_add_f32 v34, v28, v35 :: v_dual_add_f32 v35, v30, v37
	s_wait_dscnt 0x1
	v_dual_mul_f32 v37, v43, v65 :: v_dual_fmac_f32 v45, v49, v46
	v_add_f32_e32 v24, v24, v29
	ds_load_2addr_b64 v[28:31], v25 offset0:64 offset1:80
	v_dual_mul_f32 v38, v42, v65 :: v_dual_fma_f32 v37, v42, v64, -v37
	v_dual_mul_f32 v39, v43, v67 :: v_dual_add_f32 v26, v26, v45
	s_delay_alu instid0(VALU_DEP_2) | instskip(NEXT) | instid1(VALU_DEP_2)
	v_dual_mul_f32 v40, v42, v67 :: v_dual_fmac_f32 v38, v43, v64
	v_dual_add_f32 v16, v16, v37 :: v_dual_fma_f32 v37, v42, v66, -v39
	v_mul_f32_e32 v39, v51, v65
	s_delay_alu instid0(VALU_DEP_3) | instskip(NEXT) | instid1(VALU_DEP_4)
	v_fmac_f32_e32 v40, v43, v66
	v_dual_add_f32 v36, v36, v38 :: v_dual_mul_f32 v38, v50, v65
	s_delay_alu instid0(VALU_DEP_3) | instskip(NEXT) | instid1(VALU_DEP_3)
	v_dual_add_f32 v37, v32, v37 :: v_dual_fma_f32 v32, v50, v64, -v39
	v_dual_mul_f32 v39, v51, v67 :: v_dual_add_f32 v40, v33, v40
	s_delay_alu instid0(VALU_DEP_3) | instskip(SKIP_1) | instid1(VALU_DEP_3)
	v_dual_fmac_f32 v38, v51, v64 :: v_dual_mul_f32 v41, v50, v67
	s_wait_dscnt 0x0
	v_dual_add_f32 v42, v34, v32 :: v_dual_mul_f32 v33, v53, v29
	s_delay_alu instid0(VALU_DEP_3) | instskip(NEXT) | instid1(VALU_DEP_3)
	v_fma_f32 v32, v50, v66, -v39
	v_dual_add_f32 v38, v35, v38 :: v_dual_mul_f32 v39, v52, v29
	v_fmac_f32_e32 v41, v51, v66
	s_delay_alu instid0(VALU_DEP_4) | instskip(NEXT) | instid1(VALU_DEP_4)
	v_fma_f32 v43, v52, v28, -v33
	v_dual_add_f32 v24, v24, v32 :: v_dual_mul_f32 v44, v53, v31
	ds_load_2addr_b64 v[32:35], v25 offset0:96 offset1:112
	v_dual_fmac_f32 v39, v53, v28 :: v_dual_add_f32 v26, v26, v41
	v_add_f32_e32 v16, v16, v43
	v_dual_mul_f32 v41, v52, v31 :: v_dual_fma_f32 v43, v52, v30, -v44
	s_delay_alu instid0(VALU_DEP_3) | instskip(NEXT) | instid1(VALU_DEP_2)
	v_dual_add_f32 v36, v36, v39 :: v_dual_mul_f32 v39, v69, v29
	v_dual_mul_f32 v29, v68, v29 :: v_dual_fmac_f32 v41, v53, v30
	s_delay_alu instid0(VALU_DEP_3) | instskip(NEXT) | instid1(VALU_DEP_3)
	v_add_f32_e32 v37, v37, v43
	v_dual_mul_f32 v43, v69, v31 :: v_dual_fma_f32 v39, v68, v28, -v39
	s_delay_alu instid0(VALU_DEP_3) | instskip(NEXT) | instid1(VALU_DEP_4)
	v_dual_fmac_f32 v29, v69, v28 :: v_dual_mul_f32 v44, v68, v31
	v_add_f32_e32 v40, v40, v41
	s_delay_alu instid0(VALU_DEP_3) | instskip(NEXT) | instid1(VALU_DEP_3)
	v_dual_fma_f32 v28, v68, v30, -v43 :: v_dual_add_f32 v41, v42, v39
	v_dual_add_f32 v42, v38, v29 :: v_dual_fmac_f32 v44, v69, v30
	s_wait_dscnt 0x0
	s_delay_alu instid0(VALU_DEP_2) | instskip(SKIP_2) | instid1(VALU_DEP_1)
	v_dual_mul_f32 v38, v55, v33 :: v_dual_add_f32 v24, v24, v28
	ds_load_2addr_b64 v[28:31], v25 offset0:128 offset1:144
	v_dual_mul_f32 v39, v54, v33 :: v_dual_mul_f32 v43, v55, v35
	v_dual_fma_f32 v38, v54, v32, -v38 :: v_dual_fmac_f32 v39, v55, v32
	s_delay_alu instid0(VALU_DEP_1) | instskip(NEXT) | instid1(VALU_DEP_3)
	v_dual_add_f32 v26, v26, v44 :: v_dual_add_f32 v16, v16, v38
	v_dual_mul_f32 v44, v54, v35 :: v_dual_fma_f32 v43, v54, v34, -v43
	s_delay_alu instid0(VALU_DEP_3) | instskip(NEXT) | instid1(VALU_DEP_2)
	v_dual_mul_f32 v38, v71, v33 :: v_dual_add_f32 v45, v36, v39
	v_dual_mul_f32 v33, v70, v33 :: v_dual_fmac_f32 v44, v55, v34
	s_delay_alu instid0(VALU_DEP_2)
	v_dual_add_f32 v46, v37, v43 :: v_dual_fma_f32 v43, v70, v32, -v38
	v_mul_f32_e32 v47, v71, v35
	ds_load_b128 v[36:39], v27 offset:1056
	v_add_f32_e32 v44, v40, v44
	v_dual_fmac_f32 v33, v71, v32 :: v_dual_mul_f32 v40, v70, v35
	v_dual_fma_f32 v32, v70, v34, -v47 :: v_dual_add_f32 v47, v41, v43
	s_wait_dscnt 0x1
	v_mul_f32_e32 v35, v57, v29
	s_delay_alu instid0(VALU_DEP_3) | instskip(NEXT) | instid1(VALU_DEP_3)
	v_dual_add_f32 v48, v42, v33 :: v_dual_fmac_f32 v40, v71, v34
	v_add_f32_e32 v24, v24, v32
	s_delay_alu instid0(VALU_DEP_3) | instskip(NEXT) | instid1(VALU_DEP_3)
	v_dual_mul_f32 v49, v56, v29 :: v_dual_fma_f32 v41, v56, v28, -v35
	v_dual_mul_f32 v42, v57, v31 :: v_dual_add_f32 v26, v26, v40
	ds_load_2addr_b64 v[32:35], v25 offset0:160 offset1:176
	v_dual_fmac_f32 v49, v57, v28 :: v_dual_add_f32 v16, v16, v41
	v_dual_fma_f32 v50, v56, v30, -v42 :: v_dual_mul_f32 v51, v56, v31
	ds_load_b128 v[40:43], v27 offset:1072
	s_wait_dscnt 0x2
	v_dual_mul_f32 v52, v37, v29 :: v_dual_mul_f32 v29, v36, v29
	v_dual_add_f32 v45, v45, v49 :: v_dual_add_f32 v46, v46, v50
	s_delay_alu instid0(VALU_DEP_2) | instskip(NEXT) | instid1(VALU_DEP_3)
	v_dual_fmac_f32 v51, v57, v30 :: v_dual_fma_f32 v49, v36, v28, -v52
	v_dual_mul_f32 v50, v37, v31 :: v_dual_fmac_f32 v29, v37, v28
	s_delay_alu instid0(VALU_DEP_2) | instskip(NEXT) | instid1(VALU_DEP_2)
	v_dual_add_f32 v44, v44, v51 :: v_dual_add_f32 v47, v47, v49
	v_dual_mul_f32 v51, v36, v31 :: v_dual_fma_f32 v28, v36, v30, -v50
	s_delay_alu instid0(VALU_DEP_3) | instskip(SKIP_2) | instid1(VALU_DEP_3)
	v_add_f32_e32 v36, v48, v29
	s_wait_dscnt 0x1
	v_dual_mul_f32 v48, v59, v33 :: v_dual_mul_f32 v49, v59, v35
	v_dual_fmac_f32 v51, v37, v30 :: v_dual_add_f32 v24, v24, v28
	ds_load_2addr_b64 v[28:31], v25 offset0:192 offset1:208
	v_dual_mul_f32 v37, v58, v33 :: v_dual_fma_f32 v48, v58, v32, -v48
	s_delay_alu instid0(VALU_DEP_1) | instskip(NEXT) | instid1(VALU_DEP_2)
	v_dual_mul_f32 v50, v58, v35 :: v_dual_fmac_f32 v37, v59, v32
	v_dual_add_f32 v26, v26, v51 :: v_dual_add_f32 v16, v16, v48
	s_delay_alu instid0(VALU_DEP_2) | instskip(NEXT) | instid1(VALU_DEP_3)
	v_dual_fma_f32 v48, v58, v34, -v49 :: v_dual_fmac_f32 v50, v59, v34
	v_add_f32_e32 v37, v45, v37
	v_dual_mul_f32 v45, v39, v33 :: v_dual_mul_f32 v33, v38, v33
	s_delay_alu instid0(VALU_DEP_3) | instskip(NEXT) | instid1(VALU_DEP_2)
	v_dual_add_f32 v48, v46, v48 :: v_dual_mul_f32 v46, v39, v35
	v_dual_add_f32 v49, v44, v50 :: v_dual_fma_f32 v45, v38, v32, -v45
	s_delay_alu instid0(VALU_DEP_3) | instskip(SKIP_1) | instid1(VALU_DEP_3)
	v_dual_fmac_f32 v33, v39, v32 :: v_dual_mul_f32 v32, v38, v35
	s_wait_dscnt 0x0
	v_dual_fma_f32 v35, v38, v34, -v46 :: v_dual_mul_f32 v44, v61, v29
	s_delay_alu instid0(VALU_DEP_3) | instskip(NEXT) | instid1(VALU_DEP_3)
	v_add_f32_e32 v38, v47, v45
	v_dual_fmac_f32 v32, v39, v34 :: v_dual_mul_f32 v34, v60, v29
	s_delay_alu instid0(VALU_DEP_3) | instskip(NEXT) | instid1(VALU_DEP_4)
	v_add_f32_e32 v24, v24, v35
	v_fma_f32 v35, v60, v28, -v44
	ds_load_2addr_b64 v[44:47], v25 offset0:224 offset1:240
	v_dual_add_f32 v33, v36, v33 :: v_dual_add_f32 v26, v26, v32
	v_dual_mul_f32 v32, v61, v31 :: v_dual_fmac_f32 v34, v61, v28
	v_dual_add_f32 v16, v16, v35 :: v_dual_mul_f32 v36, v41, v29
	s_delay_alu instid0(VALU_DEP_2) | instskip(NEXT) | instid1(VALU_DEP_3)
	v_dual_mul_f32 v35, v60, v31 :: v_dual_fma_f32 v32, v60, v30, -v32
	v_dual_mul_f32 v29, v40, v29 :: v_dual_add_f32 v34, v37, v34
	s_delay_alu instid0(VALU_DEP_2) | instskip(NEXT) | instid1(VALU_DEP_3)
	v_dual_fma_f32 v36, v40, v28, -v36 :: v_dual_fmac_f32 v35, v61, v30
	v_add_f32_e32 v32, v48, v32
	s_delay_alu instid0(VALU_DEP_3) | instskip(SKIP_1) | instid1(VALU_DEP_4)
	v_dual_fmac_f32 v29, v41, v28 :: v_dual_mul_f32 v28, v41, v31
	v_mul_f32_e32 v31, v40, v31
	v_dual_add_f32 v35, v49, v35 :: v_dual_add_f32 v37, v38, v36
	s_delay_alu instid0(VALU_DEP_3) | instskip(SKIP_3) | instid1(VALU_DEP_3)
	v_dual_add_f32 v29, v33, v29 :: v_dual_fma_f32 v28, v40, v30, -v28
	s_wait_dscnt 0x0
	v_dual_mul_f32 v33, v63, v45 :: v_dual_mul_f32 v38, v62, v45
	v_dual_fmac_f32 v31, v41, v30 :: v_dual_mul_f32 v30, v63, v47
	v_add_f32_e32 v24, v24, v28
	s_delay_alu instid0(VALU_DEP_3) | instskip(NEXT) | instid1(VALU_DEP_3)
	v_dual_fma_f32 v28, v62, v44, -v33 :: v_dual_fmac_f32 v38, v63, v44
	v_dual_mul_f32 v33, v62, v47 :: v_dual_fma_f32 v30, v62, v46, -v30
	s_delay_alu instid0(VALU_DEP_2) | instskip(NEXT) | instid1(VALU_DEP_3)
	v_dual_add_f32 v26, v26, v31 :: v_dual_add_f32 v36, v16, v28
	v_dual_add_f32 v38, v34, v38 :: v_dual_mul_f32 v16, v43, v45
	s_delay_alu instid0(VALU_DEP_3) | instskip(NEXT) | instid1(VALU_DEP_4)
	v_fmac_f32_e32 v33, v63, v46
	v_dual_add_f32 v32, v32, v30 :: v_dual_mul_f32 v28, v43, v47
	v_dual_mul_f32 v30, v42, v45 :: v_dual_mul_f32 v31, v42, v47
	s_delay_alu instid0(VALU_DEP_3) | instskip(NEXT) | instid1(VALU_DEP_2)
	v_dual_add_f32 v34, v35, v33 :: v_dual_fma_f32 v16, v42, v44, -v16
	v_dual_fma_f32 v33, v42, v46, -v28 :: v_dual_fmac_f32 v30, v43, v44
	s_delay_alu instid0(VALU_DEP_3) | instskip(NEXT) | instid1(VALU_DEP_2)
	v_fmac_f32_e32 v31, v43, v46
	v_dual_add_f32 v28, v37, v16 :: v_dual_add_f32 v24, v24, v33
	s_delay_alu instid0(VALU_DEP_2)
	v_dual_add_f32 v30, v29, v30 :: v_dual_add_f32 v26, v26, v31
	s_barrier_signal -1
	s_barrier_wait -1
	s_cbranch_vccz .LBB507_15
.LBB507_9:                              ;   Parent Loop BB507_6 Depth=1
                                        ; =>  This Inner Loop Header: Depth=2
	v_dual_mov_b32 v40, 0 :: v_dual_mov_b32 v41, 0
	s_and_saveexec_b32 s30, s0
	s_cbranch_execz .LBB507_13
; %bb.10:                               ;   in Loop: Header=BB507_9 Depth=2
	v_dual_mov_b32 v41, 0 :: v_dual_add_nc_u32 v16, s22, v2
	v_mov_b32_e32 v40, 0
	s_mov_b32 s31, exec_lo
	s_delay_alu instid0(VALU_DEP_2)
	v_cmpx_gt_u64_e64 s[8:9], v[16:17]
	s_cbranch_execz .LBB507_12
; %bb.11:                               ;   in Loop: Header=BB507_9 Depth=2
	v_lshl_add_u64 v[40:41], v[16:17], 3, v[20:21]
	flat_load_b64 v[40:41], v[40:41]
.LBB507_12:                             ;   in Loop: Header=BB507_9 Depth=2
	s_wait_xcnt 0x0
	s_or_b32 exec_lo, exec_lo, s31
.LBB507_13:                             ;   in Loop: Header=BB507_9 Depth=2
	s_delay_alu instid0(SALU_CYCLE_1)
	s_or_b32 exec_lo, exec_lo, s30
	v_dual_add_nc_u32 v16, s22, v0 :: v_dual_mov_b32 v42, 0
	v_mov_b32_e32 v43, 0
	s_wait_loadcnt_dscnt 0x0
	ds_store_b64 v1, v[40:41]
	v_cmp_gt_u64_e32 vcc_lo, s[8:9], v[16:17]
	s_and_b32 s31, vcc_lo, s1
	s_delay_alu instid0(SALU_CYCLE_1)
	s_and_saveexec_b32 s30, s31
	s_cbranch_execz .LBB507_8
; %bb.14:                               ;   in Loop: Header=BB507_9 Depth=2
	v_lshl_add_u64 v[40:41], v[16:17], 3, v[22:23]
	flat_load_b64 v[42:43], v[40:41]
	s_branch .LBB507_8
.LBB507_15:                             ;   in Loop: Header=BB507_6 Depth=1
	s_wait_loadcnt 0x0
	v_add_nc_u64_e32 v[18:19], s[20:21], v[18:19]
	s_delay_alu instid0(VALU_DEP_1)
	v_lshl_add_u64 v[20:21], v[10:11], 3, v[18:19]
	s_wait_xcnt 0x0
	s_and_saveexec_b32 s22, s29
	s_cbranch_execz .LBB507_20
; %bb.16:                               ;   in Loop: Header=BB507_6 Depth=1
	v_mov_b64_e32 v[22:23], s[4:5]
	v_mov_b64_e32 v[40:41], s[24:25]
	s_and_b32 vcc_lo, exec_lo, s28
	s_mov_b32 s23, -1
	s_delay_alu instid0(VALU_DEP_2) | instskip(NEXT) | instid1(VALU_DEP_1)
	v_pk_mul_f32 v[22:23], v[38:39], v[22:23] op_sel_hi:[0,1]
	v_pk_fma_f32 v[38:39], v[36:37], v[40:41], v[22:23] op_sel_hi:[0,1,1]
	v_pk_fma_f32 v[22:23], v[36:37], v[40:41], v[22:23] neg_lo:[0,0,1] neg_hi:[0,0,1]
	v_lshl_add_u64 v[36:37], v[8:9], 3, v[20:21]
	s_delay_alu instid0(VALU_DEP_3)
	v_mov_b32_e32 v23, v39
	s_cbranch_vccz .LBB507_18
; %bb.17:                               ;   in Loop: Header=BB507_6 Depth=1
	flat_load_b64 v[38:39], v[36:37]
	v_mov_b64_e32 v[40:41], s[6:7]
	v_mov_b64_e32 v[42:43], s[2:3]
	s_mov_b32 s23, 0
	s_wait_loadcnt_dscnt 0x0
	s_delay_alu instid0(VALU_DEP_2) | instskip(NEXT) | instid1(VALU_DEP_1)
	v_pk_mul_f32 v[40:41], v[38:39], v[40:41]
	v_pk_fma_f32 v[44:45], v[38:39], v[42:43], v[40:41] op_sel:[0,0,1] op_sel_hi:[1,1,0]
	v_pk_fma_f32 v[38:39], v[38:39], v[42:43], v[40:41] op_sel:[0,0,1] op_sel_hi:[1,1,0] neg_lo:[0,0,1] neg_hi:[0,0,1]
	s_delay_alu instid0(VALU_DEP_2) | instskip(NEXT) | instid1(VALU_DEP_1)
	v_mov_b32_e32 v39, v45
	v_pk_add_f32 v[38:39], v[22:23], v[38:39]
	flat_store_b64 v[36:37], v[38:39]
.LBB507_18:                             ;   in Loop: Header=BB507_6 Depth=1
	s_and_not1_b32 vcc_lo, exec_lo, s23
	s_cbranch_vccnz .LBB507_20
; %bb.19:                               ;   in Loop: Header=BB507_6 Depth=1
	flat_store_b64 v[36:37], v[22:23]
.LBB507_20:                             ;   in Loop: Header=BB507_6 Depth=1
	s_wait_xcnt 0x0
	s_or_b32 exec_lo, exec_lo, s22
	s_and_saveexec_b32 s22, s34
	s_cbranch_execz .LBB507_25
; %bb.21:                               ;   in Loop: Header=BB507_6 Depth=1
	v_mov_b64_e32 v[22:23], s[4:5]
	v_mov_b64_e32 v[36:37], s[24:25]
	v_lshl_add_u64 v[20:21], v[14:15], 3, v[20:21]
	s_and_not1_b32 vcc_lo, exec_lo, s28
	s_mov_b32 s23, -1
	s_delay_alu instid0(VALU_DEP_3) | instskip(NEXT) | instid1(VALU_DEP_1)
	v_pk_mul_f32 v[22:23], v[34:35], v[22:23] op_sel_hi:[0,1]
	v_pk_fma_f32 v[34:35], v[32:33], v[36:37], v[22:23] op_sel_hi:[0,1,1]
	v_pk_fma_f32 v[22:23], v[32:33], v[36:37], v[22:23] neg_lo:[0,0,1] neg_hi:[0,0,1]
	s_delay_alu instid0(VALU_DEP_2)
	v_mov_b32_e32 v23, v35
	s_cbranch_vccnz .LBB507_23
; %bb.22:                               ;   in Loop: Header=BB507_6 Depth=1
	flat_load_b64 v[32:33], v[20:21]
	v_mov_b64_e32 v[34:35], s[6:7]
	v_mov_b64_e32 v[36:37], s[2:3]
	s_mov_b32 s23, 0
	s_wait_loadcnt_dscnt 0x0
	s_delay_alu instid0(VALU_DEP_2) | instskip(NEXT) | instid1(VALU_DEP_1)
	v_pk_mul_f32 v[34:35], v[32:33], v[34:35]
	v_pk_fma_f32 v[38:39], v[32:33], v[36:37], v[34:35] op_sel:[0,0,1] op_sel_hi:[1,1,0]
	v_pk_fma_f32 v[32:33], v[32:33], v[36:37], v[34:35] op_sel:[0,0,1] op_sel_hi:[1,1,0] neg_lo:[0,0,1] neg_hi:[0,0,1]
	s_delay_alu instid0(VALU_DEP_2) | instskip(NEXT) | instid1(VALU_DEP_1)
	v_mov_b32_e32 v33, v39
	v_pk_add_f32 v[32:33], v[22:23], v[32:33]
	flat_store_b64 v[20:21], v[32:33]
.LBB507_23:                             ;   in Loop: Header=BB507_6 Depth=1
	s_and_not1_b32 vcc_lo, exec_lo, s23
	s_cbranch_vccnz .LBB507_25
; %bb.24:                               ;   in Loop: Header=BB507_6 Depth=1
	flat_store_b64 v[20:21], v[22:23]
.LBB507_25:                             ;   in Loop: Header=BB507_6 Depth=1
	s_wait_xcnt 0x0
	s_or_b32 exec_lo, exec_lo, s22
	v_lshl_add_u64 v[18:19], v[12:13], 3, v[18:19]
	s_and_saveexec_b32 s22, s35
	s_cbranch_execz .LBB507_30
; %bb.26:                               ;   in Loop: Header=BB507_6 Depth=1
	v_mov_b64_e32 v[20:21], s[4:5]
	v_mov_b64_e32 v[22:23], s[24:25]
	s_and_not1_b32 vcc_lo, exec_lo, s28
	s_mov_b32 s23, -1
	s_delay_alu instid0(VALU_DEP_2) | instskip(NEXT) | instid1(VALU_DEP_1)
	v_pk_mul_f32 v[20:21], v[30:31], v[20:21] op_sel_hi:[0,1]
	v_pk_fma_f32 v[30:31], v[28:29], v[22:23], v[20:21] op_sel_hi:[0,1,1]
	v_pk_fma_f32 v[20:21], v[28:29], v[22:23], v[20:21] neg_lo:[0,0,1] neg_hi:[0,0,1]
	v_lshl_add_u64 v[22:23], v[8:9], 3, v[18:19]
	s_delay_alu instid0(VALU_DEP_3)
	v_mov_b32_e32 v21, v31
	s_cbranch_vccnz .LBB507_28
; %bb.27:                               ;   in Loop: Header=BB507_6 Depth=1
	flat_load_b64 v[28:29], v[22:23]
	v_mov_b64_e32 v[30:31], s[6:7]
	v_mov_b64_e32 v[32:33], s[2:3]
	s_mov_b32 s23, 0
	s_wait_loadcnt_dscnt 0x0
	s_delay_alu instid0(VALU_DEP_2) | instskip(NEXT) | instid1(VALU_DEP_1)
	v_pk_mul_f32 v[30:31], v[28:29], v[30:31]
	v_pk_fma_f32 v[34:35], v[28:29], v[32:33], v[30:31] op_sel:[0,0,1] op_sel_hi:[1,1,0]
	v_pk_fma_f32 v[28:29], v[28:29], v[32:33], v[30:31] op_sel:[0,0,1] op_sel_hi:[1,1,0] neg_lo:[0,0,1] neg_hi:[0,0,1]
	s_delay_alu instid0(VALU_DEP_2) | instskip(NEXT) | instid1(VALU_DEP_1)
	v_mov_b32_e32 v29, v35
	v_pk_add_f32 v[28:29], v[20:21], v[28:29]
	flat_store_b64 v[22:23], v[28:29]
.LBB507_28:                             ;   in Loop: Header=BB507_6 Depth=1
	s_and_not1_b32 vcc_lo, exec_lo, s23
	s_cbranch_vccnz .LBB507_30
; %bb.29:                               ;   in Loop: Header=BB507_6 Depth=1
	flat_store_b64 v[22:23], v[20:21]
.LBB507_30:                             ;   in Loop: Header=BB507_6 Depth=1
	s_wait_xcnt 0x0
	s_or_b32 exec_lo, exec_lo, s22
	s_and_saveexec_b32 s22, s36
	s_cbranch_execz .LBB507_5
; %bb.31:                               ;   in Loop: Header=BB507_6 Depth=1
	v_mov_b64_e32 v[20:21], s[4:5]
	v_mov_b64_e32 v[22:23], s[24:25]
	v_lshl_add_u64 v[18:19], v[14:15], 3, v[18:19]
	s_and_not1_b32 vcc_lo, exec_lo, s28
	s_mov_b32 s23, -1
	s_delay_alu instid0(VALU_DEP_3) | instskip(NEXT) | instid1(VALU_DEP_1)
	v_pk_mul_f32 v[20:21], v[26:27], v[20:21] op_sel_hi:[0,1]
	v_pk_fma_f32 v[28:29], v[24:25], v[22:23], v[20:21] op_sel_hi:[0,1,1]
	v_pk_fma_f32 v[20:21], v[24:25], v[22:23], v[20:21] neg_lo:[0,0,1] neg_hi:[0,0,1]
	s_delay_alu instid0(VALU_DEP_2)
	v_mov_b32_e32 v21, v29
	s_cbranch_vccnz .LBB507_33
; %bb.32:                               ;   in Loop: Header=BB507_6 Depth=1
	flat_load_b64 v[22:23], v[18:19]
	v_mov_b64_e32 v[28:29], s[6:7]
	v_mov_b64_e32 v[30:31], s[2:3]
	s_mov_b32 s23, 0
	s_wait_loadcnt_dscnt 0x0
	s_delay_alu instid0(VALU_DEP_2) | instskip(NEXT) | instid1(VALU_DEP_1)
	v_pk_mul_f32 v[28:29], v[22:23], v[28:29]
	v_pk_fma_f32 v[32:33], v[22:23], v[30:31], v[28:29] op_sel:[0,0,1] op_sel_hi:[1,1,0]
	v_pk_fma_f32 v[22:23], v[22:23], v[30:31], v[28:29] op_sel:[0,0,1] op_sel_hi:[1,1,0] neg_lo:[0,0,1] neg_hi:[0,0,1]
	s_delay_alu instid0(VALU_DEP_2) | instskip(NEXT) | instid1(VALU_DEP_1)
	v_mov_b32_e32 v23, v33
	v_pk_add_f32 v[22:23], v[20:21], v[22:23]
	flat_store_b64 v[18:19], v[22:23]
.LBB507_33:                             ;   in Loop: Header=BB507_6 Depth=1
	s_and_not1_b32 vcc_lo, exec_lo, s23
	s_cbranch_vccnz .LBB507_5
; %bb.34:                               ;   in Loop: Header=BB507_6 Depth=1
	flat_store_b64 v[18:19], v[20:21]
	s_branch .LBB507_5
.LBB507_35:
	s_sendmsg sendmsg(MSG_DEALLOC_VGPRS)
	s_endpgm
	.section	.rodata,"a",@progbits
	.p2align	6, 0x0
	.amdhsa_kernel _ZL29rocblas_internal_gemmt_kernelIlLi16ELi32ELi8ELc84ELc78ELc85ELb0ELb0E19rocblas_complex_numIfEPKS1_PKS3_PKPS1_EviT_T9_T10_S9_lSB_S9_lSA_T11_S9_li
		.amdhsa_group_segment_fixed_size 4096
		.amdhsa_private_segment_fixed_size 0
		.amdhsa_kernarg_size 108
		.amdhsa_user_sgpr_count 2
		.amdhsa_user_sgpr_dispatch_ptr 0
		.amdhsa_user_sgpr_queue_ptr 0
		.amdhsa_user_sgpr_kernarg_segment_ptr 1
		.amdhsa_user_sgpr_dispatch_id 0
		.amdhsa_user_sgpr_kernarg_preload_length 0
		.amdhsa_user_sgpr_kernarg_preload_offset 0
		.amdhsa_user_sgpr_private_segment_size 0
		.amdhsa_wavefront_size32 1
		.amdhsa_uses_dynamic_stack 0
		.amdhsa_enable_private_segment 0
		.amdhsa_system_sgpr_workgroup_id_x 1
		.amdhsa_system_sgpr_workgroup_id_y 1
		.amdhsa_system_sgpr_workgroup_id_z 1
		.amdhsa_system_sgpr_workgroup_info 0
		.amdhsa_system_vgpr_workitem_id 1
		.amdhsa_next_free_vgpr 72
		.amdhsa_next_free_sgpr 39
		.amdhsa_named_barrier_count 0
		.amdhsa_reserve_vcc 1
		.amdhsa_float_round_mode_32 0
		.amdhsa_float_round_mode_16_64 0
		.amdhsa_float_denorm_mode_32 3
		.amdhsa_float_denorm_mode_16_64 3
		.amdhsa_fp16_overflow 0
		.amdhsa_memory_ordered 1
		.amdhsa_forward_progress 1
		.amdhsa_inst_pref_size 26
		.amdhsa_round_robin_scheduling 0
		.amdhsa_exception_fp_ieee_invalid_op 0
		.amdhsa_exception_fp_denorm_src 0
		.amdhsa_exception_fp_ieee_div_zero 0
		.amdhsa_exception_fp_ieee_overflow 0
		.amdhsa_exception_fp_ieee_underflow 0
		.amdhsa_exception_fp_ieee_inexact 0
		.amdhsa_exception_int_div_zero 0
	.end_amdhsa_kernel
	.section	.text._ZL29rocblas_internal_gemmt_kernelIlLi16ELi32ELi8ELc84ELc78ELc85ELb0ELb0E19rocblas_complex_numIfEPKS1_PKS3_PKPS1_EviT_T9_T10_S9_lSB_S9_lSA_T11_S9_li,"axG",@progbits,_ZL29rocblas_internal_gemmt_kernelIlLi16ELi32ELi8ELc84ELc78ELc85ELb0ELb0E19rocblas_complex_numIfEPKS1_PKS3_PKPS1_EviT_T9_T10_S9_lSB_S9_lSA_T11_S9_li,comdat
.Lfunc_end507:
	.size	_ZL29rocblas_internal_gemmt_kernelIlLi16ELi32ELi8ELc84ELc78ELc85ELb0ELb0E19rocblas_complex_numIfEPKS1_PKS3_PKPS1_EviT_T9_T10_S9_lSB_S9_lSA_T11_S9_li, .Lfunc_end507-_ZL29rocblas_internal_gemmt_kernelIlLi16ELi32ELi8ELc84ELc78ELc85ELb0ELb0E19rocblas_complex_numIfEPKS1_PKS3_PKPS1_EviT_T9_T10_S9_lSB_S9_lSA_T11_S9_li
                                        ; -- End function
	.set _ZL29rocblas_internal_gemmt_kernelIlLi16ELi32ELi8ELc84ELc78ELc85ELb0ELb0E19rocblas_complex_numIfEPKS1_PKS3_PKPS1_EviT_T9_T10_S9_lSB_S9_lSA_T11_S9_li.num_vgpr, 72
	.set _ZL29rocblas_internal_gemmt_kernelIlLi16ELi32ELi8ELc84ELc78ELc85ELb0ELb0E19rocblas_complex_numIfEPKS1_PKS3_PKPS1_EviT_T9_T10_S9_lSB_S9_lSA_T11_S9_li.num_agpr, 0
	.set _ZL29rocblas_internal_gemmt_kernelIlLi16ELi32ELi8ELc84ELc78ELc85ELb0ELb0E19rocblas_complex_numIfEPKS1_PKS3_PKPS1_EviT_T9_T10_S9_lSB_S9_lSA_T11_S9_li.numbered_sgpr, 39
	.set _ZL29rocblas_internal_gemmt_kernelIlLi16ELi32ELi8ELc84ELc78ELc85ELb0ELb0E19rocblas_complex_numIfEPKS1_PKS3_PKPS1_EviT_T9_T10_S9_lSB_S9_lSA_T11_S9_li.num_named_barrier, 0
	.set _ZL29rocblas_internal_gemmt_kernelIlLi16ELi32ELi8ELc84ELc78ELc85ELb0ELb0E19rocblas_complex_numIfEPKS1_PKS3_PKPS1_EviT_T9_T10_S9_lSB_S9_lSA_T11_S9_li.private_seg_size, 0
	.set _ZL29rocblas_internal_gemmt_kernelIlLi16ELi32ELi8ELc84ELc78ELc85ELb0ELb0E19rocblas_complex_numIfEPKS1_PKS3_PKPS1_EviT_T9_T10_S9_lSB_S9_lSA_T11_S9_li.uses_vcc, 1
	.set _ZL29rocblas_internal_gemmt_kernelIlLi16ELi32ELi8ELc84ELc78ELc85ELb0ELb0E19rocblas_complex_numIfEPKS1_PKS3_PKPS1_EviT_T9_T10_S9_lSB_S9_lSA_T11_S9_li.uses_flat_scratch, 0
	.set _ZL29rocblas_internal_gemmt_kernelIlLi16ELi32ELi8ELc84ELc78ELc85ELb0ELb0E19rocblas_complex_numIfEPKS1_PKS3_PKPS1_EviT_T9_T10_S9_lSB_S9_lSA_T11_S9_li.has_dyn_sized_stack, 0
	.set _ZL29rocblas_internal_gemmt_kernelIlLi16ELi32ELi8ELc84ELc78ELc85ELb0ELb0E19rocblas_complex_numIfEPKS1_PKS3_PKPS1_EviT_T9_T10_S9_lSB_S9_lSA_T11_S9_li.has_recursion, 0
	.set _ZL29rocblas_internal_gemmt_kernelIlLi16ELi32ELi8ELc84ELc78ELc85ELb0ELb0E19rocblas_complex_numIfEPKS1_PKS3_PKPS1_EviT_T9_T10_S9_lSB_S9_lSA_T11_S9_li.has_indirect_call, 0
	.section	.AMDGPU.csdata,"",@progbits
; Kernel info:
; codeLenInByte = 3220
; TotalNumSgprs: 41
; NumVgprs: 72
; ScratchSize: 0
; MemoryBound: 0
; FloatMode: 240
; IeeeMode: 1
; LDSByteSize: 4096 bytes/workgroup (compile time only)
; SGPRBlocks: 0
; VGPRBlocks: 4
; NumSGPRsForWavesPerEU: 41
; NumVGPRsForWavesPerEU: 72
; NamedBarCnt: 0
; Occupancy: 12
; WaveLimiterHint : 1
; COMPUTE_PGM_RSRC2:SCRATCH_EN: 0
; COMPUTE_PGM_RSRC2:USER_SGPR: 2
; COMPUTE_PGM_RSRC2:TRAP_HANDLER: 0
; COMPUTE_PGM_RSRC2:TGID_X_EN: 1
; COMPUTE_PGM_RSRC2:TGID_Y_EN: 1
; COMPUTE_PGM_RSRC2:TGID_Z_EN: 1
; COMPUTE_PGM_RSRC2:TIDIG_COMP_CNT: 1
	.section	.text._ZL29rocblas_internal_gemmt_kernelIlLi16ELi32ELi8ELc84ELc84ELc85ELb0ELb0E19rocblas_complex_numIfEPKS1_PKS3_PKPS1_EviT_T9_T10_S9_lSB_S9_lSA_T11_S9_li,"axG",@progbits,_ZL29rocblas_internal_gemmt_kernelIlLi16ELi32ELi8ELc84ELc84ELc85ELb0ELb0E19rocblas_complex_numIfEPKS1_PKS3_PKPS1_EviT_T9_T10_S9_lSB_S9_lSA_T11_S9_li,comdat
	.globl	_ZL29rocblas_internal_gemmt_kernelIlLi16ELi32ELi8ELc84ELc84ELc85ELb0ELb0E19rocblas_complex_numIfEPKS1_PKS3_PKPS1_EviT_T9_T10_S9_lSB_S9_lSA_T11_S9_li ; -- Begin function _ZL29rocblas_internal_gemmt_kernelIlLi16ELi32ELi8ELc84ELc84ELc85ELb0ELb0E19rocblas_complex_numIfEPKS1_PKS3_PKPS1_EviT_T9_T10_S9_lSB_S9_lSA_T11_S9_li
	.p2align	8
	.type	_ZL29rocblas_internal_gemmt_kernelIlLi16ELi32ELi8ELc84ELc84ELc85ELb0ELb0E19rocblas_complex_numIfEPKS1_PKS3_PKPS1_EviT_T9_T10_S9_lSB_S9_lSA_T11_S9_li,@function
_ZL29rocblas_internal_gemmt_kernelIlLi16ELi32ELi8ELc84ELc84ELc85ELb0ELb0E19rocblas_complex_numIfEPKS1_PKS3_PKPS1_EviT_T9_T10_S9_lSB_S9_lSA_T11_S9_li: ; @_ZL29rocblas_internal_gemmt_kernelIlLi16ELi32ELi8ELc84ELc84ELc85ELb0ELb0E19rocblas_complex_numIfEPKS1_PKS3_PKPS1_EviT_T9_T10_S9_lSB_S9_lSA_T11_S9_li
; %bb.0:
	s_load_b256 s[24:31], s[0:1], 0x48
	s_wait_kmcnt 0x0
	s_load_b64 s[6:7], s[24:25], 0x0
	s_load_b512 s[8:23], s[0:1], 0x8
	s_wait_kmcnt 0x0
	s_cmp_neq_f32 s6, 1.0
	s_load_b64 s[24:25], s[10:11], 0x0
	s_cselect_b32 s2, -1, 0
	s_and_b32 s4, s7, 0x7fffffff
	s_delay_alu instid0(SALU_CYCLE_1) | instskip(SKIP_3) | instid1(SALU_CYCLE_1)
	s_cmp_eq_u32 s4, 0
	s_cselect_b32 s3, -1, 0
	s_cmp_lg_u32 s4, 0
	s_cselect_b32 s4, -1, 0
	s_or_b32 s2, s2, s4
	s_delay_alu instid0(SALU_CYCLE_1)
	s_and_b32 vcc_lo, exec_lo, s2
	s_cbranch_vccnz .LBB508_2
; %bb.1:
	s_cmp_lg_u64 s[8:9], 0
	s_cselect_b32 s2, -1, 0
	s_wait_kmcnt 0x0
	s_cmp_neq_f32 s24, 0
	s_cselect_b32 s4, -1, 0
	s_cmp_neq_f32 s25, 0
	s_cselect_b32 s5, -1, 0
	s_delay_alu instid0(SALU_CYCLE_1) | instskip(NEXT) | instid1(SALU_CYCLE_1)
	s_or_b32 s4, s4, s5
	s_and_b32 s2, s2, s4
.LBB508_2:
	s_delay_alu instid0(SALU_CYCLE_1)
	s_and_not1_b32 vcc_lo, exec_lo, s2
	s_cbranch_vccnz .LBB508_35
; %bb.3:
	s_load_b32 s33, s[0:1], 0x68
	s_bfe_u32 s2, ttmp6, 0x40014
	s_lshr_b32 s4, ttmp7, 16
	s_add_co_i32 s2, s2, 1
	s_wait_xcnt 0x0
	s_bfe_u32 s10, ttmp6, 0x40008
	s_mul_i32 s5, s4, s2
	s_getreg_b32 s2, hwreg(HW_REG_IB_STS2, 6, 4)
	s_add_co_i32 s10, s10, s5
	s_cmp_eq_u32 s2, 0
	s_mov_b32 s11, 0
	s_cselect_b32 s10, s4, s10
	s_wait_kmcnt 0x0
	s_cmp_ge_u32 s10, s33
	s_cbranch_scc1 .LBB508_35
; %bb.4:
	v_and_b32_e32 v9, 0x3ff, v0
	v_bfe_u32 v15, v0, 10, 10
	s_bfe_u32 s4, ttmp6, 0x4000c
	s_bfe_u32 s34, ttmp6, 0x40010
	s_add_co_i32 s4, s4, 1
	s_and_b32 s35, ttmp7, 0xffff
	s_add_co_i32 s34, s34, 1
	v_lshl_add_u32 v1, v15, 4, v9
	s_and_b32 s5, ttmp6, 15
	s_mul_i32 s4, ttmp9, s4
	s_mul_i32 s34, s35, s34
	s_bfe_u32 s36, ttmp6, 0x40004
	s_add_co_i32 s5, s5, s4
	s_add_co_i32 s36, s36, s34
	s_cmp_eq_u32 s2, 0
	s_load_b32 s4, s[0:1], 0x0
	v_dual_lshrrev_b32 v3, 3, v1 :: v_dual_bitop2_b32 v5, 31, v1 bitop3:0x40
	s_wait_xcnt 0x0
	s_cselect_b32 s0, ttmp9, s5
	s_cselect_b32 s1, s35, s36
	s_lshl_b32 s2, s0, 5
	s_lshl_b32 s0, s1, 5
	v_dual_lshrrev_b32 v2, 5, v1 :: v_dual_bitop2_b32 v0, 7, v0 bitop3:0x40
	v_dual_lshlrev_b32 v1, 3, v5 :: v_dual_add_nc_u32 v16, s0, v15
	v_dual_add_nc_u32 v4, s0, v3 :: v_dual_bitop2_b32 v6, s2, v5 bitop3:0x54
	s_delay_alu instid0(VALU_DEP_3) | instskip(NEXT) | instid1(VALU_DEP_3)
	v_dual_lshlrev_b32 v5, 3, v0 :: v_dual_add_nc_u32 v8, s2, v9
	v_dual_add_nc_u32 v18, 16, v16 :: v_dual_ashrrev_i32 v17, 31, v16
	s_delay_alu instid0(VALU_DEP_3) | instskip(SKIP_1) | instid1(VALU_DEP_3)
	v_ashrrev_i32_e32 v7, 31, v6
	s_cmp_neq_f32 s24, 0
	v_cmp_le_i32_e64 s2, v8, v16
	s_delay_alu instid0(VALU_DEP_3)
	v_ashrrev_i32_e32 v19, 31, v18
	s_wait_kmcnt 0x0
	v_cmp_gt_i32_e64 s0, s4, v6
	v_mul_u64_e32 v[6:7], s[14:15], v[6:7]
	v_mul_u64_e32 v[10:11], s[28:29], v[16:17]
	s_cselect_b32 s1, -1, 0
	v_mul_u64_e32 v[12:13], s[28:29], v[18:19]
	s_cmp_neq_f32 s25, 0
	v_cmp_gt_i32_e32 vcc_lo, s4, v16
	v_add_nc_u32_e32 v14, 16, v8
	v_lshl_or_b32 v3, v3, 6, v5
	s_cselect_b32 s5, -1, 0
	v_cmp_gt_i64_e64 s40, s[8:9], 0
	s_or_b32 s39, s1, s5
	s_cmp_neq_f32 s6, 0
	v_cmp_gt_i32_e64 s1, s4, v4
	v_dual_ashrrev_i32 v5, 31, v4 :: v_dual_lshlrev_b32 v25, 3, v9
	s_cselect_b32 s5, -1, 0
	s_xor_b32 s3, s3, -1
	s_and_b32 s35, vcc_lo, s2
	s_or_b32 s34, s5, s3
	v_cmp_gt_i32_e64 s3, s4, v18
	v_cmp_le_i32_e64 s4, v8, v18
	v_ashrrev_i32_e32 v9, 31, v8
	v_cmp_le_i32_e64 s2, v14, v16
	v_cmp_le_i32_e64 s5, v14, v18
	v_lshl_or_b32 v1, v2, 8, v1
	v_add_nc_u32_e32 v3, 0x800, v3
	v_lshl_add_u32 v27, v15, 6, 0x800
	v_dual_ashrrev_i32 v15, 31, v14 :: v_dual_mov_b32 v17, 0
	s_and_b32 s36, vcc_lo, s2
	s_and_b32 s37, s3, s4
	s_and_b32 s38, s3, s5
	s_mov_b32 s2, s6
	s_mov_b32 s3, s6
	;; [unrolled: 1-line block ×5, first 2 shown]
	s_and_b32 s39, s39, s40
	s_lshl_b64 s[14:15], s[22:23], 3
	s_lshl_b64 s[16:17], s[16:17], 3
	;; [unrolled: 1-line block ×3, first 2 shown]
	s_branch .LBB508_6
.LBB508_5:                              ;   in Loop: Header=BB508_6 Depth=1
	s_wait_xcnt 0x0
	s_or_b32 exec_lo, exec_lo, s28
	s_add_co_i32 s10, s10, 0x10000
	s_delay_alu instid0(SALU_CYCLE_1)
	s_cmp_lt_u32 s10, s33
	s_cbranch_scc0 .LBB508_35
.LBB508_6:                              ; =>This Loop Header: Depth=1
                                        ;     Child Loop BB508_9 Depth 2
	v_dual_mov_b32 v16, s10 :: v_dual_mov_b32 v36, v17
	v_dual_mov_b32 v38, v17 :: v_dual_mov_b32 v32, v17
	;; [unrolled: 1-line block ×3, first 2 shown]
	global_load_b64 v[18:19], v16, s[26:27] scale_offset
	v_dual_mov_b32 v30, v17 :: v_dual_mov_b32 v24, v17
	v_mov_b32_e32 v26, v17
	s_and_not1_b32 vcc_lo, exec_lo, s39
	s_cbranch_vccnz .LBB508_15
; %bb.7:                                ;   in Loop: Header=BB508_6 Depth=1
	s_lshl_b64 s[28:29], s[10:11], 3
	v_dual_mov_b32 v26, 0 :: v_dual_mov_b32 v24, 0
	s_add_nc_u64 s[30:31], s[12:13], s[28:29]
	s_add_nc_u64 s[28:29], s[18:19], s[28:29]
	s_clause 0x1
	global_load_b64 v[20:21], v17, s[30:31]
	global_load_b64 v[22:23], v17, s[28:29]
	v_dual_mov_b32 v30, 0 :: v_dual_mov_b32 v28, 0
	v_dual_mov_b32 v34, 0 :: v_dual_mov_b32 v32, 0
	;; [unrolled: 1-line block ×3, first 2 shown]
	s_wait_xcnt 0x0
	s_mov_b64 s[28:29], 0
	s_wait_loadcnt 0x1
	v_add_nc_u64_e32 v[20:21], s[16:17], v[20:21]
	s_wait_loadcnt 0x0
	v_add_nc_u64_e32 v[22:23], s[14:15], v[22:23]
	s_delay_alu instid0(VALU_DEP_2) | instskip(NEXT) | instid1(VALU_DEP_2)
	v_lshl_add_u64 v[20:21], v[6:7], 3, v[20:21]
	v_lshl_add_u64 v[22:23], v[4:5], 3, v[22:23]
	s_branch .LBB508_9
.LBB508_8:                              ;   in Loop: Header=BB508_9 Depth=2
	s_wait_xcnt 0x0
	s_or_b32 exec_lo, exec_lo, s30
	s_wait_loadcnt_dscnt 0x0
	ds_store_b64 v3, v[42:43]
	s_wait_dscnt 0x0
	s_barrier_signal -1
	s_barrier_wait -1
	ds_load_b128 v[40:43], v27
	ds_load_2addr_b64 v[44:47], v25 offset1:16
	ds_load_b128 v[48:51], v27 offset:1024
	ds_load_b128 v[52:55], v27 offset:16
	;; [unrolled: 1-line block ×4, first 2 shown]
	ds_load_2addr_b64 v[64:67], v25 offset0:32 offset1:48
	ds_load_b128 v[68:71], v27 offset:1040
	s_add_nc_u64 s[28:29], s[28:29], 8
	s_delay_alu instid0(SALU_CYCLE_1)
	v_cmp_gt_i64_e64 s30, s[8:9], s[28:29]
	s_and_b32 vcc_lo, exec_lo, s30
	s_wait_dscnt 0x6
	v_dual_mul_f32 v16, v41, v45 :: v_dual_mul_f32 v29, v40, v45
	v_dual_mul_f32 v31, v41, v47 :: v_dual_mul_f32 v33, v40, v47
	s_wait_dscnt 0x5
	v_dual_mul_f32 v35, v49, v45 :: v_dual_mul_f32 v37, v48, v45
	v_dual_mul_f32 v39, v49, v47 :: v_dual_mul_f32 v45, v48, v47
	v_dual_fma_f32 v16, v40, v44, -v16 :: v_dual_fmac_f32 v29, v41, v44
	v_dual_fma_f32 v31, v40, v46, -v31 :: v_dual_fmac_f32 v33, v41, v46
	s_delay_alu instid0(VALU_DEP_4) | instskip(NEXT) | instid1(VALU_DEP_3)
	v_dual_fma_f32 v35, v48, v44, -v35 :: v_dual_fmac_f32 v37, v49, v44
	v_dual_add_f32 v16, v36, v16 :: v_dual_add_f32 v36, v38, v29
	v_fma_f32 v29, v48, v46, -v39
	s_delay_alu instid0(VALU_DEP_4) | instskip(NEXT) | instid1(VALU_DEP_4)
	v_dual_add_f32 v32, v32, v31 :: v_dual_add_f32 v33, v34, v33
	v_dual_add_f32 v34, v28, v35 :: v_dual_add_f32 v35, v30, v37
	s_wait_dscnt 0x1
	v_dual_mul_f32 v37, v43, v65 :: v_dual_fmac_f32 v45, v49, v46
	v_add_f32_e32 v24, v24, v29
	ds_load_2addr_b64 v[28:31], v25 offset0:64 offset1:80
	v_dual_mul_f32 v38, v42, v65 :: v_dual_fma_f32 v37, v42, v64, -v37
	v_dual_mul_f32 v39, v43, v67 :: v_dual_add_f32 v26, v26, v45
	s_delay_alu instid0(VALU_DEP_2) | instskip(NEXT) | instid1(VALU_DEP_2)
	v_dual_mul_f32 v40, v42, v67 :: v_dual_fmac_f32 v38, v43, v64
	v_dual_add_f32 v16, v16, v37 :: v_dual_fma_f32 v37, v42, v66, -v39
	v_mul_f32_e32 v39, v51, v65
	s_delay_alu instid0(VALU_DEP_3) | instskip(NEXT) | instid1(VALU_DEP_4)
	v_fmac_f32_e32 v40, v43, v66
	v_dual_add_f32 v36, v36, v38 :: v_dual_mul_f32 v38, v50, v65
	s_delay_alu instid0(VALU_DEP_3) | instskip(NEXT) | instid1(VALU_DEP_3)
	v_dual_add_f32 v37, v32, v37 :: v_dual_fma_f32 v32, v50, v64, -v39
	v_dual_mul_f32 v39, v51, v67 :: v_dual_add_f32 v40, v33, v40
	s_delay_alu instid0(VALU_DEP_3) | instskip(SKIP_1) | instid1(VALU_DEP_3)
	v_dual_fmac_f32 v38, v51, v64 :: v_dual_mul_f32 v41, v50, v67
	s_wait_dscnt 0x0
	v_dual_add_f32 v42, v34, v32 :: v_dual_mul_f32 v33, v53, v29
	s_delay_alu instid0(VALU_DEP_3) | instskip(NEXT) | instid1(VALU_DEP_3)
	v_fma_f32 v32, v50, v66, -v39
	v_dual_add_f32 v38, v35, v38 :: v_dual_mul_f32 v39, v52, v29
	v_fmac_f32_e32 v41, v51, v66
	s_delay_alu instid0(VALU_DEP_4) | instskip(NEXT) | instid1(VALU_DEP_4)
	v_fma_f32 v43, v52, v28, -v33
	v_dual_add_f32 v24, v24, v32 :: v_dual_mul_f32 v44, v53, v31
	ds_load_2addr_b64 v[32:35], v25 offset0:96 offset1:112
	v_dual_fmac_f32 v39, v53, v28 :: v_dual_add_f32 v26, v26, v41
	v_add_f32_e32 v16, v16, v43
	v_dual_mul_f32 v41, v52, v31 :: v_dual_fma_f32 v43, v52, v30, -v44
	s_delay_alu instid0(VALU_DEP_3) | instskip(NEXT) | instid1(VALU_DEP_2)
	v_dual_add_f32 v36, v36, v39 :: v_dual_mul_f32 v39, v69, v29
	v_dual_mul_f32 v29, v68, v29 :: v_dual_fmac_f32 v41, v53, v30
	s_delay_alu instid0(VALU_DEP_3) | instskip(NEXT) | instid1(VALU_DEP_3)
	v_add_f32_e32 v37, v37, v43
	v_dual_mul_f32 v43, v69, v31 :: v_dual_fma_f32 v39, v68, v28, -v39
	s_delay_alu instid0(VALU_DEP_3) | instskip(NEXT) | instid1(VALU_DEP_4)
	v_dual_fmac_f32 v29, v69, v28 :: v_dual_mul_f32 v44, v68, v31
	v_add_f32_e32 v40, v40, v41
	s_delay_alu instid0(VALU_DEP_3) | instskip(NEXT) | instid1(VALU_DEP_3)
	v_dual_fma_f32 v28, v68, v30, -v43 :: v_dual_add_f32 v41, v42, v39
	v_dual_add_f32 v42, v38, v29 :: v_dual_fmac_f32 v44, v69, v30
	s_wait_dscnt 0x0
	s_delay_alu instid0(VALU_DEP_2) | instskip(SKIP_2) | instid1(VALU_DEP_1)
	v_dual_mul_f32 v38, v55, v33 :: v_dual_add_f32 v24, v24, v28
	ds_load_2addr_b64 v[28:31], v25 offset0:128 offset1:144
	v_dual_mul_f32 v39, v54, v33 :: v_dual_mul_f32 v43, v55, v35
	v_dual_fma_f32 v38, v54, v32, -v38 :: v_dual_fmac_f32 v39, v55, v32
	s_delay_alu instid0(VALU_DEP_1) | instskip(NEXT) | instid1(VALU_DEP_3)
	v_dual_add_f32 v26, v26, v44 :: v_dual_add_f32 v16, v16, v38
	v_dual_mul_f32 v44, v54, v35 :: v_dual_fma_f32 v43, v54, v34, -v43
	s_delay_alu instid0(VALU_DEP_3) | instskip(NEXT) | instid1(VALU_DEP_2)
	v_dual_mul_f32 v38, v71, v33 :: v_dual_add_f32 v45, v36, v39
	v_dual_mul_f32 v33, v70, v33 :: v_dual_fmac_f32 v44, v55, v34
	s_delay_alu instid0(VALU_DEP_2)
	v_dual_add_f32 v46, v37, v43 :: v_dual_fma_f32 v43, v70, v32, -v38
	v_mul_f32_e32 v47, v71, v35
	ds_load_b128 v[36:39], v27 offset:1056
	v_add_f32_e32 v44, v40, v44
	v_dual_fmac_f32 v33, v71, v32 :: v_dual_mul_f32 v40, v70, v35
	v_dual_fma_f32 v32, v70, v34, -v47 :: v_dual_add_f32 v47, v41, v43
	s_wait_dscnt 0x1
	v_mul_f32_e32 v35, v57, v29
	s_delay_alu instid0(VALU_DEP_3) | instskip(NEXT) | instid1(VALU_DEP_3)
	v_dual_add_f32 v48, v42, v33 :: v_dual_fmac_f32 v40, v71, v34
	v_add_f32_e32 v24, v24, v32
	s_delay_alu instid0(VALU_DEP_3) | instskip(NEXT) | instid1(VALU_DEP_3)
	v_dual_mul_f32 v49, v56, v29 :: v_dual_fma_f32 v41, v56, v28, -v35
	v_dual_mul_f32 v42, v57, v31 :: v_dual_add_f32 v26, v26, v40
	ds_load_2addr_b64 v[32:35], v25 offset0:160 offset1:176
	v_dual_fmac_f32 v49, v57, v28 :: v_dual_add_f32 v16, v16, v41
	v_dual_fma_f32 v50, v56, v30, -v42 :: v_dual_mul_f32 v51, v56, v31
	ds_load_b128 v[40:43], v27 offset:1072
	s_wait_dscnt 0x2
	v_dual_mul_f32 v52, v37, v29 :: v_dual_mul_f32 v29, v36, v29
	v_dual_add_f32 v45, v45, v49 :: v_dual_add_f32 v46, v46, v50
	s_delay_alu instid0(VALU_DEP_2) | instskip(NEXT) | instid1(VALU_DEP_3)
	v_dual_fmac_f32 v51, v57, v30 :: v_dual_fma_f32 v49, v36, v28, -v52
	v_dual_mul_f32 v50, v37, v31 :: v_dual_fmac_f32 v29, v37, v28
	s_delay_alu instid0(VALU_DEP_2) | instskip(NEXT) | instid1(VALU_DEP_2)
	v_dual_add_f32 v44, v44, v51 :: v_dual_add_f32 v47, v47, v49
	v_dual_mul_f32 v51, v36, v31 :: v_dual_fma_f32 v28, v36, v30, -v50
	s_delay_alu instid0(VALU_DEP_3) | instskip(SKIP_2) | instid1(VALU_DEP_3)
	v_add_f32_e32 v36, v48, v29
	s_wait_dscnt 0x1
	v_dual_mul_f32 v48, v59, v33 :: v_dual_mul_f32 v49, v59, v35
	v_dual_fmac_f32 v51, v37, v30 :: v_dual_add_f32 v24, v24, v28
	ds_load_2addr_b64 v[28:31], v25 offset0:192 offset1:208
	v_dual_mul_f32 v37, v58, v33 :: v_dual_fma_f32 v48, v58, v32, -v48
	s_delay_alu instid0(VALU_DEP_1) | instskip(NEXT) | instid1(VALU_DEP_2)
	v_dual_mul_f32 v50, v58, v35 :: v_dual_fmac_f32 v37, v59, v32
	v_dual_add_f32 v26, v26, v51 :: v_dual_add_f32 v16, v16, v48
	s_delay_alu instid0(VALU_DEP_2) | instskip(NEXT) | instid1(VALU_DEP_3)
	v_dual_fma_f32 v48, v58, v34, -v49 :: v_dual_fmac_f32 v50, v59, v34
	v_add_f32_e32 v37, v45, v37
	v_dual_mul_f32 v45, v39, v33 :: v_dual_mul_f32 v33, v38, v33
	s_delay_alu instid0(VALU_DEP_3) | instskip(NEXT) | instid1(VALU_DEP_2)
	v_dual_add_f32 v48, v46, v48 :: v_dual_mul_f32 v46, v39, v35
	v_dual_add_f32 v49, v44, v50 :: v_dual_fma_f32 v45, v38, v32, -v45
	s_delay_alu instid0(VALU_DEP_3) | instskip(SKIP_1) | instid1(VALU_DEP_3)
	v_dual_fmac_f32 v33, v39, v32 :: v_dual_mul_f32 v32, v38, v35
	s_wait_dscnt 0x0
	v_dual_fma_f32 v35, v38, v34, -v46 :: v_dual_mul_f32 v44, v61, v29
	s_delay_alu instid0(VALU_DEP_3) | instskip(NEXT) | instid1(VALU_DEP_3)
	v_add_f32_e32 v38, v47, v45
	v_dual_fmac_f32 v32, v39, v34 :: v_dual_mul_f32 v34, v60, v29
	s_delay_alu instid0(VALU_DEP_3) | instskip(NEXT) | instid1(VALU_DEP_4)
	v_add_f32_e32 v24, v24, v35
	v_fma_f32 v35, v60, v28, -v44
	ds_load_2addr_b64 v[44:47], v25 offset0:224 offset1:240
	v_dual_add_f32 v33, v36, v33 :: v_dual_add_f32 v26, v26, v32
	v_dual_mul_f32 v32, v61, v31 :: v_dual_fmac_f32 v34, v61, v28
	v_dual_add_f32 v16, v16, v35 :: v_dual_mul_f32 v36, v41, v29
	s_delay_alu instid0(VALU_DEP_2) | instskip(NEXT) | instid1(VALU_DEP_3)
	v_dual_mul_f32 v35, v60, v31 :: v_dual_fma_f32 v32, v60, v30, -v32
	v_dual_mul_f32 v29, v40, v29 :: v_dual_add_f32 v34, v37, v34
	s_delay_alu instid0(VALU_DEP_2) | instskip(NEXT) | instid1(VALU_DEP_3)
	v_dual_fma_f32 v36, v40, v28, -v36 :: v_dual_fmac_f32 v35, v61, v30
	v_add_f32_e32 v32, v48, v32
	s_delay_alu instid0(VALU_DEP_3) | instskip(SKIP_1) | instid1(VALU_DEP_4)
	v_dual_fmac_f32 v29, v41, v28 :: v_dual_mul_f32 v28, v41, v31
	v_mul_f32_e32 v31, v40, v31
	v_dual_add_f32 v35, v49, v35 :: v_dual_add_f32 v37, v38, v36
	s_delay_alu instid0(VALU_DEP_3) | instskip(SKIP_3) | instid1(VALU_DEP_3)
	v_dual_add_f32 v29, v33, v29 :: v_dual_fma_f32 v28, v40, v30, -v28
	s_wait_dscnt 0x0
	v_dual_mul_f32 v33, v63, v45 :: v_dual_mul_f32 v38, v62, v45
	v_dual_fmac_f32 v31, v41, v30 :: v_dual_mul_f32 v30, v63, v47
	v_add_f32_e32 v24, v24, v28
	s_delay_alu instid0(VALU_DEP_3) | instskip(NEXT) | instid1(VALU_DEP_3)
	v_dual_fma_f32 v28, v62, v44, -v33 :: v_dual_fmac_f32 v38, v63, v44
	v_dual_mul_f32 v33, v62, v47 :: v_dual_fma_f32 v30, v62, v46, -v30
	s_delay_alu instid0(VALU_DEP_2) | instskip(NEXT) | instid1(VALU_DEP_3)
	v_dual_add_f32 v26, v26, v31 :: v_dual_add_f32 v36, v16, v28
	v_dual_add_f32 v38, v34, v38 :: v_dual_mul_f32 v16, v43, v45
	s_delay_alu instid0(VALU_DEP_3) | instskip(NEXT) | instid1(VALU_DEP_4)
	v_fmac_f32_e32 v33, v63, v46
	v_dual_add_f32 v32, v32, v30 :: v_dual_mul_f32 v28, v43, v47
	v_dual_mul_f32 v30, v42, v45 :: v_dual_mul_f32 v31, v42, v47
	s_delay_alu instid0(VALU_DEP_3) | instskip(NEXT) | instid1(VALU_DEP_2)
	v_dual_add_f32 v34, v35, v33 :: v_dual_fma_f32 v16, v42, v44, -v16
	v_dual_fma_f32 v33, v42, v46, -v28 :: v_dual_fmac_f32 v30, v43, v44
	s_delay_alu instid0(VALU_DEP_3) | instskip(NEXT) | instid1(VALU_DEP_2)
	v_fmac_f32_e32 v31, v43, v46
	v_dual_add_f32 v28, v37, v16 :: v_dual_add_f32 v24, v24, v33
	s_delay_alu instid0(VALU_DEP_2)
	v_dual_add_f32 v30, v29, v30 :: v_dual_add_f32 v26, v26, v31
	s_barrier_signal -1
	s_barrier_wait -1
	s_cbranch_vccz .LBB508_15
.LBB508_9:                              ;   Parent Loop BB508_6 Depth=1
                                        ; =>  This Inner Loop Header: Depth=2
	v_dual_mov_b32 v40, 0 :: v_dual_mov_b32 v41, 0
	s_and_saveexec_b32 s30, s0
	s_cbranch_execz .LBB508_13
; %bb.10:                               ;   in Loop: Header=BB508_9 Depth=2
	v_dual_mov_b32 v41, 0 :: v_dual_add_nc_u32 v16, s28, v2
	v_mov_b32_e32 v40, 0
	s_mov_b32 s31, exec_lo
	s_delay_alu instid0(VALU_DEP_2)
	v_cmpx_gt_u64_e64 s[8:9], v[16:17]
	s_cbranch_execz .LBB508_12
; %bb.11:                               ;   in Loop: Header=BB508_9 Depth=2
	v_lshl_add_u64 v[40:41], v[16:17], 3, v[20:21]
	flat_load_b64 v[40:41], v[40:41]
.LBB508_12:                             ;   in Loop: Header=BB508_9 Depth=2
	s_wait_xcnt 0x0
	s_or_b32 exec_lo, exec_lo, s31
.LBB508_13:                             ;   in Loop: Header=BB508_9 Depth=2
	s_delay_alu instid0(SALU_CYCLE_1)
	s_or_b32 exec_lo, exec_lo, s30
	v_dual_add_nc_u32 v16, s28, v0 :: v_dual_mov_b32 v42, 0
	v_mov_b32_e32 v43, 0
	s_wait_loadcnt_dscnt 0x0
	ds_store_b64 v1, v[40:41]
	v_cmp_gt_u64_e32 vcc_lo, s[8:9], v[16:17]
	s_and_b32 s31, vcc_lo, s1
	s_delay_alu instid0(SALU_CYCLE_1)
	s_and_saveexec_b32 s30, s31
	s_cbranch_execz .LBB508_8
; %bb.14:                               ;   in Loop: Header=BB508_9 Depth=2
	v_mul_u64_e32 v[40:41], s[20:21], v[16:17]
	s_delay_alu instid0(VALU_DEP_1)
	v_lshl_add_u64 v[40:41], v[40:41], 3, v[22:23]
	flat_load_b64 v[42:43], v[40:41]
	s_branch .LBB508_8
.LBB508_15:                             ;   in Loop: Header=BB508_6 Depth=1
	s_wait_loadcnt 0x0
	v_add_nc_u64_e32 v[18:19], s[22:23], v[18:19]
	s_delay_alu instid0(VALU_DEP_1)
	v_lshl_add_u64 v[20:21], v[10:11], 3, v[18:19]
	s_wait_xcnt 0x0
	s_and_saveexec_b32 s28, s35
	s_cbranch_execz .LBB508_20
; %bb.16:                               ;   in Loop: Header=BB508_6 Depth=1
	v_mov_b64_e32 v[22:23], s[4:5]
	v_mov_b64_e32 v[40:41], s[24:25]
	s_and_b32 vcc_lo, exec_lo, s34
	s_mov_b32 s29, -1
	s_delay_alu instid0(VALU_DEP_2) | instskip(NEXT) | instid1(VALU_DEP_1)
	v_pk_mul_f32 v[22:23], v[38:39], v[22:23] op_sel_hi:[0,1]
	v_pk_fma_f32 v[38:39], v[36:37], v[40:41], v[22:23] op_sel_hi:[0,1,1]
	v_pk_fma_f32 v[22:23], v[36:37], v[40:41], v[22:23] neg_lo:[0,0,1] neg_hi:[0,0,1]
	v_lshl_add_u64 v[36:37], v[8:9], 3, v[20:21]
	s_delay_alu instid0(VALU_DEP_3)
	v_mov_b32_e32 v23, v39
	s_cbranch_vccz .LBB508_18
; %bb.17:                               ;   in Loop: Header=BB508_6 Depth=1
	flat_load_b64 v[38:39], v[36:37]
	v_mov_b64_e32 v[40:41], s[6:7]
	v_mov_b64_e32 v[42:43], s[2:3]
	s_mov_b32 s29, 0
	s_wait_loadcnt_dscnt 0x0
	s_delay_alu instid0(VALU_DEP_2) | instskip(NEXT) | instid1(VALU_DEP_1)
	v_pk_mul_f32 v[40:41], v[38:39], v[40:41]
	v_pk_fma_f32 v[44:45], v[38:39], v[42:43], v[40:41] op_sel:[0,0,1] op_sel_hi:[1,1,0]
	v_pk_fma_f32 v[38:39], v[38:39], v[42:43], v[40:41] op_sel:[0,0,1] op_sel_hi:[1,1,0] neg_lo:[0,0,1] neg_hi:[0,0,1]
	s_delay_alu instid0(VALU_DEP_2) | instskip(NEXT) | instid1(VALU_DEP_1)
	v_mov_b32_e32 v39, v45
	v_pk_add_f32 v[38:39], v[22:23], v[38:39]
	flat_store_b64 v[36:37], v[38:39]
.LBB508_18:                             ;   in Loop: Header=BB508_6 Depth=1
	s_and_not1_b32 vcc_lo, exec_lo, s29
	s_cbranch_vccnz .LBB508_20
; %bb.19:                               ;   in Loop: Header=BB508_6 Depth=1
	flat_store_b64 v[36:37], v[22:23]
.LBB508_20:                             ;   in Loop: Header=BB508_6 Depth=1
	s_wait_xcnt 0x0
	s_or_b32 exec_lo, exec_lo, s28
	s_and_saveexec_b32 s28, s36
	s_cbranch_execz .LBB508_25
; %bb.21:                               ;   in Loop: Header=BB508_6 Depth=1
	v_mov_b64_e32 v[22:23], s[4:5]
	v_mov_b64_e32 v[36:37], s[24:25]
	v_lshl_add_u64 v[20:21], v[14:15], 3, v[20:21]
	s_and_not1_b32 vcc_lo, exec_lo, s34
	s_mov_b32 s29, -1
	s_delay_alu instid0(VALU_DEP_3) | instskip(NEXT) | instid1(VALU_DEP_1)
	v_pk_mul_f32 v[22:23], v[34:35], v[22:23] op_sel_hi:[0,1]
	v_pk_fma_f32 v[34:35], v[32:33], v[36:37], v[22:23] op_sel_hi:[0,1,1]
	v_pk_fma_f32 v[22:23], v[32:33], v[36:37], v[22:23] neg_lo:[0,0,1] neg_hi:[0,0,1]
	s_delay_alu instid0(VALU_DEP_2)
	v_mov_b32_e32 v23, v35
	s_cbranch_vccnz .LBB508_23
; %bb.22:                               ;   in Loop: Header=BB508_6 Depth=1
	flat_load_b64 v[32:33], v[20:21]
	v_mov_b64_e32 v[34:35], s[6:7]
	v_mov_b64_e32 v[36:37], s[2:3]
	s_mov_b32 s29, 0
	s_wait_loadcnt_dscnt 0x0
	s_delay_alu instid0(VALU_DEP_2) | instskip(NEXT) | instid1(VALU_DEP_1)
	v_pk_mul_f32 v[34:35], v[32:33], v[34:35]
	v_pk_fma_f32 v[38:39], v[32:33], v[36:37], v[34:35] op_sel:[0,0,1] op_sel_hi:[1,1,0]
	v_pk_fma_f32 v[32:33], v[32:33], v[36:37], v[34:35] op_sel:[0,0,1] op_sel_hi:[1,1,0] neg_lo:[0,0,1] neg_hi:[0,0,1]
	s_delay_alu instid0(VALU_DEP_2) | instskip(NEXT) | instid1(VALU_DEP_1)
	v_mov_b32_e32 v33, v39
	v_pk_add_f32 v[32:33], v[22:23], v[32:33]
	flat_store_b64 v[20:21], v[32:33]
.LBB508_23:                             ;   in Loop: Header=BB508_6 Depth=1
	s_and_not1_b32 vcc_lo, exec_lo, s29
	s_cbranch_vccnz .LBB508_25
; %bb.24:                               ;   in Loop: Header=BB508_6 Depth=1
	flat_store_b64 v[20:21], v[22:23]
.LBB508_25:                             ;   in Loop: Header=BB508_6 Depth=1
	s_wait_xcnt 0x0
	s_or_b32 exec_lo, exec_lo, s28
	v_lshl_add_u64 v[18:19], v[12:13], 3, v[18:19]
	s_and_saveexec_b32 s28, s37
	s_cbranch_execz .LBB508_30
; %bb.26:                               ;   in Loop: Header=BB508_6 Depth=1
	v_mov_b64_e32 v[20:21], s[4:5]
	v_mov_b64_e32 v[22:23], s[24:25]
	s_and_not1_b32 vcc_lo, exec_lo, s34
	s_mov_b32 s29, -1
	s_delay_alu instid0(VALU_DEP_2) | instskip(NEXT) | instid1(VALU_DEP_1)
	v_pk_mul_f32 v[20:21], v[30:31], v[20:21] op_sel_hi:[0,1]
	v_pk_fma_f32 v[30:31], v[28:29], v[22:23], v[20:21] op_sel_hi:[0,1,1]
	v_pk_fma_f32 v[20:21], v[28:29], v[22:23], v[20:21] neg_lo:[0,0,1] neg_hi:[0,0,1]
	v_lshl_add_u64 v[22:23], v[8:9], 3, v[18:19]
	s_delay_alu instid0(VALU_DEP_3)
	v_mov_b32_e32 v21, v31
	s_cbranch_vccnz .LBB508_28
; %bb.27:                               ;   in Loop: Header=BB508_6 Depth=1
	flat_load_b64 v[28:29], v[22:23]
	v_mov_b64_e32 v[30:31], s[6:7]
	v_mov_b64_e32 v[32:33], s[2:3]
	s_mov_b32 s29, 0
	s_wait_loadcnt_dscnt 0x0
	s_delay_alu instid0(VALU_DEP_2) | instskip(NEXT) | instid1(VALU_DEP_1)
	v_pk_mul_f32 v[30:31], v[28:29], v[30:31]
	v_pk_fma_f32 v[34:35], v[28:29], v[32:33], v[30:31] op_sel:[0,0,1] op_sel_hi:[1,1,0]
	v_pk_fma_f32 v[28:29], v[28:29], v[32:33], v[30:31] op_sel:[0,0,1] op_sel_hi:[1,1,0] neg_lo:[0,0,1] neg_hi:[0,0,1]
	s_delay_alu instid0(VALU_DEP_2) | instskip(NEXT) | instid1(VALU_DEP_1)
	v_mov_b32_e32 v29, v35
	v_pk_add_f32 v[28:29], v[20:21], v[28:29]
	flat_store_b64 v[22:23], v[28:29]
.LBB508_28:                             ;   in Loop: Header=BB508_6 Depth=1
	s_and_not1_b32 vcc_lo, exec_lo, s29
	s_cbranch_vccnz .LBB508_30
; %bb.29:                               ;   in Loop: Header=BB508_6 Depth=1
	flat_store_b64 v[22:23], v[20:21]
.LBB508_30:                             ;   in Loop: Header=BB508_6 Depth=1
	s_wait_xcnt 0x0
	s_or_b32 exec_lo, exec_lo, s28
	s_and_saveexec_b32 s28, s38
	s_cbranch_execz .LBB508_5
; %bb.31:                               ;   in Loop: Header=BB508_6 Depth=1
	v_mov_b64_e32 v[20:21], s[4:5]
	v_mov_b64_e32 v[22:23], s[24:25]
	v_lshl_add_u64 v[18:19], v[14:15], 3, v[18:19]
	s_and_not1_b32 vcc_lo, exec_lo, s34
	s_mov_b32 s29, -1
	s_delay_alu instid0(VALU_DEP_3) | instskip(NEXT) | instid1(VALU_DEP_1)
	v_pk_mul_f32 v[20:21], v[26:27], v[20:21] op_sel_hi:[0,1]
	v_pk_fma_f32 v[28:29], v[24:25], v[22:23], v[20:21] op_sel_hi:[0,1,1]
	v_pk_fma_f32 v[20:21], v[24:25], v[22:23], v[20:21] neg_lo:[0,0,1] neg_hi:[0,0,1]
	s_delay_alu instid0(VALU_DEP_2)
	v_mov_b32_e32 v21, v29
	s_cbranch_vccnz .LBB508_33
; %bb.32:                               ;   in Loop: Header=BB508_6 Depth=1
	flat_load_b64 v[22:23], v[18:19]
	v_mov_b64_e32 v[28:29], s[6:7]
	v_mov_b64_e32 v[30:31], s[2:3]
	s_mov_b32 s29, 0
	s_wait_loadcnt_dscnt 0x0
	s_delay_alu instid0(VALU_DEP_2) | instskip(NEXT) | instid1(VALU_DEP_1)
	v_pk_mul_f32 v[28:29], v[22:23], v[28:29]
	v_pk_fma_f32 v[32:33], v[22:23], v[30:31], v[28:29] op_sel:[0,0,1] op_sel_hi:[1,1,0]
	v_pk_fma_f32 v[22:23], v[22:23], v[30:31], v[28:29] op_sel:[0,0,1] op_sel_hi:[1,1,0] neg_lo:[0,0,1] neg_hi:[0,0,1]
	s_delay_alu instid0(VALU_DEP_2) | instskip(NEXT) | instid1(VALU_DEP_1)
	v_mov_b32_e32 v23, v33
	v_pk_add_f32 v[22:23], v[20:21], v[22:23]
	flat_store_b64 v[18:19], v[22:23]
.LBB508_33:                             ;   in Loop: Header=BB508_6 Depth=1
	s_and_not1_b32 vcc_lo, exec_lo, s29
	s_cbranch_vccnz .LBB508_5
; %bb.34:                               ;   in Loop: Header=BB508_6 Depth=1
	flat_store_b64 v[18:19], v[20:21]
	s_branch .LBB508_5
.LBB508_35:
	s_sendmsg sendmsg(MSG_DEALLOC_VGPRS)
	s_endpgm
	.section	.rodata,"a",@progbits
	.p2align	6, 0x0
	.amdhsa_kernel _ZL29rocblas_internal_gemmt_kernelIlLi16ELi32ELi8ELc84ELc84ELc85ELb0ELb0E19rocblas_complex_numIfEPKS1_PKS3_PKPS1_EviT_T9_T10_S9_lSB_S9_lSA_T11_S9_li
		.amdhsa_group_segment_fixed_size 4096
		.amdhsa_private_segment_fixed_size 0
		.amdhsa_kernarg_size 108
		.amdhsa_user_sgpr_count 2
		.amdhsa_user_sgpr_dispatch_ptr 0
		.amdhsa_user_sgpr_queue_ptr 0
		.amdhsa_user_sgpr_kernarg_segment_ptr 1
		.amdhsa_user_sgpr_dispatch_id 0
		.amdhsa_user_sgpr_kernarg_preload_length 0
		.amdhsa_user_sgpr_kernarg_preload_offset 0
		.amdhsa_user_sgpr_private_segment_size 0
		.amdhsa_wavefront_size32 1
		.amdhsa_uses_dynamic_stack 0
		.amdhsa_enable_private_segment 0
		.amdhsa_system_sgpr_workgroup_id_x 1
		.amdhsa_system_sgpr_workgroup_id_y 1
		.amdhsa_system_sgpr_workgroup_id_z 1
		.amdhsa_system_sgpr_workgroup_info 0
		.amdhsa_system_vgpr_workitem_id 1
		.amdhsa_next_free_vgpr 72
		.amdhsa_next_free_sgpr 41
		.amdhsa_named_barrier_count 0
		.amdhsa_reserve_vcc 1
		.amdhsa_float_round_mode_32 0
		.amdhsa_float_round_mode_16_64 0
		.amdhsa_float_denorm_mode_32 3
		.amdhsa_float_denorm_mode_16_64 3
		.amdhsa_fp16_overflow 0
		.amdhsa_memory_ordered 1
		.amdhsa_forward_progress 1
		.amdhsa_inst_pref_size 26
		.amdhsa_round_robin_scheduling 0
		.amdhsa_exception_fp_ieee_invalid_op 0
		.amdhsa_exception_fp_denorm_src 0
		.amdhsa_exception_fp_ieee_div_zero 0
		.amdhsa_exception_fp_ieee_overflow 0
		.amdhsa_exception_fp_ieee_underflow 0
		.amdhsa_exception_fp_ieee_inexact 0
		.amdhsa_exception_int_div_zero 0
	.end_amdhsa_kernel
	.section	.text._ZL29rocblas_internal_gemmt_kernelIlLi16ELi32ELi8ELc84ELc84ELc85ELb0ELb0E19rocblas_complex_numIfEPKS1_PKS3_PKPS1_EviT_T9_T10_S9_lSB_S9_lSA_T11_S9_li,"axG",@progbits,_ZL29rocblas_internal_gemmt_kernelIlLi16ELi32ELi8ELc84ELc84ELc85ELb0ELb0E19rocblas_complex_numIfEPKS1_PKS3_PKPS1_EviT_T9_T10_S9_lSB_S9_lSA_T11_S9_li,comdat
.Lfunc_end508:
	.size	_ZL29rocblas_internal_gemmt_kernelIlLi16ELi32ELi8ELc84ELc84ELc85ELb0ELb0E19rocblas_complex_numIfEPKS1_PKS3_PKPS1_EviT_T9_T10_S9_lSB_S9_lSA_T11_S9_li, .Lfunc_end508-_ZL29rocblas_internal_gemmt_kernelIlLi16ELi32ELi8ELc84ELc84ELc85ELb0ELb0E19rocblas_complex_numIfEPKS1_PKS3_PKPS1_EviT_T9_T10_S9_lSB_S9_lSA_T11_S9_li
                                        ; -- End function
	.set _ZL29rocblas_internal_gemmt_kernelIlLi16ELi32ELi8ELc84ELc84ELc85ELb0ELb0E19rocblas_complex_numIfEPKS1_PKS3_PKPS1_EviT_T9_T10_S9_lSB_S9_lSA_T11_S9_li.num_vgpr, 72
	.set _ZL29rocblas_internal_gemmt_kernelIlLi16ELi32ELi8ELc84ELc84ELc85ELb0ELb0E19rocblas_complex_numIfEPKS1_PKS3_PKPS1_EviT_T9_T10_S9_lSB_S9_lSA_T11_S9_li.num_agpr, 0
	.set _ZL29rocblas_internal_gemmt_kernelIlLi16ELi32ELi8ELc84ELc84ELc85ELb0ELb0E19rocblas_complex_numIfEPKS1_PKS3_PKPS1_EviT_T9_T10_S9_lSB_S9_lSA_T11_S9_li.numbered_sgpr, 41
	.set _ZL29rocblas_internal_gemmt_kernelIlLi16ELi32ELi8ELc84ELc84ELc85ELb0ELb0E19rocblas_complex_numIfEPKS1_PKS3_PKPS1_EviT_T9_T10_S9_lSB_S9_lSA_T11_S9_li.num_named_barrier, 0
	.set _ZL29rocblas_internal_gemmt_kernelIlLi16ELi32ELi8ELc84ELc84ELc85ELb0ELb0E19rocblas_complex_numIfEPKS1_PKS3_PKPS1_EviT_T9_T10_S9_lSB_S9_lSA_T11_S9_li.private_seg_size, 0
	.set _ZL29rocblas_internal_gemmt_kernelIlLi16ELi32ELi8ELc84ELc84ELc85ELb0ELb0E19rocblas_complex_numIfEPKS1_PKS3_PKPS1_EviT_T9_T10_S9_lSB_S9_lSA_T11_S9_li.uses_vcc, 1
	.set _ZL29rocblas_internal_gemmt_kernelIlLi16ELi32ELi8ELc84ELc84ELc85ELb0ELb0E19rocblas_complex_numIfEPKS1_PKS3_PKPS1_EviT_T9_T10_S9_lSB_S9_lSA_T11_S9_li.uses_flat_scratch, 0
	.set _ZL29rocblas_internal_gemmt_kernelIlLi16ELi32ELi8ELc84ELc84ELc85ELb0ELb0E19rocblas_complex_numIfEPKS1_PKS3_PKPS1_EviT_T9_T10_S9_lSB_S9_lSA_T11_S9_li.has_dyn_sized_stack, 0
	.set _ZL29rocblas_internal_gemmt_kernelIlLi16ELi32ELi8ELc84ELc84ELc85ELb0ELb0E19rocblas_complex_numIfEPKS1_PKS3_PKPS1_EviT_T9_T10_S9_lSB_S9_lSA_T11_S9_li.has_recursion, 0
	.set _ZL29rocblas_internal_gemmt_kernelIlLi16ELi32ELi8ELc84ELc84ELc85ELb0ELb0E19rocblas_complex_numIfEPKS1_PKS3_PKPS1_EviT_T9_T10_S9_lSB_S9_lSA_T11_S9_li.has_indirect_call, 0
	.section	.AMDGPU.csdata,"",@progbits
; Kernel info:
; codeLenInByte = 3224
; TotalNumSgprs: 43
; NumVgprs: 72
; ScratchSize: 0
; MemoryBound: 0
; FloatMode: 240
; IeeeMode: 1
; LDSByteSize: 4096 bytes/workgroup (compile time only)
; SGPRBlocks: 0
; VGPRBlocks: 4
; NumSGPRsForWavesPerEU: 43
; NumVGPRsForWavesPerEU: 72
; NamedBarCnt: 0
; Occupancy: 12
; WaveLimiterHint : 1
; COMPUTE_PGM_RSRC2:SCRATCH_EN: 0
; COMPUTE_PGM_RSRC2:USER_SGPR: 2
; COMPUTE_PGM_RSRC2:TRAP_HANDLER: 0
; COMPUTE_PGM_RSRC2:TGID_X_EN: 1
; COMPUTE_PGM_RSRC2:TGID_Y_EN: 1
; COMPUTE_PGM_RSRC2:TGID_Z_EN: 1
; COMPUTE_PGM_RSRC2:TIDIG_COMP_CNT: 1
	.section	.text._ZL29rocblas_internal_gemmt_kernelIlLi16ELi32ELi8ELc84ELc67ELc85ELb0ELb1E19rocblas_complex_numIfEPKS1_PKS3_PKPS1_EviT_T9_T10_S9_lSB_S9_lSA_T11_S9_li,"axG",@progbits,_ZL29rocblas_internal_gemmt_kernelIlLi16ELi32ELi8ELc84ELc67ELc85ELb0ELb1E19rocblas_complex_numIfEPKS1_PKS3_PKPS1_EviT_T9_T10_S9_lSB_S9_lSA_T11_S9_li,comdat
	.globl	_ZL29rocblas_internal_gemmt_kernelIlLi16ELi32ELi8ELc84ELc67ELc85ELb0ELb1E19rocblas_complex_numIfEPKS1_PKS3_PKPS1_EviT_T9_T10_S9_lSB_S9_lSA_T11_S9_li ; -- Begin function _ZL29rocblas_internal_gemmt_kernelIlLi16ELi32ELi8ELc84ELc67ELc85ELb0ELb1E19rocblas_complex_numIfEPKS1_PKS3_PKPS1_EviT_T9_T10_S9_lSB_S9_lSA_T11_S9_li
	.p2align	8
	.type	_ZL29rocblas_internal_gemmt_kernelIlLi16ELi32ELi8ELc84ELc67ELc85ELb0ELb1E19rocblas_complex_numIfEPKS1_PKS3_PKPS1_EviT_T9_T10_S9_lSB_S9_lSA_T11_S9_li,@function
_ZL29rocblas_internal_gemmt_kernelIlLi16ELi32ELi8ELc84ELc67ELc85ELb0ELb1E19rocblas_complex_numIfEPKS1_PKS3_PKPS1_EviT_T9_T10_S9_lSB_S9_lSA_T11_S9_li: ; @_ZL29rocblas_internal_gemmt_kernelIlLi16ELi32ELi8ELc84ELc67ELc85ELb0ELb1E19rocblas_complex_numIfEPKS1_PKS3_PKPS1_EviT_T9_T10_S9_lSB_S9_lSA_T11_S9_li
; %bb.0:
	s_load_b256 s[24:31], s[0:1], 0x48
	s_wait_kmcnt 0x0
	s_load_b64 s[6:7], s[24:25], 0x0
	s_load_b512 s[8:23], s[0:1], 0x8
	s_wait_kmcnt 0x0
	s_cmp_neq_f32 s6, 1.0
	s_load_b64 s[24:25], s[10:11], 0x0
	s_cselect_b32 s2, -1, 0
	s_and_b32 s4, s7, 0x7fffffff
	s_delay_alu instid0(SALU_CYCLE_1) | instskip(SKIP_3) | instid1(SALU_CYCLE_1)
	s_cmp_eq_u32 s4, 0
	s_cselect_b32 s3, -1, 0
	s_cmp_lg_u32 s4, 0
	s_cselect_b32 s4, -1, 0
	s_or_b32 s2, s2, s4
	s_delay_alu instid0(SALU_CYCLE_1)
	s_and_b32 vcc_lo, exec_lo, s2
	s_cbranch_vccnz .LBB509_2
; %bb.1:
	s_cmp_lg_u64 s[8:9], 0
	s_cselect_b32 s2, -1, 0
	s_wait_kmcnt 0x0
	s_cmp_neq_f32 s24, 0
	s_cselect_b32 s4, -1, 0
	s_cmp_neq_f32 s25, 0
	s_cselect_b32 s5, -1, 0
	s_delay_alu instid0(SALU_CYCLE_1) | instskip(NEXT) | instid1(SALU_CYCLE_1)
	s_or_b32 s4, s4, s5
	s_and_b32 s2, s2, s4
.LBB509_2:
	s_delay_alu instid0(SALU_CYCLE_1)
	s_and_not1_b32 vcc_lo, exec_lo, s2
	s_cbranch_vccnz .LBB509_37
; %bb.3:
	s_load_b32 s33, s[0:1], 0x68
	s_bfe_u32 s2, ttmp6, 0x40014
	s_lshr_b32 s4, ttmp7, 16
	s_add_co_i32 s2, s2, 1
	s_wait_xcnt 0x0
	s_bfe_u32 s10, ttmp6, 0x40008
	s_mul_i32 s5, s4, s2
	s_getreg_b32 s2, hwreg(HW_REG_IB_STS2, 6, 4)
	s_add_co_i32 s10, s10, s5
	s_cmp_eq_u32 s2, 0
	s_mov_b32 s11, 0
	s_cselect_b32 s10, s4, s10
	s_wait_kmcnt 0x0
	s_cmp_ge_u32 s10, s33
	s_cbranch_scc1 .LBB509_37
; %bb.4:
	v_and_b32_e32 v9, 0x3ff, v0
	v_bfe_u32 v15, v0, 10, 10
	s_bfe_u32 s4, ttmp6, 0x4000c
	s_bfe_u32 s34, ttmp6, 0x40010
	s_add_co_i32 s4, s4, 1
	s_and_b32 s35, ttmp7, 0xffff
	s_add_co_i32 s34, s34, 1
	v_lshl_add_u32 v1, v15, 4, v9
	s_and_b32 s5, ttmp6, 15
	s_mul_i32 s4, ttmp9, s4
	s_mul_i32 s34, s35, s34
	s_bfe_u32 s36, ttmp6, 0x40004
	s_add_co_i32 s5, s5, s4
	s_add_co_i32 s36, s36, s34
	s_cmp_eq_u32 s2, 0
	s_load_b32 s4, s[0:1], 0x0
	v_dual_lshrrev_b32 v3, 3, v1 :: v_dual_bitop2_b32 v5, 31, v1 bitop3:0x40
	s_wait_xcnt 0x0
	s_cselect_b32 s0, ttmp9, s5
	s_cselect_b32 s1, s35, s36
	s_lshl_b32 s2, s0, 5
	s_lshl_b32 s0, s1, 5
	s_delay_alu instid0(SALU_CYCLE_1) | instskip(SKIP_1) | instid1(VALU_DEP_2)
	v_dual_add_nc_u32 v4, s0, v3 :: v_dual_bitop2_b32 v6, s2, v5 bitop3:0x54
	v_dual_add_nc_u32 v16, s0, v15 :: v_dual_lshrrev_b32 v2, 5, v1
	v_dual_ashrrev_i32 v7, 31, v6 :: v_dual_bitop2_b32 v0, 7, v0 bitop3:0x40
	s_delay_alu instid0(VALU_DEP_2) | instskip(SKIP_1) | instid1(VALU_DEP_3)
	v_dual_lshlrev_b32 v5, 3, v5 :: v_dual_add_nc_u32 v18, 16, v16
	v_ashrrev_i32_e32 v17, 31, v16
	v_lshlrev_b32_e32 v1, 3, v0
	s_cmp_neq_f32 s24, 0
	v_dual_add_nc_u32 v8, s2, v9 :: v_dual_lshlrev_b32 v25, 3, v9
	v_ashrrev_i32_e32 v19, 31, v18
	s_wait_kmcnt 0x0
	v_cmp_gt_i32_e64 s0, s4, v6
	v_lshl_or_b32 v3, v3, 6, v1
	v_lshl_or_b32 v1, v2, 8, v5
	v_mul_u64_e32 v[6:7], s[14:15], v[6:7]
	v_ashrrev_i32_e32 v5, 31, v4
	v_mul_u64_e32 v[10:11], s[28:29], v[16:17]
	v_mul_u64_e32 v[12:13], s[28:29], v[18:19]
	s_cselect_b32 s1, -1, 0
	s_cmp_neq_f32 s25, 0
	v_cmp_le_i32_e64 s2, v8, v16
	v_dual_add_nc_u32 v14, 16, v8 :: v_dual_ashrrev_i32 v9, 31, v8
	s_cselect_b32 s5, -1, 0
	v_cmp_gt_i64_e64 s39, s[8:9], 0
	s_or_b32 s38, s1, s5
	s_cmp_neq_f32 s6, 0
	v_cmp_gt_i32_e64 s1, s4, v16
	v_cmp_gt_i32_e32 vcc_lo, s4, v4
	v_add_nc_u32_e32 v3, 0x800, v3
	s_cselect_b32 s5, -1, 0
	s_xor_b32 s3, s3, -1
	s_and_b32 s35, s1, s2
	s_or_b32 s34, s5, s3
	v_cmp_le_i32_e64 s2, v14, v16
	v_cmp_gt_i32_e64 s3, s4, v18
	v_cmp_le_i32_e64 s4, v8, v18
	v_cmp_le_i32_e64 s5, v14, v18
	v_lshl_add_u32 v27, v15, 6, 0x800
	v_dual_ashrrev_i32 v15, 31, v14 :: v_dual_mov_b32 v17, 0
	s_and_b32 s1, s1, s2
	s_and_b32 s36, s3, s4
	s_and_b32 s37, s3, s5
	s_mov_b32 s2, s6
	s_mov_b32 s3, s6
	;; [unrolled: 1-line block ×5, first 2 shown]
	s_and_b32 s38, s38, s39
	s_lshl_b64 s[14:15], s[22:23], 3
	s_lshl_b64 s[16:17], s[16:17], 3
	s_xor_b32 s39, vcc_lo, -1
	s_lshl_b64 s[22:23], s[30:31], 3
	s_branch .LBB509_6
.LBB509_5:                              ;   in Loop: Header=BB509_6 Depth=1
	s_wait_xcnt 0x0
	s_or_b32 exec_lo, exec_lo, s28
	s_add_co_i32 s10, s10, 0x10000
	s_delay_alu instid0(SALU_CYCLE_1)
	s_cmp_lt_u32 s10, s33
	s_cbranch_scc0 .LBB509_37
.LBB509_6:                              ; =>This Loop Header: Depth=1
                                        ;     Child Loop BB509_9 Depth 2
	v_dual_mov_b32 v16, s10 :: v_dual_mov_b32 v36, v17
	v_dual_mov_b32 v38, v17 :: v_dual_mov_b32 v32, v17
	;; [unrolled: 1-line block ×3, first 2 shown]
	global_load_b64 v[18:19], v16, s[26:27] scale_offset
	v_dual_mov_b32 v30, v17 :: v_dual_mov_b32 v24, v17
	v_mov_b32_e32 v26, v17
	s_and_not1_b32 vcc_lo, exec_lo, s38
	s_cbranch_vccnz .LBB509_17
; %bb.7:                                ;   in Loop: Header=BB509_6 Depth=1
	s_lshl_b64 s[28:29], s[10:11], 3
	v_dual_mov_b32 v26, 0 :: v_dual_mov_b32 v24, 0
	s_add_nc_u64 s[30:31], s[12:13], s[28:29]
	s_add_nc_u64 s[28:29], s[18:19], s[28:29]
	s_clause 0x1
	global_load_b64 v[20:21], v17, s[30:31]
	global_load_b64 v[22:23], v17, s[28:29]
	v_dual_mov_b32 v30, 0 :: v_dual_mov_b32 v28, 0
	v_dual_mov_b32 v34, 0 :: v_dual_mov_b32 v32, 0
	v_dual_mov_b32 v38, 0 :: v_dual_mov_b32 v36, 0
	s_wait_xcnt 0x0
	s_mov_b64 s[28:29], 0
	s_wait_loadcnt 0x1
	v_add_nc_u64_e32 v[20:21], s[16:17], v[20:21]
	s_wait_loadcnt 0x0
	v_add_nc_u64_e32 v[22:23], s[14:15], v[22:23]
	s_delay_alu instid0(VALU_DEP_2) | instskip(NEXT) | instid1(VALU_DEP_2)
	v_lshl_add_u64 v[20:21], v[6:7], 3, v[20:21]
	v_lshl_add_u64 v[22:23], v[4:5], 3, v[22:23]
	s_branch .LBB509_9
.LBB509_8:                              ;   in Loop: Header=BB509_9 Depth=2
	s_wait_xcnt 0x0
	s_or_b32 exec_lo, exec_lo, s30
	ds_store_b32 v3, v29 offset:4
	s_wait_dscnt 0x0
	s_barrier_signal -1
	s_barrier_wait -1
	ds_load_b128 v[40:43], v27
	ds_load_2addr_b64 v[44:47], v25 offset1:16
	ds_load_b128 v[48:51], v27 offset:1024
	ds_load_b128 v[52:55], v27 offset:16
	;; [unrolled: 1-line block ×4, first 2 shown]
	ds_load_2addr_b64 v[64:67], v25 offset0:32 offset1:48
	ds_load_b128 v[68:71], v27 offset:1040
	s_add_nc_u64 s[28:29], s[28:29], 8
	s_delay_alu instid0(SALU_CYCLE_1)
	v_cmp_gt_i64_e64 s30, s[8:9], s[28:29]
	s_and_b32 vcc_lo, exec_lo, s30
	s_wait_dscnt 0x6
	v_dual_mul_f32 v16, v41, v45 :: v_dual_mul_f32 v29, v40, v45
	v_dual_mul_f32 v31, v41, v47 :: v_dual_mul_f32 v33, v40, v47
	s_wait_dscnt 0x5
	v_dual_mul_f32 v35, v49, v45 :: v_dual_mul_f32 v37, v48, v45
	v_dual_mul_f32 v39, v49, v47 :: v_dual_mul_f32 v45, v48, v47
	v_dual_fma_f32 v16, v40, v44, -v16 :: v_dual_fmac_f32 v29, v41, v44
	v_dual_fma_f32 v31, v40, v46, -v31 :: v_dual_fmac_f32 v33, v41, v46
	s_delay_alu instid0(VALU_DEP_4) | instskip(NEXT) | instid1(VALU_DEP_3)
	v_dual_fma_f32 v35, v48, v44, -v35 :: v_dual_fmac_f32 v37, v49, v44
	v_dual_add_f32 v16, v36, v16 :: v_dual_add_f32 v36, v38, v29
	v_fma_f32 v29, v48, v46, -v39
	s_delay_alu instid0(VALU_DEP_4) | instskip(NEXT) | instid1(VALU_DEP_4)
	v_dual_add_f32 v32, v32, v31 :: v_dual_add_f32 v33, v34, v33
	v_dual_add_f32 v34, v28, v35 :: v_dual_add_f32 v35, v30, v37
	s_wait_dscnt 0x1
	v_dual_mul_f32 v37, v43, v65 :: v_dual_fmac_f32 v45, v49, v46
	v_add_f32_e32 v24, v24, v29
	ds_load_2addr_b64 v[28:31], v25 offset0:64 offset1:80
	v_dual_mul_f32 v38, v42, v65 :: v_dual_fma_f32 v37, v42, v64, -v37
	v_dual_mul_f32 v39, v43, v67 :: v_dual_add_f32 v26, v26, v45
	s_delay_alu instid0(VALU_DEP_2) | instskip(NEXT) | instid1(VALU_DEP_2)
	v_dual_mul_f32 v40, v42, v67 :: v_dual_fmac_f32 v38, v43, v64
	v_dual_add_f32 v16, v16, v37 :: v_dual_fma_f32 v37, v42, v66, -v39
	v_mul_f32_e32 v39, v51, v65
	s_delay_alu instid0(VALU_DEP_3) | instskip(NEXT) | instid1(VALU_DEP_4)
	v_fmac_f32_e32 v40, v43, v66
	v_dual_add_f32 v36, v36, v38 :: v_dual_mul_f32 v38, v50, v65
	s_delay_alu instid0(VALU_DEP_3) | instskip(NEXT) | instid1(VALU_DEP_3)
	v_dual_add_f32 v37, v32, v37 :: v_dual_fma_f32 v32, v50, v64, -v39
	v_dual_mul_f32 v39, v51, v67 :: v_dual_add_f32 v40, v33, v40
	s_delay_alu instid0(VALU_DEP_3) | instskip(SKIP_1) | instid1(VALU_DEP_3)
	v_dual_fmac_f32 v38, v51, v64 :: v_dual_mul_f32 v41, v50, v67
	s_wait_dscnt 0x0
	v_dual_add_f32 v42, v34, v32 :: v_dual_mul_f32 v33, v53, v29
	s_delay_alu instid0(VALU_DEP_3) | instskip(NEXT) | instid1(VALU_DEP_3)
	v_fma_f32 v32, v50, v66, -v39
	v_dual_add_f32 v38, v35, v38 :: v_dual_mul_f32 v39, v52, v29
	v_fmac_f32_e32 v41, v51, v66
	s_delay_alu instid0(VALU_DEP_4) | instskip(NEXT) | instid1(VALU_DEP_4)
	v_fma_f32 v43, v52, v28, -v33
	v_dual_add_f32 v24, v24, v32 :: v_dual_mul_f32 v44, v53, v31
	ds_load_2addr_b64 v[32:35], v25 offset0:96 offset1:112
	v_dual_fmac_f32 v39, v53, v28 :: v_dual_add_f32 v26, v26, v41
	v_add_f32_e32 v16, v16, v43
	v_dual_mul_f32 v41, v52, v31 :: v_dual_fma_f32 v43, v52, v30, -v44
	s_delay_alu instid0(VALU_DEP_3) | instskip(NEXT) | instid1(VALU_DEP_2)
	v_dual_add_f32 v36, v36, v39 :: v_dual_mul_f32 v39, v69, v29
	v_dual_mul_f32 v29, v68, v29 :: v_dual_fmac_f32 v41, v53, v30
	s_delay_alu instid0(VALU_DEP_3) | instskip(NEXT) | instid1(VALU_DEP_3)
	v_add_f32_e32 v37, v37, v43
	v_dual_mul_f32 v43, v69, v31 :: v_dual_fma_f32 v39, v68, v28, -v39
	s_delay_alu instid0(VALU_DEP_3) | instskip(NEXT) | instid1(VALU_DEP_4)
	v_dual_fmac_f32 v29, v69, v28 :: v_dual_mul_f32 v44, v68, v31
	v_add_f32_e32 v40, v40, v41
	s_delay_alu instid0(VALU_DEP_3) | instskip(NEXT) | instid1(VALU_DEP_3)
	v_dual_fma_f32 v28, v68, v30, -v43 :: v_dual_add_f32 v41, v42, v39
	v_dual_add_f32 v42, v38, v29 :: v_dual_fmac_f32 v44, v69, v30
	s_wait_dscnt 0x0
	s_delay_alu instid0(VALU_DEP_2) | instskip(SKIP_2) | instid1(VALU_DEP_1)
	v_dual_mul_f32 v38, v55, v33 :: v_dual_add_f32 v24, v24, v28
	ds_load_2addr_b64 v[28:31], v25 offset0:128 offset1:144
	v_dual_mul_f32 v39, v54, v33 :: v_dual_mul_f32 v43, v55, v35
	v_dual_fma_f32 v38, v54, v32, -v38 :: v_dual_fmac_f32 v39, v55, v32
	s_delay_alu instid0(VALU_DEP_1) | instskip(NEXT) | instid1(VALU_DEP_3)
	v_dual_add_f32 v26, v26, v44 :: v_dual_add_f32 v16, v16, v38
	v_dual_mul_f32 v44, v54, v35 :: v_dual_fma_f32 v43, v54, v34, -v43
	s_delay_alu instid0(VALU_DEP_3) | instskip(NEXT) | instid1(VALU_DEP_2)
	v_dual_mul_f32 v38, v71, v33 :: v_dual_add_f32 v45, v36, v39
	v_dual_mul_f32 v33, v70, v33 :: v_dual_fmac_f32 v44, v55, v34
	s_delay_alu instid0(VALU_DEP_2)
	v_dual_add_f32 v46, v37, v43 :: v_dual_fma_f32 v43, v70, v32, -v38
	v_mul_f32_e32 v47, v71, v35
	ds_load_b128 v[36:39], v27 offset:1056
	v_add_f32_e32 v44, v40, v44
	v_dual_fmac_f32 v33, v71, v32 :: v_dual_mul_f32 v40, v70, v35
	v_dual_fma_f32 v32, v70, v34, -v47 :: v_dual_add_f32 v47, v41, v43
	s_wait_dscnt 0x1
	v_mul_f32_e32 v35, v57, v29
	s_delay_alu instid0(VALU_DEP_3) | instskip(NEXT) | instid1(VALU_DEP_3)
	v_dual_add_f32 v48, v42, v33 :: v_dual_fmac_f32 v40, v71, v34
	v_add_f32_e32 v24, v24, v32
	s_delay_alu instid0(VALU_DEP_3) | instskip(NEXT) | instid1(VALU_DEP_3)
	v_dual_mul_f32 v49, v56, v29 :: v_dual_fma_f32 v41, v56, v28, -v35
	v_dual_mul_f32 v42, v57, v31 :: v_dual_add_f32 v26, v26, v40
	ds_load_2addr_b64 v[32:35], v25 offset0:160 offset1:176
	v_dual_fmac_f32 v49, v57, v28 :: v_dual_add_f32 v16, v16, v41
	v_dual_fma_f32 v50, v56, v30, -v42 :: v_dual_mul_f32 v51, v56, v31
	ds_load_b128 v[40:43], v27 offset:1072
	s_wait_dscnt 0x2
	v_dual_mul_f32 v52, v37, v29 :: v_dual_mul_f32 v29, v36, v29
	v_dual_add_f32 v45, v45, v49 :: v_dual_add_f32 v46, v46, v50
	s_delay_alu instid0(VALU_DEP_2) | instskip(NEXT) | instid1(VALU_DEP_3)
	v_dual_fmac_f32 v51, v57, v30 :: v_dual_fma_f32 v49, v36, v28, -v52
	v_dual_mul_f32 v50, v37, v31 :: v_dual_fmac_f32 v29, v37, v28
	s_delay_alu instid0(VALU_DEP_2) | instskip(NEXT) | instid1(VALU_DEP_2)
	v_dual_add_f32 v44, v44, v51 :: v_dual_add_f32 v47, v47, v49
	v_dual_mul_f32 v51, v36, v31 :: v_dual_fma_f32 v28, v36, v30, -v50
	s_delay_alu instid0(VALU_DEP_3) | instskip(SKIP_2) | instid1(VALU_DEP_3)
	v_add_f32_e32 v36, v48, v29
	s_wait_dscnt 0x1
	v_dual_mul_f32 v48, v59, v33 :: v_dual_mul_f32 v49, v59, v35
	v_dual_fmac_f32 v51, v37, v30 :: v_dual_add_f32 v24, v24, v28
	ds_load_2addr_b64 v[28:31], v25 offset0:192 offset1:208
	v_dual_mul_f32 v37, v58, v33 :: v_dual_fma_f32 v48, v58, v32, -v48
	s_delay_alu instid0(VALU_DEP_1) | instskip(NEXT) | instid1(VALU_DEP_2)
	v_dual_mul_f32 v50, v58, v35 :: v_dual_fmac_f32 v37, v59, v32
	v_dual_add_f32 v26, v26, v51 :: v_dual_add_f32 v16, v16, v48
	s_delay_alu instid0(VALU_DEP_2) | instskip(NEXT) | instid1(VALU_DEP_3)
	v_dual_fma_f32 v48, v58, v34, -v49 :: v_dual_fmac_f32 v50, v59, v34
	v_add_f32_e32 v37, v45, v37
	v_dual_mul_f32 v45, v39, v33 :: v_dual_mul_f32 v33, v38, v33
	s_delay_alu instid0(VALU_DEP_3) | instskip(NEXT) | instid1(VALU_DEP_2)
	v_dual_add_f32 v48, v46, v48 :: v_dual_mul_f32 v46, v39, v35
	v_dual_add_f32 v49, v44, v50 :: v_dual_fma_f32 v45, v38, v32, -v45
	s_delay_alu instid0(VALU_DEP_3) | instskip(SKIP_1) | instid1(VALU_DEP_3)
	v_dual_fmac_f32 v33, v39, v32 :: v_dual_mul_f32 v32, v38, v35
	s_wait_dscnt 0x0
	v_dual_fma_f32 v35, v38, v34, -v46 :: v_dual_mul_f32 v44, v61, v29
	s_delay_alu instid0(VALU_DEP_3) | instskip(NEXT) | instid1(VALU_DEP_3)
	v_add_f32_e32 v38, v47, v45
	v_dual_fmac_f32 v32, v39, v34 :: v_dual_mul_f32 v34, v60, v29
	s_delay_alu instid0(VALU_DEP_3) | instskip(NEXT) | instid1(VALU_DEP_4)
	v_add_f32_e32 v24, v24, v35
	v_fma_f32 v35, v60, v28, -v44
	ds_load_2addr_b64 v[44:47], v25 offset0:224 offset1:240
	v_dual_add_f32 v33, v36, v33 :: v_dual_add_f32 v26, v26, v32
	v_dual_mul_f32 v32, v61, v31 :: v_dual_fmac_f32 v34, v61, v28
	v_dual_add_f32 v16, v16, v35 :: v_dual_mul_f32 v36, v41, v29
	s_delay_alu instid0(VALU_DEP_2) | instskip(NEXT) | instid1(VALU_DEP_3)
	v_dual_mul_f32 v35, v60, v31 :: v_dual_fma_f32 v32, v60, v30, -v32
	v_dual_mul_f32 v29, v40, v29 :: v_dual_add_f32 v34, v37, v34
	s_delay_alu instid0(VALU_DEP_2) | instskip(NEXT) | instid1(VALU_DEP_3)
	v_dual_fma_f32 v36, v40, v28, -v36 :: v_dual_fmac_f32 v35, v61, v30
	v_add_f32_e32 v32, v48, v32
	s_delay_alu instid0(VALU_DEP_3) | instskip(SKIP_1) | instid1(VALU_DEP_4)
	v_dual_fmac_f32 v29, v41, v28 :: v_dual_mul_f32 v28, v41, v31
	v_mul_f32_e32 v31, v40, v31
	v_dual_add_f32 v35, v49, v35 :: v_dual_add_f32 v37, v38, v36
	s_delay_alu instid0(VALU_DEP_3) | instskip(SKIP_3) | instid1(VALU_DEP_3)
	v_dual_add_f32 v29, v33, v29 :: v_dual_fma_f32 v28, v40, v30, -v28
	s_wait_dscnt 0x0
	v_dual_mul_f32 v33, v63, v45 :: v_dual_mul_f32 v38, v62, v45
	v_dual_fmac_f32 v31, v41, v30 :: v_dual_mul_f32 v30, v63, v47
	v_add_f32_e32 v24, v24, v28
	s_delay_alu instid0(VALU_DEP_3) | instskip(NEXT) | instid1(VALU_DEP_3)
	v_dual_fma_f32 v28, v62, v44, -v33 :: v_dual_fmac_f32 v38, v63, v44
	v_dual_mul_f32 v33, v62, v47 :: v_dual_fma_f32 v30, v62, v46, -v30
	s_delay_alu instid0(VALU_DEP_2) | instskip(NEXT) | instid1(VALU_DEP_3)
	v_dual_add_f32 v26, v26, v31 :: v_dual_add_f32 v36, v16, v28
	v_dual_add_f32 v38, v34, v38 :: v_dual_mul_f32 v16, v43, v45
	s_delay_alu instid0(VALU_DEP_3) | instskip(NEXT) | instid1(VALU_DEP_4)
	v_fmac_f32_e32 v33, v63, v46
	v_dual_add_f32 v32, v32, v30 :: v_dual_mul_f32 v28, v43, v47
	v_dual_mul_f32 v30, v42, v45 :: v_dual_mul_f32 v31, v42, v47
	s_delay_alu instid0(VALU_DEP_3) | instskip(NEXT) | instid1(VALU_DEP_2)
	v_dual_add_f32 v34, v35, v33 :: v_dual_fma_f32 v16, v42, v44, -v16
	v_dual_fma_f32 v33, v42, v46, -v28 :: v_dual_fmac_f32 v30, v43, v44
	s_delay_alu instid0(VALU_DEP_3) | instskip(NEXT) | instid1(VALU_DEP_2)
	v_fmac_f32_e32 v31, v43, v46
	v_dual_add_f32 v28, v37, v16 :: v_dual_add_f32 v24, v24, v33
	s_delay_alu instid0(VALU_DEP_2)
	v_dual_add_f32 v30, v29, v30 :: v_dual_add_f32 v26, v26, v31
	s_barrier_signal -1
	s_barrier_wait -1
	s_cbranch_vccz .LBB509_17
.LBB509_9:                              ;   Parent Loop BB509_6 Depth=1
                                        ; =>  This Inner Loop Header: Depth=2
	v_dual_mov_b32 v40, 0 :: v_dual_mov_b32 v41, 0
	s_and_saveexec_b32 s30, s0
	s_cbranch_execz .LBB509_13
; %bb.10:                               ;   in Loop: Header=BB509_9 Depth=2
	v_dual_mov_b32 v41, 0 :: v_dual_add_nc_u32 v16, s28, v2
	v_mov_b32_e32 v40, 0
	s_mov_b32 s31, exec_lo
	s_delay_alu instid0(VALU_DEP_2)
	v_cmpx_gt_u64_e64 s[8:9], v[16:17]
	s_cbranch_execz .LBB509_12
; %bb.11:                               ;   in Loop: Header=BB509_9 Depth=2
	v_lshl_add_u64 v[40:41], v[16:17], 3, v[20:21]
	flat_load_b64 v[40:41], v[40:41]
.LBB509_12:                             ;   in Loop: Header=BB509_9 Depth=2
	s_wait_xcnt 0x0
	s_or_b32 exec_lo, exec_lo, s31
.LBB509_13:                             ;   in Loop: Header=BB509_9 Depth=2
	s_delay_alu instid0(SALU_CYCLE_1)
	s_or_b32 exec_lo, exec_lo, s30
	v_add_nc_u32_e32 v16, s28, v0
	s_wait_loadcnt_dscnt 0x0
	ds_store_b64 v1, v[40:41]
	v_cmp_le_u64_e32 vcc_lo, s[8:9], v[16:17]
	s_or_b32 s30, vcc_lo, s39
	s_delay_alu instid0(SALU_CYCLE_1) | instskip(NEXT) | instid1(SALU_CYCLE_1)
	s_and_saveexec_b32 s31, s30
	s_xor_b32 s30, exec_lo, s31
; %bb.14:                               ;   in Loop: Header=BB509_9 Depth=2
	ds_store_b32 v3, v17
; %bb.15:                               ;   in Loop: Header=BB509_9 Depth=2
	s_or_saveexec_b32 s30, s30
	v_mov_b32_e32 v29, 0
	s_xor_b32 exec_lo, exec_lo, s30
	s_cbranch_execz .LBB509_8
; %bb.16:                               ;   in Loop: Header=BB509_9 Depth=2
	v_mul_u64_e32 v[40:41], s[20:21], v[16:17]
	s_delay_alu instid0(VALU_DEP_1)
	v_lshl_add_u64 v[40:41], v[40:41], 3, v[22:23]
	flat_load_b64 v[40:41], v[40:41]
	s_wait_loadcnt_dscnt 0x0
	v_xor_b32_e32 v29, 0x80000000, v41
	ds_store_b32 v3, v40
	s_branch .LBB509_8
.LBB509_17:                             ;   in Loop: Header=BB509_6 Depth=1
	s_wait_loadcnt 0x0
	v_add_nc_u64_e32 v[18:19], s[22:23], v[18:19]
	s_delay_alu instid0(VALU_DEP_1)
	v_lshl_add_u64 v[20:21], v[10:11], 3, v[18:19]
	s_wait_xcnt 0x0
	s_and_saveexec_b32 s28, s35
	s_cbranch_execz .LBB509_22
; %bb.18:                               ;   in Loop: Header=BB509_6 Depth=1
	v_mov_b64_e32 v[22:23], s[4:5]
	v_mov_b64_e32 v[40:41], s[24:25]
	s_and_b32 vcc_lo, exec_lo, s34
	s_mov_b32 s29, -1
	s_delay_alu instid0(VALU_DEP_2) | instskip(NEXT) | instid1(VALU_DEP_1)
	v_pk_mul_f32 v[22:23], v[38:39], v[22:23] op_sel_hi:[0,1]
	v_pk_fma_f32 v[38:39], v[36:37], v[40:41], v[22:23] op_sel_hi:[0,1,1]
	v_pk_fma_f32 v[22:23], v[36:37], v[40:41], v[22:23] neg_lo:[0,0,1] neg_hi:[0,0,1]
	v_lshl_add_u64 v[36:37], v[8:9], 3, v[20:21]
	s_delay_alu instid0(VALU_DEP_3)
	v_mov_b32_e32 v23, v39
	s_cbranch_vccz .LBB509_20
; %bb.19:                               ;   in Loop: Header=BB509_6 Depth=1
	flat_load_b64 v[38:39], v[36:37]
	v_mov_b64_e32 v[40:41], s[6:7]
	v_mov_b64_e32 v[42:43], s[2:3]
	s_mov_b32 s29, 0
	s_wait_loadcnt_dscnt 0x0
	s_delay_alu instid0(VALU_DEP_2) | instskip(NEXT) | instid1(VALU_DEP_1)
	v_pk_mul_f32 v[40:41], v[38:39], v[40:41]
	v_pk_fma_f32 v[44:45], v[38:39], v[42:43], v[40:41] op_sel:[0,0,1] op_sel_hi:[1,1,0]
	v_pk_fma_f32 v[38:39], v[38:39], v[42:43], v[40:41] op_sel:[0,0,1] op_sel_hi:[1,1,0] neg_lo:[0,0,1] neg_hi:[0,0,1]
	s_delay_alu instid0(VALU_DEP_2) | instskip(NEXT) | instid1(VALU_DEP_1)
	v_mov_b32_e32 v39, v45
	v_pk_add_f32 v[38:39], v[22:23], v[38:39]
	flat_store_b64 v[36:37], v[38:39]
.LBB509_20:                             ;   in Loop: Header=BB509_6 Depth=1
	s_and_not1_b32 vcc_lo, exec_lo, s29
	s_cbranch_vccnz .LBB509_22
; %bb.21:                               ;   in Loop: Header=BB509_6 Depth=1
	flat_store_b64 v[36:37], v[22:23]
.LBB509_22:                             ;   in Loop: Header=BB509_6 Depth=1
	s_wait_xcnt 0x0
	s_or_b32 exec_lo, exec_lo, s28
	s_and_saveexec_b32 s28, s1
	s_cbranch_execz .LBB509_27
; %bb.23:                               ;   in Loop: Header=BB509_6 Depth=1
	v_mov_b64_e32 v[22:23], s[4:5]
	v_mov_b64_e32 v[36:37], s[24:25]
	v_lshl_add_u64 v[20:21], v[14:15], 3, v[20:21]
	s_and_not1_b32 vcc_lo, exec_lo, s34
	s_mov_b32 s29, -1
	s_delay_alu instid0(VALU_DEP_3) | instskip(NEXT) | instid1(VALU_DEP_1)
	v_pk_mul_f32 v[22:23], v[34:35], v[22:23] op_sel_hi:[0,1]
	v_pk_fma_f32 v[34:35], v[32:33], v[36:37], v[22:23] op_sel_hi:[0,1,1]
	v_pk_fma_f32 v[22:23], v[32:33], v[36:37], v[22:23] neg_lo:[0,0,1] neg_hi:[0,0,1]
	s_delay_alu instid0(VALU_DEP_2)
	v_mov_b32_e32 v23, v35
	s_cbranch_vccnz .LBB509_25
; %bb.24:                               ;   in Loop: Header=BB509_6 Depth=1
	flat_load_b64 v[32:33], v[20:21]
	v_mov_b64_e32 v[34:35], s[6:7]
	v_mov_b64_e32 v[36:37], s[2:3]
	s_mov_b32 s29, 0
	s_wait_loadcnt_dscnt 0x0
	s_delay_alu instid0(VALU_DEP_2) | instskip(NEXT) | instid1(VALU_DEP_1)
	v_pk_mul_f32 v[34:35], v[32:33], v[34:35]
	v_pk_fma_f32 v[38:39], v[32:33], v[36:37], v[34:35] op_sel:[0,0,1] op_sel_hi:[1,1,0]
	v_pk_fma_f32 v[32:33], v[32:33], v[36:37], v[34:35] op_sel:[0,0,1] op_sel_hi:[1,1,0] neg_lo:[0,0,1] neg_hi:[0,0,1]
	s_delay_alu instid0(VALU_DEP_2) | instskip(NEXT) | instid1(VALU_DEP_1)
	v_mov_b32_e32 v33, v39
	v_pk_add_f32 v[32:33], v[22:23], v[32:33]
	flat_store_b64 v[20:21], v[32:33]
.LBB509_25:                             ;   in Loop: Header=BB509_6 Depth=1
	s_and_not1_b32 vcc_lo, exec_lo, s29
	s_cbranch_vccnz .LBB509_27
; %bb.26:                               ;   in Loop: Header=BB509_6 Depth=1
	flat_store_b64 v[20:21], v[22:23]
.LBB509_27:                             ;   in Loop: Header=BB509_6 Depth=1
	s_wait_xcnt 0x0
	s_or_b32 exec_lo, exec_lo, s28
	v_lshl_add_u64 v[18:19], v[12:13], 3, v[18:19]
	s_and_saveexec_b32 s28, s36
	s_cbranch_execz .LBB509_32
; %bb.28:                               ;   in Loop: Header=BB509_6 Depth=1
	v_mov_b64_e32 v[20:21], s[4:5]
	v_mov_b64_e32 v[22:23], s[24:25]
	s_and_not1_b32 vcc_lo, exec_lo, s34
	s_mov_b32 s29, -1
	s_delay_alu instid0(VALU_DEP_2) | instskip(NEXT) | instid1(VALU_DEP_1)
	v_pk_mul_f32 v[20:21], v[30:31], v[20:21] op_sel_hi:[0,1]
	v_pk_fma_f32 v[30:31], v[28:29], v[22:23], v[20:21] op_sel_hi:[0,1,1]
	v_pk_fma_f32 v[20:21], v[28:29], v[22:23], v[20:21] neg_lo:[0,0,1] neg_hi:[0,0,1]
	v_lshl_add_u64 v[22:23], v[8:9], 3, v[18:19]
	s_delay_alu instid0(VALU_DEP_3)
	v_mov_b32_e32 v21, v31
	s_cbranch_vccnz .LBB509_30
; %bb.29:                               ;   in Loop: Header=BB509_6 Depth=1
	flat_load_b64 v[28:29], v[22:23]
	v_mov_b64_e32 v[30:31], s[6:7]
	v_mov_b64_e32 v[32:33], s[2:3]
	s_mov_b32 s29, 0
	s_wait_loadcnt_dscnt 0x0
	s_delay_alu instid0(VALU_DEP_2) | instskip(NEXT) | instid1(VALU_DEP_1)
	v_pk_mul_f32 v[30:31], v[28:29], v[30:31]
	v_pk_fma_f32 v[34:35], v[28:29], v[32:33], v[30:31] op_sel:[0,0,1] op_sel_hi:[1,1,0]
	v_pk_fma_f32 v[28:29], v[28:29], v[32:33], v[30:31] op_sel:[0,0,1] op_sel_hi:[1,1,0] neg_lo:[0,0,1] neg_hi:[0,0,1]
	s_delay_alu instid0(VALU_DEP_2) | instskip(NEXT) | instid1(VALU_DEP_1)
	v_mov_b32_e32 v29, v35
	v_pk_add_f32 v[28:29], v[20:21], v[28:29]
	flat_store_b64 v[22:23], v[28:29]
.LBB509_30:                             ;   in Loop: Header=BB509_6 Depth=1
	s_and_not1_b32 vcc_lo, exec_lo, s29
	s_cbranch_vccnz .LBB509_32
; %bb.31:                               ;   in Loop: Header=BB509_6 Depth=1
	flat_store_b64 v[22:23], v[20:21]
.LBB509_32:                             ;   in Loop: Header=BB509_6 Depth=1
	s_wait_xcnt 0x0
	s_or_b32 exec_lo, exec_lo, s28
	s_and_saveexec_b32 s28, s37
	s_cbranch_execz .LBB509_5
; %bb.33:                               ;   in Loop: Header=BB509_6 Depth=1
	v_mov_b64_e32 v[20:21], s[4:5]
	v_mov_b64_e32 v[22:23], s[24:25]
	v_lshl_add_u64 v[18:19], v[14:15], 3, v[18:19]
	s_and_not1_b32 vcc_lo, exec_lo, s34
	s_mov_b32 s29, -1
	s_delay_alu instid0(VALU_DEP_3) | instskip(NEXT) | instid1(VALU_DEP_1)
	v_pk_mul_f32 v[20:21], v[26:27], v[20:21] op_sel_hi:[0,1]
	v_pk_fma_f32 v[28:29], v[24:25], v[22:23], v[20:21] op_sel_hi:[0,1,1]
	v_pk_fma_f32 v[20:21], v[24:25], v[22:23], v[20:21] neg_lo:[0,0,1] neg_hi:[0,0,1]
	s_delay_alu instid0(VALU_DEP_2)
	v_mov_b32_e32 v21, v29
	s_cbranch_vccnz .LBB509_35
; %bb.34:                               ;   in Loop: Header=BB509_6 Depth=1
	flat_load_b64 v[22:23], v[18:19]
	v_mov_b64_e32 v[28:29], s[6:7]
	v_mov_b64_e32 v[30:31], s[2:3]
	s_mov_b32 s29, 0
	s_wait_loadcnt_dscnt 0x0
	s_delay_alu instid0(VALU_DEP_2) | instskip(NEXT) | instid1(VALU_DEP_1)
	v_pk_mul_f32 v[28:29], v[22:23], v[28:29]
	v_pk_fma_f32 v[32:33], v[22:23], v[30:31], v[28:29] op_sel:[0,0,1] op_sel_hi:[1,1,0]
	v_pk_fma_f32 v[22:23], v[22:23], v[30:31], v[28:29] op_sel:[0,0,1] op_sel_hi:[1,1,0] neg_lo:[0,0,1] neg_hi:[0,0,1]
	s_delay_alu instid0(VALU_DEP_2) | instskip(NEXT) | instid1(VALU_DEP_1)
	v_mov_b32_e32 v23, v33
	v_pk_add_f32 v[22:23], v[20:21], v[22:23]
	flat_store_b64 v[18:19], v[22:23]
.LBB509_35:                             ;   in Loop: Header=BB509_6 Depth=1
	s_and_not1_b32 vcc_lo, exec_lo, s29
	s_cbranch_vccnz .LBB509_5
; %bb.36:                               ;   in Loop: Header=BB509_6 Depth=1
	flat_store_b64 v[18:19], v[20:21]
	s_branch .LBB509_5
.LBB509_37:
	s_sendmsg sendmsg(MSG_DEALLOC_VGPRS)
	s_endpgm
	.section	.rodata,"a",@progbits
	.p2align	6, 0x0
	.amdhsa_kernel _ZL29rocblas_internal_gemmt_kernelIlLi16ELi32ELi8ELc84ELc67ELc85ELb0ELb1E19rocblas_complex_numIfEPKS1_PKS3_PKPS1_EviT_T9_T10_S9_lSB_S9_lSA_T11_S9_li
		.amdhsa_group_segment_fixed_size 4096
		.amdhsa_private_segment_fixed_size 0
		.amdhsa_kernarg_size 108
		.amdhsa_user_sgpr_count 2
		.amdhsa_user_sgpr_dispatch_ptr 0
		.amdhsa_user_sgpr_queue_ptr 0
		.amdhsa_user_sgpr_kernarg_segment_ptr 1
		.amdhsa_user_sgpr_dispatch_id 0
		.amdhsa_user_sgpr_kernarg_preload_length 0
		.amdhsa_user_sgpr_kernarg_preload_offset 0
		.amdhsa_user_sgpr_private_segment_size 0
		.amdhsa_wavefront_size32 1
		.amdhsa_uses_dynamic_stack 0
		.amdhsa_enable_private_segment 0
		.amdhsa_system_sgpr_workgroup_id_x 1
		.amdhsa_system_sgpr_workgroup_id_y 1
		.amdhsa_system_sgpr_workgroup_id_z 1
		.amdhsa_system_sgpr_workgroup_info 0
		.amdhsa_system_vgpr_workitem_id 1
		.amdhsa_next_free_vgpr 72
		.amdhsa_next_free_sgpr 40
		.amdhsa_named_barrier_count 0
		.amdhsa_reserve_vcc 1
		.amdhsa_float_round_mode_32 0
		.amdhsa_float_round_mode_16_64 0
		.amdhsa_float_denorm_mode_32 3
		.amdhsa_float_denorm_mode_16_64 3
		.amdhsa_fp16_overflow 0
		.amdhsa_memory_ordered 1
		.amdhsa_forward_progress 1
		.amdhsa_inst_pref_size 26
		.amdhsa_round_robin_scheduling 0
		.amdhsa_exception_fp_ieee_invalid_op 0
		.amdhsa_exception_fp_denorm_src 0
		.amdhsa_exception_fp_ieee_div_zero 0
		.amdhsa_exception_fp_ieee_overflow 0
		.amdhsa_exception_fp_ieee_underflow 0
		.amdhsa_exception_fp_ieee_inexact 0
		.amdhsa_exception_int_div_zero 0
	.end_amdhsa_kernel
	.section	.text._ZL29rocblas_internal_gemmt_kernelIlLi16ELi32ELi8ELc84ELc67ELc85ELb0ELb1E19rocblas_complex_numIfEPKS1_PKS3_PKPS1_EviT_T9_T10_S9_lSB_S9_lSA_T11_S9_li,"axG",@progbits,_ZL29rocblas_internal_gemmt_kernelIlLi16ELi32ELi8ELc84ELc67ELc85ELb0ELb1E19rocblas_complex_numIfEPKS1_PKS3_PKPS1_EviT_T9_T10_S9_lSB_S9_lSA_T11_S9_li,comdat
.Lfunc_end509:
	.size	_ZL29rocblas_internal_gemmt_kernelIlLi16ELi32ELi8ELc84ELc67ELc85ELb0ELb1E19rocblas_complex_numIfEPKS1_PKS3_PKPS1_EviT_T9_T10_S9_lSB_S9_lSA_T11_S9_li, .Lfunc_end509-_ZL29rocblas_internal_gemmt_kernelIlLi16ELi32ELi8ELc84ELc67ELc85ELb0ELb1E19rocblas_complex_numIfEPKS1_PKS3_PKPS1_EviT_T9_T10_S9_lSB_S9_lSA_T11_S9_li
                                        ; -- End function
	.set _ZL29rocblas_internal_gemmt_kernelIlLi16ELi32ELi8ELc84ELc67ELc85ELb0ELb1E19rocblas_complex_numIfEPKS1_PKS3_PKPS1_EviT_T9_T10_S9_lSB_S9_lSA_T11_S9_li.num_vgpr, 72
	.set _ZL29rocblas_internal_gemmt_kernelIlLi16ELi32ELi8ELc84ELc67ELc85ELb0ELb1E19rocblas_complex_numIfEPKS1_PKS3_PKPS1_EviT_T9_T10_S9_lSB_S9_lSA_T11_S9_li.num_agpr, 0
	.set _ZL29rocblas_internal_gemmt_kernelIlLi16ELi32ELi8ELc84ELc67ELc85ELb0ELb1E19rocblas_complex_numIfEPKS1_PKS3_PKPS1_EviT_T9_T10_S9_lSB_S9_lSA_T11_S9_li.numbered_sgpr, 40
	.set _ZL29rocblas_internal_gemmt_kernelIlLi16ELi32ELi8ELc84ELc67ELc85ELb0ELb1E19rocblas_complex_numIfEPKS1_PKS3_PKPS1_EviT_T9_T10_S9_lSB_S9_lSA_T11_S9_li.num_named_barrier, 0
	.set _ZL29rocblas_internal_gemmt_kernelIlLi16ELi32ELi8ELc84ELc67ELc85ELb0ELb1E19rocblas_complex_numIfEPKS1_PKS3_PKPS1_EviT_T9_T10_S9_lSB_S9_lSA_T11_S9_li.private_seg_size, 0
	.set _ZL29rocblas_internal_gemmt_kernelIlLi16ELi32ELi8ELc84ELc67ELc85ELb0ELb1E19rocblas_complex_numIfEPKS1_PKS3_PKPS1_EviT_T9_T10_S9_lSB_S9_lSA_T11_S9_li.uses_vcc, 1
	.set _ZL29rocblas_internal_gemmt_kernelIlLi16ELi32ELi8ELc84ELc67ELc85ELb0ELb1E19rocblas_complex_numIfEPKS1_PKS3_PKPS1_EviT_T9_T10_S9_lSB_S9_lSA_T11_S9_li.uses_flat_scratch, 0
	.set _ZL29rocblas_internal_gemmt_kernelIlLi16ELi32ELi8ELc84ELc67ELc85ELb0ELb1E19rocblas_complex_numIfEPKS1_PKS3_PKPS1_EviT_T9_T10_S9_lSB_S9_lSA_T11_S9_li.has_dyn_sized_stack, 0
	.set _ZL29rocblas_internal_gemmt_kernelIlLi16ELi32ELi8ELc84ELc67ELc85ELb0ELb1E19rocblas_complex_numIfEPKS1_PKS3_PKPS1_EviT_T9_T10_S9_lSB_S9_lSA_T11_S9_li.has_recursion, 0
	.set _ZL29rocblas_internal_gemmt_kernelIlLi16ELi32ELi8ELc84ELc67ELc85ELb0ELb1E19rocblas_complex_numIfEPKS1_PKS3_PKPS1_EviT_T9_T10_S9_lSB_S9_lSA_T11_S9_li.has_indirect_call, 0
	.section	.AMDGPU.csdata,"",@progbits
; Kernel info:
; codeLenInByte = 3252
; TotalNumSgprs: 42
; NumVgprs: 72
; ScratchSize: 0
; MemoryBound: 0
; FloatMode: 240
; IeeeMode: 1
; LDSByteSize: 4096 bytes/workgroup (compile time only)
; SGPRBlocks: 0
; VGPRBlocks: 4
; NumSGPRsForWavesPerEU: 42
; NumVGPRsForWavesPerEU: 72
; NamedBarCnt: 0
; Occupancy: 12
; WaveLimiterHint : 1
; COMPUTE_PGM_RSRC2:SCRATCH_EN: 0
; COMPUTE_PGM_RSRC2:USER_SGPR: 2
; COMPUTE_PGM_RSRC2:TRAP_HANDLER: 0
; COMPUTE_PGM_RSRC2:TGID_X_EN: 1
; COMPUTE_PGM_RSRC2:TGID_Y_EN: 1
; COMPUTE_PGM_RSRC2:TGID_Z_EN: 1
; COMPUTE_PGM_RSRC2:TIDIG_COMP_CNT: 1
	.section	.text._ZL29rocblas_internal_gemmt_kernelIlLi16ELi32ELi8ELc67ELc78ELc85ELb1ELb0E19rocblas_complex_numIfEPKS1_PKS3_PKPS1_EviT_T9_T10_S9_lSB_S9_lSA_T11_S9_li,"axG",@progbits,_ZL29rocblas_internal_gemmt_kernelIlLi16ELi32ELi8ELc67ELc78ELc85ELb1ELb0E19rocblas_complex_numIfEPKS1_PKS3_PKPS1_EviT_T9_T10_S9_lSB_S9_lSA_T11_S9_li,comdat
	.globl	_ZL29rocblas_internal_gemmt_kernelIlLi16ELi32ELi8ELc67ELc78ELc85ELb1ELb0E19rocblas_complex_numIfEPKS1_PKS3_PKPS1_EviT_T9_T10_S9_lSB_S9_lSA_T11_S9_li ; -- Begin function _ZL29rocblas_internal_gemmt_kernelIlLi16ELi32ELi8ELc67ELc78ELc85ELb1ELb0E19rocblas_complex_numIfEPKS1_PKS3_PKPS1_EviT_T9_T10_S9_lSB_S9_lSA_T11_S9_li
	.p2align	8
	.type	_ZL29rocblas_internal_gemmt_kernelIlLi16ELi32ELi8ELc67ELc78ELc85ELb1ELb0E19rocblas_complex_numIfEPKS1_PKS3_PKPS1_EviT_T9_T10_S9_lSB_S9_lSA_T11_S9_li,@function
_ZL29rocblas_internal_gemmt_kernelIlLi16ELi32ELi8ELc67ELc78ELc85ELb1ELb0E19rocblas_complex_numIfEPKS1_PKS3_PKPS1_EviT_T9_T10_S9_lSB_S9_lSA_T11_S9_li: ; @_ZL29rocblas_internal_gemmt_kernelIlLi16ELi32ELi8ELc67ELc78ELc85ELb1ELb0E19rocblas_complex_numIfEPKS1_PKS3_PKPS1_EviT_T9_T10_S9_lSB_S9_lSA_T11_S9_li
; %bb.0:
	s_load_b256 s[24:31], s[0:1], 0x48
	s_wait_kmcnt 0x0
	s_load_b64 s[6:7], s[24:25], 0x0
	s_load_b512 s[8:23], s[0:1], 0x8
	s_wait_kmcnt 0x0
	s_cmp_neq_f32 s6, 1.0
	s_load_b64 s[24:25], s[10:11], 0x0
	s_cselect_b32 s2, -1, 0
	s_and_b32 s4, s7, 0x7fffffff
	s_delay_alu instid0(SALU_CYCLE_1) | instskip(SKIP_3) | instid1(SALU_CYCLE_1)
	s_cmp_eq_u32 s4, 0
	s_cselect_b32 s3, -1, 0
	s_cmp_lg_u32 s4, 0
	s_cselect_b32 s4, -1, 0
	s_or_b32 s2, s2, s4
	s_delay_alu instid0(SALU_CYCLE_1)
	s_and_b32 vcc_lo, exec_lo, s2
	s_cbranch_vccnz .LBB510_2
; %bb.1:
	s_cmp_lg_u64 s[8:9], 0
	s_cselect_b32 s2, -1, 0
	s_wait_kmcnt 0x0
	s_cmp_neq_f32 s24, 0
	s_cselect_b32 s4, -1, 0
	s_cmp_neq_f32 s25, 0
	s_cselect_b32 s5, -1, 0
	s_delay_alu instid0(SALU_CYCLE_1) | instskip(NEXT) | instid1(SALU_CYCLE_1)
	s_or_b32 s4, s4, s5
	s_and_b32 s2, s2, s4
.LBB510_2:
	s_delay_alu instid0(SALU_CYCLE_1)
	s_and_not1_b32 vcc_lo, exec_lo, s2
	s_cbranch_vccnz .LBB510_38
; %bb.3:
	s_load_b32 s33, s[0:1], 0x68
	s_bfe_u32 s2, ttmp6, 0x40014
	s_lshr_b32 s4, ttmp7, 16
	s_add_co_i32 s2, s2, 1
	s_wait_xcnt 0x0
	s_bfe_u32 s10, ttmp6, 0x40008
	s_mul_i32 s5, s4, s2
	s_getreg_b32 s2, hwreg(HW_REG_IB_STS2, 6, 4)
	s_add_co_i32 s10, s10, s5
	s_cmp_eq_u32 s2, 0
	s_mov_b32 s11, 0
	s_cselect_b32 s10, s4, s10
	s_wait_kmcnt 0x0
	s_cmp_ge_u32 s10, s33
	s_cbranch_scc1 .LBB510_38
; %bb.4:
	s_load_b32 s4, s[0:1], 0x0
	s_wait_xcnt 0x0
	s_bfe_u32 s0, ttmp6, 0x4000c
	s_bfe_u32 s5, ttmp6, 0x40010
	s_add_co_i32 s0, s0, 1
	s_and_b32 s34, ttmp7, 0xffff
	s_add_co_i32 s5, s5, 1
	v_and_b32_e32 v9, 0x3ff, v0
	v_bfe_u32 v15, v0, 10, 10
	s_and_b32 s1, ttmp6, 15
	s_mul_i32 s0, ttmp9, s0
	s_mul_i32 s5, s34, s5
	s_bfe_u32 s35, ttmp6, 0x40004
	s_add_co_i32 s1, s1, s0
	s_add_co_i32 s35, s35, s5
	s_cmp_eq_u32 s2, 0
	v_lshl_add_u32 v1, v15, 4, v9
	s_cselect_b32 s0, ttmp9, s1
	s_cselect_b32 s1, s34, s35
	v_and_b32_e32 v0, 7, v0
	s_lshl_b32 s1, s1, 5
	v_dual_lshrrev_b32 v3, 3, v1 :: v_dual_bitop2_b32 v5, 31, v1 bitop3:0x40
	v_dual_lshrrev_b32 v2, 5, v1 :: v_dual_add_nc_u32 v16, s1, v15
	s_delay_alu instid0(VALU_DEP_3)
	v_lshlrev_b32_e32 v8, 3, v0
	s_lshl_b32 s2, s0, 5
	s_cmp_neq_f32 s24, 0
	v_dual_add_nc_u32 v6, s1, v3 :: v_dual_bitop2_b32 v4, s2, v5 bitop3:0x54
	v_add_nc_u32_e32 v18, 16, v16
	s_cselect_b32 s0, -1, 0
	s_cmp_neq_f32 s25, 0
	s_delay_alu instid0(VALU_DEP_2)
	v_dual_lshlrev_b32 v1, 3, v5 :: v_dual_ashrrev_i32 v5, 31, v4
	v_dual_ashrrev_i32 v7, 31, v6 :: v_dual_ashrrev_i32 v17, 31, v16
	v_ashrrev_i32_e32 v19, 31, v18
	s_cselect_b32 s5, -1, 0
	s_wait_kmcnt 0x0
	v_cmp_le_i32_e64 s34, s4, v4
	s_or_b32 s38, s0, s5
	v_cmp_gt_i32_e64 s0, s4, v4
	v_mul_u64_e32 v[4:5], s[14:15], v[4:5]
	v_cmp_gt_i32_e64 s1, s4, v6
	v_mul_u64_e32 v[6:7], s[20:21], v[6:7]
	v_mul_u64_e32 v[10:11], s[28:29], v[16:17]
	;; [unrolled: 1-line block ×3, first 2 shown]
	v_lshl_or_b32 v3, v3, 6, v8
	v_dual_add_nc_u32 v8, s2, v9 :: v_dual_lshlrev_b32 v27, 3, v9
	s_cmp_neq_f32 s6, 0
	v_cmp_gt_i32_e32 vcc_lo, s4, v16
	v_cmp_gt_i64_e64 s39, s[8:9], 0
	s_delay_alu instid0(VALU_DEP_3)
	v_cmp_le_i32_e64 s2, v8, v16
	v_dual_add_nc_u32 v14, 16, v8 :: v_dual_ashrrev_i32 v9, 31, v8
	s_cselect_b32 s5, -1, 0
	s_xor_b32 s3, s3, -1
	s_and_b32 s29, vcc_lo, s2
	s_or_b32 s28, s5, s3
	v_cmp_le_i32_e64 s2, v14, v16
	v_cmp_gt_i32_e64 s3, s4, v18
	v_cmp_le_i32_e64 s4, v8, v18
	v_cmp_le_i32_e64 s5, v14, v18
	v_lshl_or_b32 v1, v2, 8, v1
	v_add_nc_u32_e32 v3, 0x800, v3
	v_lshl_add_u32 v29, v15, 6, 0x800
	v_dual_ashrrev_i32 v15, 31, v14 :: v_dual_mov_b32 v17, 0
	s_and_b32 s35, vcc_lo, s2
	s_and_b32 s36, s3, s4
	s_and_b32 s37, s3, s5
	s_mov_b32 s2, s6
	s_mov_b32 s3, s6
	;; [unrolled: 1-line block ×5, first 2 shown]
	s_and_b32 s38, s38, s39
	s_lshl_b64 s[14:15], s[22:23], 3
	s_lshl_b64 s[16:17], s[16:17], 3
	;; [unrolled: 1-line block ×3, first 2 shown]
                                        ; implicit-def: $vgpr18_vgpr19
	s_branch .LBB510_6
.LBB510_5:                              ;   in Loop: Header=BB510_6 Depth=1
	s_wait_xcnt 0x0
	s_or_b32 exec_lo, exec_lo, s22
	s_add_co_i32 s10, s10, 0x10000
	s_delay_alu instid0(SALU_CYCLE_1)
	s_cmp_lt_u32 s10, s33
	s_cbranch_scc0 .LBB510_38
.LBB510_6:                              ; =>This Loop Header: Depth=1
                                        ;     Child Loop BB510_9 Depth 2
	v_mov_b32_e32 v16, s10
	s_and_not1_b32 vcc_lo, exec_lo, s38
	global_load_b64 v[20:21], v16, s[26:27] scale_offset
	s_cbranch_vccnz .LBB510_17
; %bb.7:                                ;   in Loop: Header=BB510_6 Depth=1
	s_lshl_b64 s[22:23], s[10:11], 3
	v_dual_mov_b32 v26, 0 :: v_dual_mov_b32 v28, 0
	s_add_nc_u64 s[30:31], s[12:13], s[22:23]
	s_add_nc_u64 s[22:23], s[18:19], s[22:23]
	s_clause 0x1
	global_load_b64 v[22:23], v17, s[30:31]
	global_load_b64 v[24:25], v17, s[22:23]
	v_dual_mov_b32 v32, 0 :: v_dual_mov_b32 v30, 0
	v_dual_mov_b32 v36, 0 :: v_dual_mov_b32 v34, 0
	;; [unrolled: 1-line block ×3, first 2 shown]
	s_wait_xcnt 0x0
	s_mov_b64 s[22:23], 0
	s_wait_loadcnt 0x1
	v_add_nc_u64_e32 v[22:23], s[16:17], v[22:23]
	s_wait_loadcnt 0x0
	v_add_nc_u64_e32 v[24:25], s[14:15], v[24:25]
	s_delay_alu instid0(VALU_DEP_2) | instskip(NEXT) | instid1(VALU_DEP_2)
	v_lshl_add_u64 v[22:23], v[4:5], 3, v[22:23]
	v_lshl_add_u64 v[24:25], v[6:7], 3, v[24:25]
	s_branch .LBB510_9
.LBB510_8:                              ;   in Loop: Header=BB510_9 Depth=2
	s_wait_xcnt 0x0
	s_or_b32 exec_lo, exec_lo, s30
	s_wait_loadcnt_dscnt 0x0
	ds_store_b64 v3, v[42:43]
	s_wait_dscnt 0x0
	s_barrier_signal -1
	s_barrier_wait -1
	ds_load_b128 v[42:45], v29
	ds_load_2addr_b64 v[46:49], v27 offset1:16
	ds_load_b128 v[50:53], v29 offset:1024
	ds_load_b128 v[54:57], v29 offset:16
	;; [unrolled: 1-line block ×4, first 2 shown]
	ds_load_2addr_b64 v[66:69], v27 offset0:32 offset1:48
	ds_load_b128 v[70:73], v29 offset:1040
	s_add_nc_u64 s[22:23], s[22:23], 8
	s_delay_alu instid0(SALU_CYCLE_1)
	v_cmp_gt_i64_e64 s30, s[8:9], s[22:23]
	s_and_b32 vcc_lo, exec_lo, s30
	s_wait_dscnt 0x6
	v_dual_mul_f32 v16, v43, v47 :: v_dual_mul_f32 v31, v42, v47
	v_dual_mul_f32 v33, v43, v49 :: v_dual_mul_f32 v35, v42, v49
	s_wait_dscnt 0x5
	v_dual_mul_f32 v37, v51, v47 :: v_dual_mul_f32 v39, v50, v47
	v_dual_mul_f32 v41, v51, v49 :: v_dual_mul_f32 v47, v50, v49
	v_dual_fma_f32 v16, v42, v46, -v16 :: v_dual_fmac_f32 v31, v43, v46
	v_dual_fma_f32 v33, v42, v48, -v33 :: v_dual_fmac_f32 v35, v43, v48
	s_delay_alu instid0(VALU_DEP_4) | instskip(NEXT) | instid1(VALU_DEP_3)
	v_dual_fma_f32 v37, v50, v46, -v37 :: v_dual_fmac_f32 v39, v51, v46
	v_dual_add_f32 v16, v38, v16 :: v_dual_add_f32 v38, v40, v31
	v_fma_f32 v31, v50, v48, -v41
	s_delay_alu instid0(VALU_DEP_4) | instskip(NEXT) | instid1(VALU_DEP_4)
	v_dual_add_f32 v34, v34, v33 :: v_dual_add_f32 v35, v36, v35
	v_dual_add_f32 v36, v30, v37 :: v_dual_add_f32 v37, v32, v39
	s_wait_dscnt 0x1
	v_dual_mul_f32 v39, v45, v67 :: v_dual_fmac_f32 v47, v51, v48
	v_add_f32_e32 v28, v28, v31
	ds_load_2addr_b64 v[30:33], v27 offset0:64 offset1:80
	v_dual_mul_f32 v40, v44, v67 :: v_dual_fma_f32 v39, v44, v66, -v39
	v_dual_mul_f32 v41, v45, v69 :: v_dual_add_f32 v26, v26, v47
	s_delay_alu instid0(VALU_DEP_2) | instskip(NEXT) | instid1(VALU_DEP_3)
	v_dual_mul_f32 v42, v44, v69 :: v_dual_fmac_f32 v40, v45, v66
	v_add_f32_e32 v16, v16, v39
	s_delay_alu instid0(VALU_DEP_3) | instskip(NEXT) | instid1(VALU_DEP_3)
	v_dual_fma_f32 v39, v44, v68, -v41 :: v_dual_mul_f32 v41, v53, v67
	v_fmac_f32_e32 v42, v45, v68
	s_delay_alu instid0(VALU_DEP_4) | instskip(NEXT) | instid1(VALU_DEP_3)
	v_dual_add_f32 v38, v38, v40 :: v_dual_mul_f32 v40, v52, v67
	v_dual_add_f32 v39, v34, v39 :: v_dual_fma_f32 v34, v52, v66, -v41
	s_delay_alu instid0(VALU_DEP_3) | instskip(NEXT) | instid1(VALU_DEP_3)
	v_dual_mul_f32 v41, v53, v69 :: v_dual_add_f32 v42, v35, v42
	v_dual_fmac_f32 v40, v53, v66 :: v_dual_mul_f32 v43, v52, v69
	s_wait_dscnt 0x0
	s_delay_alu instid0(VALU_DEP_3) | instskip(NEXT) | instid1(VALU_DEP_3)
	v_dual_add_f32 v44, v36, v34 :: v_dual_mul_f32 v35, v55, v31
	v_fma_f32 v34, v52, v68, -v41
	s_delay_alu instid0(VALU_DEP_3) | instskip(SKIP_1) | instid1(VALU_DEP_4)
	v_dual_add_f32 v40, v37, v40 :: v_dual_mul_f32 v41, v54, v31
	v_fmac_f32_e32 v43, v53, v68
	v_fma_f32 v45, v54, v30, -v35
	s_delay_alu instid0(VALU_DEP_4) | instskip(SKIP_4) | instid1(VALU_DEP_3)
	v_dual_add_f32 v28, v28, v34 :: v_dual_mul_f32 v46, v55, v33
	ds_load_2addr_b64 v[34:37], v27 offset0:96 offset1:112
	v_dual_fmac_f32 v41, v55, v30 :: v_dual_add_f32 v26, v26, v43
	v_add_f32_e32 v16, v16, v45
	v_dual_mul_f32 v43, v54, v33 :: v_dual_fma_f32 v45, v54, v32, -v46
	v_dual_add_f32 v38, v38, v41 :: v_dual_mul_f32 v41, v71, v31
	s_delay_alu instid0(VALU_DEP_2) | instskip(NEXT) | instid1(VALU_DEP_3)
	v_dual_mul_f32 v31, v70, v31 :: v_dual_fmac_f32 v43, v55, v32
	v_add_f32_e32 v39, v39, v45
	s_delay_alu instid0(VALU_DEP_3) | instskip(NEXT) | instid1(VALU_DEP_3)
	v_dual_mul_f32 v45, v71, v33 :: v_dual_fma_f32 v41, v70, v30, -v41
	v_dual_fmac_f32 v31, v71, v30 :: v_dual_mul_f32 v46, v70, v33
	s_delay_alu instid0(VALU_DEP_4) | instskip(NEXT) | instid1(VALU_DEP_3)
	v_add_f32_e32 v42, v42, v43
	v_dual_fma_f32 v30, v70, v32, -v45 :: v_dual_add_f32 v43, v44, v41
	s_delay_alu instid0(VALU_DEP_3) | instskip(SKIP_1) | instid1(VALU_DEP_2)
	v_dual_add_f32 v44, v40, v31 :: v_dual_fmac_f32 v46, v71, v32
	s_wait_dscnt 0x0
	v_dual_mul_f32 v40, v57, v35 :: v_dual_add_f32 v28, v28, v30
	ds_load_2addr_b64 v[30:33], v27 offset0:128 offset1:144
	v_dual_mul_f32 v41, v56, v35 :: v_dual_mul_f32 v45, v57, v37
	v_fma_f32 v40, v56, v34, -v40
	v_dual_add_f32 v26, v26, v46 :: v_dual_mul_f32 v46, v56, v37
	s_delay_alu instid0(VALU_DEP_3) | instskip(NEXT) | instid1(VALU_DEP_4)
	v_fmac_f32_e32 v41, v57, v34
	v_fma_f32 v45, v56, v36, -v45
	s_delay_alu instid0(VALU_DEP_4) | instskip(NEXT) | instid1(VALU_DEP_3)
	v_dual_add_f32 v16, v16, v40 :: v_dual_mul_f32 v40, v73, v35
	v_dual_fmac_f32 v46, v57, v36 :: v_dual_add_f32 v47, v38, v41
	s_delay_alu instid0(VALU_DEP_3) | instskip(NEXT) | instid1(VALU_DEP_3)
	v_dual_add_f32 v48, v39, v45 :: v_dual_mul_f32 v35, v72, v35
	v_dual_fma_f32 v45, v72, v34, -v40 :: v_dual_mul_f32 v49, v73, v37
	s_delay_alu instid0(VALU_DEP_3)
	v_add_f32_e32 v46, v42, v46
	ds_load_b128 v[38:41], v29 offset:1056
	v_dual_fmac_f32 v35, v73, v34 :: v_dual_mul_f32 v42, v72, v37
	v_dual_fma_f32 v34, v72, v36, -v49 :: v_dual_add_f32 v49, v43, v45
	s_wait_dscnt 0x1
	v_dual_mul_f32 v37, v59, v31 :: v_dual_mul_f32 v51, v58, v31
	s_delay_alu instid0(VALU_DEP_3) | instskip(NEXT) | instid1(VALU_DEP_3)
	v_dual_fmac_f32 v42, v73, v36 :: v_dual_add_f32 v50, v44, v35
	v_add_f32_e32 v28, v28, v34
	s_delay_alu instid0(VALU_DEP_3) | instskip(NEXT) | instid1(VALU_DEP_3)
	v_dual_fma_f32 v43, v58, v30, -v37 :: v_dual_mul_f32 v44, v59, v33
	v_add_f32_e32 v26, v26, v42
	ds_load_2addr_b64 v[34:37], v27 offset0:160 offset1:176
	v_dual_fmac_f32 v51, v59, v30 :: v_dual_add_f32 v16, v16, v43
	v_dual_fma_f32 v52, v58, v32, -v44 :: v_dual_mul_f32 v53, v58, v33
	ds_load_b128 v[42:45], v29 offset:1072
	v_add_f32_e32 v47, v47, v51
	s_wait_dscnt 0x2
	v_dual_mul_f32 v54, v39, v31 :: v_dual_mul_f32 v31, v38, v31
	v_fmac_f32_e32 v53, v59, v32
	v_dual_add_f32 v48, v48, v52 :: v_dual_mul_f32 v52, v39, v33
	s_delay_alu instid0(VALU_DEP_3) | instskip(NEXT) | instid1(VALU_DEP_3)
	v_dual_fma_f32 v51, v38, v30, -v54 :: v_dual_fmac_f32 v31, v39, v30
	v_add_f32_e32 v46, v46, v53
	s_delay_alu instid0(VALU_DEP_3) | instskip(NEXT) | instid1(VALU_DEP_3)
	v_dual_mul_f32 v53, v38, v33 :: v_dual_fma_f32 v30, v38, v32, -v52
	v_add_f32_e32 v49, v49, v51
	s_delay_alu instid0(VALU_DEP_2)
	v_dual_add_f32 v38, v50, v31 :: v_dual_fmac_f32 v53, v39, v32
	s_wait_dscnt 0x1
	v_dual_mul_f32 v50, v61, v35 :: v_dual_mul_f32 v39, v60, v35
	v_dual_add_f32 v28, v28, v30 :: v_dual_mul_f32 v51, v61, v37
	ds_load_2addr_b64 v[30:33], v27 offset0:192 offset1:208
	v_dual_fma_f32 v50, v60, v34, -v50 :: v_dual_fmac_f32 v39, v61, v34
	v_add_f32_e32 v26, v26, v53
	v_mul_f32_e32 v52, v60, v37
	s_delay_alu instid0(VALU_DEP_3) | instskip(NEXT) | instid1(VALU_DEP_4)
	v_add_f32_e32 v16, v16, v50
	v_dual_fma_f32 v50, v60, v36, -v51 :: v_dual_add_f32 v39, v47, v39
	s_delay_alu instid0(VALU_DEP_3) | instskip(SKIP_1) | instid1(VALU_DEP_3)
	v_fmac_f32_e32 v52, v61, v36
	v_dual_mul_f32 v47, v41, v35 :: v_dual_mul_f32 v35, v40, v35
	v_dual_add_f32 v50, v48, v50 :: v_dual_mul_f32 v48, v41, v37
	s_delay_alu instid0(VALU_DEP_2) | instskip(NEXT) | instid1(VALU_DEP_3)
	v_dual_add_f32 v51, v46, v52 :: v_dual_fma_f32 v47, v40, v34, -v47
	v_dual_fmac_f32 v35, v41, v34 :: v_dual_mul_f32 v34, v40, v37
	s_delay_alu instid0(VALU_DEP_2) | instskip(SKIP_1) | instid1(VALU_DEP_2)
	v_dual_fma_f32 v37, v40, v36, -v48 :: v_dual_add_f32 v40, v49, v47
	s_wait_dscnt 0x0
	v_dual_mul_f32 v46, v63, v31 :: v_dual_fmac_f32 v34, v41, v36
	s_delay_alu instid0(VALU_DEP_2) | instskip(NEXT) | instid1(VALU_DEP_2)
	v_dual_add_f32 v35, v38, v35 :: v_dual_add_f32 v28, v28, v37
	v_dual_mul_f32 v36, v62, v31 :: v_dual_fma_f32 v37, v62, v30, -v46
	ds_load_2addr_b64 v[46:49], v27 offset0:224 offset1:240
	v_dual_add_f32 v26, v26, v34 :: v_dual_mul_f32 v34, v63, v33
	v_dual_fmac_f32 v36, v63, v30 :: v_dual_add_f32 v16, v16, v37
	v_dual_mul_f32 v37, v62, v33 :: v_dual_mul_f32 v38, v43, v31
	s_delay_alu instid0(VALU_DEP_3) | instskip(NEXT) | instid1(VALU_DEP_3)
	v_fma_f32 v34, v62, v32, -v34
	v_dual_mul_f32 v31, v42, v31 :: v_dual_add_f32 v36, v39, v36
	s_delay_alu instid0(VALU_DEP_3) | instskip(NEXT) | instid1(VALU_DEP_3)
	v_dual_fmac_f32 v37, v63, v32 :: v_dual_fma_f32 v38, v42, v30, -v38
	v_add_f32_e32 v34, v50, v34
	s_delay_alu instid0(VALU_DEP_3) | instskip(SKIP_1) | instid1(VALU_DEP_4)
	v_dual_fmac_f32 v31, v43, v30 :: v_dual_mul_f32 v30, v43, v33
	v_mul_f32_e32 v33, v42, v33
	v_dual_add_f32 v37, v51, v37 :: v_dual_add_f32 v39, v40, v38
	s_delay_alu instid0(VALU_DEP_3) | instskip(SKIP_3) | instid1(VALU_DEP_3)
	v_dual_add_f32 v31, v35, v31 :: v_dual_fma_f32 v30, v42, v32, -v30
	s_wait_dscnt 0x0
	v_dual_mul_f32 v35, v65, v47 :: v_dual_mul_f32 v40, v64, v47
	v_dual_fmac_f32 v33, v43, v32 :: v_dual_mul_f32 v32, v65, v49
	v_add_f32_e32 v28, v28, v30
	s_delay_alu instid0(VALU_DEP_3) | instskip(NEXT) | instid1(VALU_DEP_3)
	v_dual_fma_f32 v30, v64, v46, -v35 :: v_dual_fmac_f32 v40, v65, v46
	v_dual_mul_f32 v35, v64, v49 :: v_dual_fma_f32 v32, v64, v48, -v32
	s_delay_alu instid0(VALU_DEP_2) | instskip(NEXT) | instid1(VALU_DEP_3)
	v_dual_add_f32 v26, v26, v33 :: v_dual_add_f32 v38, v16, v30
	v_dual_add_f32 v40, v36, v40 :: v_dual_mul_f32 v16, v45, v47
	s_delay_alu instid0(VALU_DEP_3) | instskip(NEXT) | instid1(VALU_DEP_4)
	v_fmac_f32_e32 v35, v65, v48
	v_dual_add_f32 v34, v34, v32 :: v_dual_mul_f32 v30, v45, v49
	v_dual_mul_f32 v32, v44, v47 :: v_dual_mul_f32 v33, v44, v49
	s_delay_alu instid0(VALU_DEP_3) | instskip(NEXT) | instid1(VALU_DEP_2)
	v_dual_add_f32 v36, v37, v35 :: v_dual_fma_f32 v16, v44, v46, -v16
	v_dual_fma_f32 v35, v44, v48, -v30 :: v_dual_fmac_f32 v32, v45, v46
	s_delay_alu instid0(VALU_DEP_3) | instskip(NEXT) | instid1(VALU_DEP_2)
	v_fmac_f32_e32 v33, v45, v48
	v_dual_add_f32 v30, v39, v16 :: v_dual_add_f32 v28, v28, v35
	s_delay_alu instid0(VALU_DEP_2)
	v_dual_add_f32 v32, v31, v32 :: v_dual_add_f32 v26, v26, v33
	s_barrier_signal -1
	s_barrier_wait -1
	s_cbranch_vccz .LBB510_18
.LBB510_9:                              ;   Parent Loop BB510_6 Depth=1
                                        ; =>  This Inner Loop Header: Depth=2
	s_mov_b32 s30, 0
	s_mov_b32 s39, s34
	s_and_saveexec_b32 s31, s0
; %bb.10:                               ;   in Loop: Header=BB510_9 Depth=2
	v_add_nc_u32_e32 v16, s22, v2
	s_and_not1_b32 s39, s34, exec_lo
	s_mov_b32 s30, exec_lo
	s_delay_alu instid0(VALU_DEP_1) | instskip(SKIP_2) | instid1(SALU_CYCLE_1)
	v_cmp_le_u64_e32 vcc_lo, s[8:9], v[16:17]
	v_mov_b64_e32 v[18:19], v[16:17]
	s_and_b32 s40, vcc_lo, exec_lo
	s_or_b32 s39, s39, s40
; %bb.11:                               ;   in Loop: Header=BB510_9 Depth=2
	s_or_b32 exec_lo, exec_lo, s31
	s_and_saveexec_b32 s31, s39
	s_delay_alu instid0(SALU_CYCLE_1)
	s_xor_b32 s31, exec_lo, s31
; %bb.12:                               ;   in Loop: Header=BB510_9 Depth=2
	s_and_not1_b32 s30, s30, exec_lo
	ds_store_b32 v1, v17
; %bb.13:                               ;   in Loop: Header=BB510_9 Depth=2
	s_or_b32 exec_lo, exec_lo, s31
	v_dual_mov_b32 v42, 0 :: v_dual_mov_b32 v31, 0
	s_and_saveexec_b32 s31, s30
	s_cbranch_execz .LBB510_15
; %bb.14:                               ;   in Loop: Header=BB510_9 Depth=2
	v_lshl_add_u64 v[44:45], v[18:19], 3, v[22:23]
	flat_load_b64 v[44:45], v[44:45]
	s_wait_loadcnt_dscnt 0x0
	v_xor_b32_e32 v31, 0x80000000, v45
	ds_store_b32 v1, v44
.LBB510_15:                             ;   in Loop: Header=BB510_9 Depth=2
	s_wait_xcnt 0x0
	s_or_b32 exec_lo, exec_lo, s31
	v_dual_mov_b32 v43, 0 :: v_dual_add_nc_u32 v16, s22, v0
	ds_store_b32 v1, v31 offset:4
	v_cmp_gt_u64_e32 vcc_lo, s[8:9], v[16:17]
	s_and_b32 s31, vcc_lo, s1
	s_delay_alu instid0(SALU_CYCLE_1)
	s_and_saveexec_b32 s30, s31
	s_cbranch_execz .LBB510_8
; %bb.16:                               ;   in Loop: Header=BB510_9 Depth=2
	v_lshl_add_u64 v[42:43], v[16:17], 3, v[24:25]
	flat_load_b64 v[42:43], v[42:43]
	s_branch .LBB510_8
.LBB510_17:                             ;   in Loop: Header=BB510_6 Depth=1
	v_dual_mov_b32 v38, v17 :: v_dual_mov_b32 v40, v17
	v_dual_mov_b32 v34, v17 :: v_dual_mov_b32 v36, v17
	;; [unrolled: 1-line block ×4, first 2 shown]
.LBB510_18:                             ;   in Loop: Header=BB510_6 Depth=1
	s_wait_loadcnt 0x0
	v_add_nc_u64_e32 v[20:21], s[20:21], v[20:21]
	s_delay_alu instid0(VALU_DEP_1)
	v_lshl_add_u64 v[22:23], v[10:11], 3, v[20:21]
	s_wait_xcnt 0x0
	s_and_saveexec_b32 s22, s29
	s_cbranch_execz .LBB510_23
; %bb.19:                               ;   in Loop: Header=BB510_6 Depth=1
	v_mov_b64_e32 v[24:25], s[4:5]
	v_mov_b64_e32 v[42:43], s[24:25]
	s_and_b32 vcc_lo, exec_lo, s28
	s_mov_b32 s23, -1
	s_delay_alu instid0(VALU_DEP_2) | instskip(NEXT) | instid1(VALU_DEP_1)
	v_pk_mul_f32 v[24:25], v[40:41], v[24:25] op_sel_hi:[0,1]
	v_pk_fma_f32 v[40:41], v[38:39], v[42:43], v[24:25] op_sel_hi:[0,1,1]
	v_pk_fma_f32 v[24:25], v[38:39], v[42:43], v[24:25] neg_lo:[0,0,1] neg_hi:[0,0,1]
	v_lshl_add_u64 v[38:39], v[8:9], 3, v[22:23]
	s_delay_alu instid0(VALU_DEP_3)
	v_mov_b32_e32 v25, v41
	s_cbranch_vccz .LBB510_21
; %bb.20:                               ;   in Loop: Header=BB510_6 Depth=1
	flat_load_b64 v[40:41], v[38:39]
	v_mov_b64_e32 v[42:43], s[6:7]
	v_mov_b64_e32 v[44:45], s[2:3]
	s_mov_b32 s23, 0
	s_wait_loadcnt_dscnt 0x0
	s_delay_alu instid0(VALU_DEP_2) | instskip(NEXT) | instid1(VALU_DEP_1)
	v_pk_mul_f32 v[42:43], v[40:41], v[42:43]
	v_pk_fma_f32 v[46:47], v[40:41], v[44:45], v[42:43] op_sel:[0,0,1] op_sel_hi:[1,1,0]
	v_pk_fma_f32 v[40:41], v[40:41], v[44:45], v[42:43] op_sel:[0,0,1] op_sel_hi:[1,1,0] neg_lo:[0,0,1] neg_hi:[0,0,1]
	s_delay_alu instid0(VALU_DEP_2) | instskip(NEXT) | instid1(VALU_DEP_1)
	v_mov_b32_e32 v41, v47
	v_pk_add_f32 v[40:41], v[24:25], v[40:41]
	flat_store_b64 v[38:39], v[40:41]
.LBB510_21:                             ;   in Loop: Header=BB510_6 Depth=1
	s_and_not1_b32 vcc_lo, exec_lo, s23
	s_cbranch_vccnz .LBB510_23
; %bb.22:                               ;   in Loop: Header=BB510_6 Depth=1
	flat_store_b64 v[38:39], v[24:25]
.LBB510_23:                             ;   in Loop: Header=BB510_6 Depth=1
	s_wait_xcnt 0x0
	s_or_b32 exec_lo, exec_lo, s22
	s_and_saveexec_b32 s22, s35
	s_cbranch_execz .LBB510_28
; %bb.24:                               ;   in Loop: Header=BB510_6 Depth=1
	v_mov_b64_e32 v[24:25], s[4:5]
	v_mov_b64_e32 v[38:39], s[24:25]
	v_lshl_add_u64 v[22:23], v[14:15], 3, v[22:23]
	s_and_not1_b32 vcc_lo, exec_lo, s28
	s_mov_b32 s23, -1
	s_delay_alu instid0(VALU_DEP_3) | instskip(NEXT) | instid1(VALU_DEP_1)
	v_pk_mul_f32 v[24:25], v[36:37], v[24:25] op_sel_hi:[0,1]
	v_pk_fma_f32 v[36:37], v[34:35], v[38:39], v[24:25] op_sel_hi:[0,1,1]
	v_pk_fma_f32 v[24:25], v[34:35], v[38:39], v[24:25] neg_lo:[0,0,1] neg_hi:[0,0,1]
	s_delay_alu instid0(VALU_DEP_2)
	v_mov_b32_e32 v25, v37
	s_cbranch_vccnz .LBB510_26
; %bb.25:                               ;   in Loop: Header=BB510_6 Depth=1
	flat_load_b64 v[34:35], v[22:23]
	v_mov_b64_e32 v[36:37], s[6:7]
	v_mov_b64_e32 v[38:39], s[2:3]
	s_mov_b32 s23, 0
	s_wait_loadcnt_dscnt 0x0
	s_delay_alu instid0(VALU_DEP_2) | instskip(NEXT) | instid1(VALU_DEP_1)
	v_pk_mul_f32 v[36:37], v[34:35], v[36:37]
	v_pk_fma_f32 v[40:41], v[34:35], v[38:39], v[36:37] op_sel:[0,0,1] op_sel_hi:[1,1,0]
	v_pk_fma_f32 v[34:35], v[34:35], v[38:39], v[36:37] op_sel:[0,0,1] op_sel_hi:[1,1,0] neg_lo:[0,0,1] neg_hi:[0,0,1]
	s_delay_alu instid0(VALU_DEP_2) | instskip(NEXT) | instid1(VALU_DEP_1)
	v_mov_b32_e32 v35, v41
	v_pk_add_f32 v[34:35], v[24:25], v[34:35]
	flat_store_b64 v[22:23], v[34:35]
.LBB510_26:                             ;   in Loop: Header=BB510_6 Depth=1
	s_and_not1_b32 vcc_lo, exec_lo, s23
	s_cbranch_vccnz .LBB510_28
; %bb.27:                               ;   in Loop: Header=BB510_6 Depth=1
	flat_store_b64 v[22:23], v[24:25]
.LBB510_28:                             ;   in Loop: Header=BB510_6 Depth=1
	s_wait_xcnt 0x0
	s_or_b32 exec_lo, exec_lo, s22
	v_lshl_add_u64 v[20:21], v[12:13], 3, v[20:21]
	s_and_saveexec_b32 s22, s36
	s_cbranch_execz .LBB510_33
; %bb.29:                               ;   in Loop: Header=BB510_6 Depth=1
	v_mov_b64_e32 v[22:23], s[4:5]
	v_mov_b64_e32 v[24:25], s[24:25]
	s_and_not1_b32 vcc_lo, exec_lo, s28
	s_mov_b32 s23, -1
	s_delay_alu instid0(VALU_DEP_2) | instskip(NEXT) | instid1(VALU_DEP_1)
	v_pk_mul_f32 v[22:23], v[32:33], v[22:23] op_sel_hi:[0,1]
	v_pk_fma_f32 v[32:33], v[30:31], v[24:25], v[22:23] op_sel_hi:[0,1,1]
	v_pk_fma_f32 v[22:23], v[30:31], v[24:25], v[22:23] neg_lo:[0,0,1] neg_hi:[0,0,1]
	v_lshl_add_u64 v[24:25], v[8:9], 3, v[20:21]
	s_delay_alu instid0(VALU_DEP_3)
	v_mov_b32_e32 v23, v33
	s_cbranch_vccnz .LBB510_31
; %bb.30:                               ;   in Loop: Header=BB510_6 Depth=1
	flat_load_b64 v[30:31], v[24:25]
	v_mov_b64_e32 v[32:33], s[6:7]
	v_mov_b64_e32 v[34:35], s[2:3]
	s_mov_b32 s23, 0
	s_wait_loadcnt_dscnt 0x0
	s_delay_alu instid0(VALU_DEP_2) | instskip(NEXT) | instid1(VALU_DEP_1)
	v_pk_mul_f32 v[32:33], v[30:31], v[32:33]
	v_pk_fma_f32 v[36:37], v[30:31], v[34:35], v[32:33] op_sel:[0,0,1] op_sel_hi:[1,1,0]
	v_pk_fma_f32 v[30:31], v[30:31], v[34:35], v[32:33] op_sel:[0,0,1] op_sel_hi:[1,1,0] neg_lo:[0,0,1] neg_hi:[0,0,1]
	s_delay_alu instid0(VALU_DEP_2) | instskip(NEXT) | instid1(VALU_DEP_1)
	v_mov_b32_e32 v31, v37
	v_pk_add_f32 v[30:31], v[22:23], v[30:31]
	flat_store_b64 v[24:25], v[30:31]
.LBB510_31:                             ;   in Loop: Header=BB510_6 Depth=1
	s_and_not1_b32 vcc_lo, exec_lo, s23
	s_cbranch_vccnz .LBB510_33
; %bb.32:                               ;   in Loop: Header=BB510_6 Depth=1
	flat_store_b64 v[24:25], v[22:23]
.LBB510_33:                             ;   in Loop: Header=BB510_6 Depth=1
	s_wait_xcnt 0x0
	s_or_b32 exec_lo, exec_lo, s22
	s_and_saveexec_b32 s22, s37
	s_cbranch_execz .LBB510_5
; %bb.34:                               ;   in Loop: Header=BB510_6 Depth=1
	v_mov_b64_e32 v[22:23], s[4:5]
	v_mov_b64_e32 v[24:25], s[24:25]
	v_lshl_add_u64 v[20:21], v[14:15], 3, v[20:21]
	s_and_not1_b32 vcc_lo, exec_lo, s28
	s_mov_b32 s23, -1
	s_delay_alu instid0(VALU_DEP_3) | instskip(NEXT) | instid1(VALU_DEP_1)
	v_pk_mul_f32 v[22:23], v[26:27], v[22:23] op_sel_hi:[0,1]
	v_pk_fma_f32 v[30:31], v[28:29], v[24:25], v[22:23] op_sel_hi:[0,1,1]
	v_pk_fma_f32 v[22:23], v[28:29], v[24:25], v[22:23] neg_lo:[0,0,1] neg_hi:[0,0,1]
	s_delay_alu instid0(VALU_DEP_2)
	v_mov_b32_e32 v23, v31
	s_cbranch_vccnz .LBB510_36
; %bb.35:                               ;   in Loop: Header=BB510_6 Depth=1
	flat_load_b64 v[24:25], v[20:21]
	v_mov_b64_e32 v[30:31], s[6:7]
	v_mov_b64_e32 v[32:33], s[2:3]
	s_mov_b32 s23, 0
	s_wait_loadcnt_dscnt 0x0
	s_delay_alu instid0(VALU_DEP_2) | instskip(NEXT) | instid1(VALU_DEP_1)
	v_pk_mul_f32 v[30:31], v[24:25], v[30:31]
	v_pk_fma_f32 v[34:35], v[24:25], v[32:33], v[30:31] op_sel:[0,0,1] op_sel_hi:[1,1,0]
	v_pk_fma_f32 v[24:25], v[24:25], v[32:33], v[30:31] op_sel:[0,0,1] op_sel_hi:[1,1,0] neg_lo:[0,0,1] neg_hi:[0,0,1]
	s_delay_alu instid0(VALU_DEP_2) | instskip(NEXT) | instid1(VALU_DEP_1)
	v_mov_b32_e32 v25, v35
	v_pk_add_f32 v[24:25], v[22:23], v[24:25]
	flat_store_b64 v[20:21], v[24:25]
.LBB510_36:                             ;   in Loop: Header=BB510_6 Depth=1
	s_and_not1_b32 vcc_lo, exec_lo, s23
	s_cbranch_vccnz .LBB510_5
; %bb.37:                               ;   in Loop: Header=BB510_6 Depth=1
	flat_store_b64 v[20:21], v[22:23]
	s_branch .LBB510_5
.LBB510_38:
	s_sendmsg sendmsg(MSG_DEALLOC_VGPRS)
	s_endpgm
	.section	.rodata,"a",@progbits
	.p2align	6, 0x0
	.amdhsa_kernel _ZL29rocblas_internal_gemmt_kernelIlLi16ELi32ELi8ELc67ELc78ELc85ELb1ELb0E19rocblas_complex_numIfEPKS1_PKS3_PKPS1_EviT_T9_T10_S9_lSB_S9_lSA_T11_S9_li
		.amdhsa_group_segment_fixed_size 4096
		.amdhsa_private_segment_fixed_size 0
		.amdhsa_kernarg_size 108
		.amdhsa_user_sgpr_count 2
		.amdhsa_user_sgpr_dispatch_ptr 0
		.amdhsa_user_sgpr_queue_ptr 0
		.amdhsa_user_sgpr_kernarg_segment_ptr 1
		.amdhsa_user_sgpr_dispatch_id 0
		.amdhsa_user_sgpr_kernarg_preload_length 0
		.amdhsa_user_sgpr_kernarg_preload_offset 0
		.amdhsa_user_sgpr_private_segment_size 0
		.amdhsa_wavefront_size32 1
		.amdhsa_uses_dynamic_stack 0
		.amdhsa_enable_private_segment 0
		.amdhsa_system_sgpr_workgroup_id_x 1
		.amdhsa_system_sgpr_workgroup_id_y 1
		.amdhsa_system_sgpr_workgroup_id_z 1
		.amdhsa_system_sgpr_workgroup_info 0
		.amdhsa_system_vgpr_workitem_id 1
		.amdhsa_next_free_vgpr 74
		.amdhsa_next_free_sgpr 41
		.amdhsa_named_barrier_count 0
		.amdhsa_reserve_vcc 1
		.amdhsa_float_round_mode_32 0
		.amdhsa_float_round_mode_16_64 0
		.amdhsa_float_denorm_mode_32 3
		.amdhsa_float_denorm_mode_16_64 3
		.amdhsa_fp16_overflow 0
		.amdhsa_memory_ordered 1
		.amdhsa_forward_progress 1
		.amdhsa_inst_pref_size 26
		.amdhsa_round_robin_scheduling 0
		.amdhsa_exception_fp_ieee_invalid_op 0
		.amdhsa_exception_fp_denorm_src 0
		.amdhsa_exception_fp_ieee_div_zero 0
		.amdhsa_exception_fp_ieee_overflow 0
		.amdhsa_exception_fp_ieee_underflow 0
		.amdhsa_exception_fp_ieee_inexact 0
		.amdhsa_exception_int_div_zero 0
	.end_amdhsa_kernel
	.section	.text._ZL29rocblas_internal_gemmt_kernelIlLi16ELi32ELi8ELc67ELc78ELc85ELb1ELb0E19rocblas_complex_numIfEPKS1_PKS3_PKPS1_EviT_T9_T10_S9_lSB_S9_lSA_T11_S9_li,"axG",@progbits,_ZL29rocblas_internal_gemmt_kernelIlLi16ELi32ELi8ELc67ELc78ELc85ELb1ELb0E19rocblas_complex_numIfEPKS1_PKS3_PKPS1_EviT_T9_T10_S9_lSB_S9_lSA_T11_S9_li,comdat
.Lfunc_end510:
	.size	_ZL29rocblas_internal_gemmt_kernelIlLi16ELi32ELi8ELc67ELc78ELc85ELb1ELb0E19rocblas_complex_numIfEPKS1_PKS3_PKPS1_EviT_T9_T10_S9_lSB_S9_lSA_T11_S9_li, .Lfunc_end510-_ZL29rocblas_internal_gemmt_kernelIlLi16ELi32ELi8ELc67ELc78ELc85ELb1ELb0E19rocblas_complex_numIfEPKS1_PKS3_PKPS1_EviT_T9_T10_S9_lSB_S9_lSA_T11_S9_li
                                        ; -- End function
	.set _ZL29rocblas_internal_gemmt_kernelIlLi16ELi32ELi8ELc67ELc78ELc85ELb1ELb0E19rocblas_complex_numIfEPKS1_PKS3_PKPS1_EviT_T9_T10_S9_lSB_S9_lSA_T11_S9_li.num_vgpr, 74
	.set _ZL29rocblas_internal_gemmt_kernelIlLi16ELi32ELi8ELc67ELc78ELc85ELb1ELb0E19rocblas_complex_numIfEPKS1_PKS3_PKPS1_EviT_T9_T10_S9_lSB_S9_lSA_T11_S9_li.num_agpr, 0
	.set _ZL29rocblas_internal_gemmt_kernelIlLi16ELi32ELi8ELc67ELc78ELc85ELb1ELb0E19rocblas_complex_numIfEPKS1_PKS3_PKPS1_EviT_T9_T10_S9_lSB_S9_lSA_T11_S9_li.numbered_sgpr, 41
	.set _ZL29rocblas_internal_gemmt_kernelIlLi16ELi32ELi8ELc67ELc78ELc85ELb1ELb0E19rocblas_complex_numIfEPKS1_PKS3_PKPS1_EviT_T9_T10_S9_lSB_S9_lSA_T11_S9_li.num_named_barrier, 0
	.set _ZL29rocblas_internal_gemmt_kernelIlLi16ELi32ELi8ELc67ELc78ELc85ELb1ELb0E19rocblas_complex_numIfEPKS1_PKS3_PKPS1_EviT_T9_T10_S9_lSB_S9_lSA_T11_S9_li.private_seg_size, 0
	.set _ZL29rocblas_internal_gemmt_kernelIlLi16ELi32ELi8ELc67ELc78ELc85ELb1ELb0E19rocblas_complex_numIfEPKS1_PKS3_PKPS1_EviT_T9_T10_S9_lSB_S9_lSA_T11_S9_li.uses_vcc, 1
	.set _ZL29rocblas_internal_gemmt_kernelIlLi16ELi32ELi8ELc67ELc78ELc85ELb1ELb0E19rocblas_complex_numIfEPKS1_PKS3_PKPS1_EviT_T9_T10_S9_lSB_S9_lSA_T11_S9_li.uses_flat_scratch, 0
	.set _ZL29rocblas_internal_gemmt_kernelIlLi16ELi32ELi8ELc67ELc78ELc85ELb1ELb0E19rocblas_complex_numIfEPKS1_PKS3_PKPS1_EviT_T9_T10_S9_lSB_S9_lSA_T11_S9_li.has_dyn_sized_stack, 0
	.set _ZL29rocblas_internal_gemmt_kernelIlLi16ELi32ELi8ELc67ELc78ELc85ELb1ELb0E19rocblas_complex_numIfEPKS1_PKS3_PKPS1_EviT_T9_T10_S9_lSB_S9_lSA_T11_S9_li.has_recursion, 0
	.set _ZL29rocblas_internal_gemmt_kernelIlLi16ELi32ELi8ELc67ELc78ELc85ELb1ELb0E19rocblas_complex_numIfEPKS1_PKS3_PKPS1_EviT_T9_T10_S9_lSB_S9_lSA_T11_S9_li.has_indirect_call, 0
	.section	.AMDGPU.csdata,"",@progbits
; Kernel info:
; codeLenInByte = 3276
; TotalNumSgprs: 43
; NumVgprs: 74
; ScratchSize: 0
; MemoryBound: 0
; FloatMode: 240
; IeeeMode: 1
; LDSByteSize: 4096 bytes/workgroup (compile time only)
; SGPRBlocks: 0
; VGPRBlocks: 4
; NumSGPRsForWavesPerEU: 43
; NumVGPRsForWavesPerEU: 74
; NamedBarCnt: 0
; Occupancy: 12
; WaveLimiterHint : 1
; COMPUTE_PGM_RSRC2:SCRATCH_EN: 0
; COMPUTE_PGM_RSRC2:USER_SGPR: 2
; COMPUTE_PGM_RSRC2:TRAP_HANDLER: 0
; COMPUTE_PGM_RSRC2:TGID_X_EN: 1
; COMPUTE_PGM_RSRC2:TGID_Y_EN: 1
; COMPUTE_PGM_RSRC2:TGID_Z_EN: 1
; COMPUTE_PGM_RSRC2:TIDIG_COMP_CNT: 1
	.section	.text._ZL29rocblas_internal_gemmt_kernelIlLi16ELi32ELi8ELc67ELc84ELc85ELb1ELb0E19rocblas_complex_numIfEPKS1_PKS3_PKPS1_EviT_T9_T10_S9_lSB_S9_lSA_T11_S9_li,"axG",@progbits,_ZL29rocblas_internal_gemmt_kernelIlLi16ELi32ELi8ELc67ELc84ELc85ELb1ELb0E19rocblas_complex_numIfEPKS1_PKS3_PKPS1_EviT_T9_T10_S9_lSB_S9_lSA_T11_S9_li,comdat
	.globl	_ZL29rocblas_internal_gemmt_kernelIlLi16ELi32ELi8ELc67ELc84ELc85ELb1ELb0E19rocblas_complex_numIfEPKS1_PKS3_PKPS1_EviT_T9_T10_S9_lSB_S9_lSA_T11_S9_li ; -- Begin function _ZL29rocblas_internal_gemmt_kernelIlLi16ELi32ELi8ELc67ELc84ELc85ELb1ELb0E19rocblas_complex_numIfEPKS1_PKS3_PKPS1_EviT_T9_T10_S9_lSB_S9_lSA_T11_S9_li
	.p2align	8
	.type	_ZL29rocblas_internal_gemmt_kernelIlLi16ELi32ELi8ELc67ELc84ELc85ELb1ELb0E19rocblas_complex_numIfEPKS1_PKS3_PKPS1_EviT_T9_T10_S9_lSB_S9_lSA_T11_S9_li,@function
_ZL29rocblas_internal_gemmt_kernelIlLi16ELi32ELi8ELc67ELc84ELc85ELb1ELb0E19rocblas_complex_numIfEPKS1_PKS3_PKPS1_EviT_T9_T10_S9_lSB_S9_lSA_T11_S9_li: ; @_ZL29rocblas_internal_gemmt_kernelIlLi16ELi32ELi8ELc67ELc84ELc85ELb1ELb0E19rocblas_complex_numIfEPKS1_PKS3_PKPS1_EviT_T9_T10_S9_lSB_S9_lSA_T11_S9_li
; %bb.0:
	s_load_b256 s[24:31], s[0:1], 0x48
	s_wait_kmcnt 0x0
	s_load_b64 s[6:7], s[24:25], 0x0
	s_load_b512 s[8:23], s[0:1], 0x8
	s_wait_kmcnt 0x0
	s_cmp_neq_f32 s6, 1.0
	s_load_b64 s[24:25], s[10:11], 0x0
	s_cselect_b32 s2, -1, 0
	s_and_b32 s4, s7, 0x7fffffff
	s_delay_alu instid0(SALU_CYCLE_1) | instskip(SKIP_3) | instid1(SALU_CYCLE_1)
	s_cmp_eq_u32 s4, 0
	s_cselect_b32 s3, -1, 0
	s_cmp_lg_u32 s4, 0
	s_cselect_b32 s4, -1, 0
	s_or_b32 s2, s2, s4
	s_delay_alu instid0(SALU_CYCLE_1)
	s_and_b32 vcc_lo, exec_lo, s2
	s_cbranch_vccnz .LBB511_2
; %bb.1:
	s_cmp_lg_u64 s[8:9], 0
	s_cselect_b32 s2, -1, 0
	s_wait_kmcnt 0x0
	s_cmp_neq_f32 s24, 0
	s_cselect_b32 s4, -1, 0
	s_cmp_neq_f32 s25, 0
	s_cselect_b32 s5, -1, 0
	s_delay_alu instid0(SALU_CYCLE_1) | instskip(NEXT) | instid1(SALU_CYCLE_1)
	s_or_b32 s4, s4, s5
	s_and_b32 s2, s2, s4
.LBB511_2:
	s_delay_alu instid0(SALU_CYCLE_1)
	s_and_not1_b32 vcc_lo, exec_lo, s2
	s_cbranch_vccnz .LBB511_38
; %bb.3:
	s_load_b32 s33, s[0:1], 0x68
	s_bfe_u32 s2, ttmp6, 0x40014
	s_lshr_b32 s4, ttmp7, 16
	s_add_co_i32 s2, s2, 1
	s_wait_xcnt 0x0
	s_bfe_u32 s10, ttmp6, 0x40008
	s_mul_i32 s5, s4, s2
	s_getreg_b32 s2, hwreg(HW_REG_IB_STS2, 6, 4)
	s_add_co_i32 s10, s10, s5
	s_cmp_eq_u32 s2, 0
	s_mov_b32 s11, 0
	s_cselect_b32 s10, s4, s10
	s_wait_kmcnt 0x0
	s_cmp_ge_u32 s10, s33
	s_cbranch_scc1 .LBB511_38
; %bb.4:
	v_and_b32_e32 v9, 0x3ff, v0
	v_bfe_u32 v15, v0, 10, 10
	s_load_b32 s4, s[0:1], 0x0
	s_wait_xcnt 0x0
	s_bfe_u32 s0, ttmp6, 0x4000c
	s_bfe_u32 s5, ttmp6, 0x40010
	s_add_co_i32 s0, s0, 1
	s_and_b32 s34, ttmp7, 0xffff
	s_add_co_i32 s5, s5, 1
	v_lshl_add_u32 v1, v15, 4, v9
	s_and_b32 s1, ttmp6, 15
	s_mul_i32 s0, ttmp9, s0
	s_mul_i32 s5, s34, s5
	s_bfe_u32 s35, ttmp6, 0x40004
	s_add_co_i32 s1, s1, s0
	s_add_co_i32 s35, s35, s5
	s_cmp_eq_u32 s2, 0
	v_dual_lshrrev_b32 v3, 3, v1 :: v_dual_bitop2_b32 v5, 31, v1 bitop3:0x40
	s_cselect_b32 s0, ttmp9, s1
	s_cselect_b32 s1, s34, s35
	v_dual_lshrrev_b32 v2, 5, v1 :: v_dual_bitop2_b32 v0, 7, v0 bitop3:0x40
	s_lshl_b32 s1, s1, 5
	s_delay_alu instid0(SALU_CYCLE_1) | instskip(SKIP_3) | instid1(VALU_DEP_2)
	v_dual_lshlrev_b32 v1, 3, v5 :: v_dual_add_nc_u32 v16, s1, v15
	s_lshl_b32 s2, s0, 5
	s_cmp_neq_f32 s24, 0
	v_dual_add_nc_u32 v4, s1, v3 :: v_dual_bitop2_b32 v6, s2, v5 bitop3:0x54
	v_dual_add_nc_u32 v18, 16, v16 :: v_dual_ashrrev_i32 v17, 31, v16
	s_cselect_b32 s0, -1, 0
	s_cmp_neq_f32 s25, 0
	s_delay_alu instid0(VALU_DEP_2) | instskip(NEXT) | instid1(VALU_DEP_2)
	v_dual_lshlrev_b32 v5, 3, v0 :: v_dual_ashrrev_i32 v7, 31, v6
	v_dual_ashrrev_i32 v19, 31, v18 :: v_dual_add_nc_u32 v8, s2, v9
	s_cselect_b32 s5, -1, 0
	s_wait_kmcnt 0x0
	v_cmp_le_i32_e64 s34, s4, v6
	s_or_b32 s40, s0, s5
	v_cmp_gt_i32_e64 s0, s4, v6
	v_mul_u64_e32 v[6:7], s[14:15], v[6:7]
	v_mul_u64_e32 v[10:11], s[28:29], v[16:17]
	;; [unrolled: 1-line block ×3, first 2 shown]
	s_cmp_neq_f32 s6, 0
	v_cmp_gt_i32_e32 vcc_lo, s4, v16
	v_cmp_le_i32_e64 s2, v8, v16
	v_add_nc_u32_e32 v14, 16, v8
	v_lshl_or_b32 v3, v3, 6, v5
	v_cmp_gt_i64_e64 s41, s[8:9], 0
	s_cselect_b32 s5, -1, 0
	s_xor_b32 s3, s3, -1
	v_cmp_gt_i32_e64 s1, s4, v4
	v_dual_ashrrev_i32 v5, 31, v4 :: v_dual_lshlrev_b32 v27, 3, v9
	s_or_b32 s35, s5, s3
	s_and_b32 s36, vcc_lo, s2
	v_cmp_gt_i32_e64 s3, s4, v18
	v_cmp_le_i32_e64 s4, v8, v18
	v_ashrrev_i32_e32 v9, 31, v8
	v_cmp_le_i32_e64 s2, v14, v16
	v_cmp_le_i32_e64 s5, v14, v18
	v_lshl_or_b32 v1, v2, 8, v1
	v_add_nc_u32_e32 v3, 0x800, v3
	v_lshl_add_u32 v29, v15, 6, 0x800
	v_dual_ashrrev_i32 v15, 31, v14 :: v_dual_mov_b32 v17, 0
	s_and_b32 s37, vcc_lo, s2
	s_and_b32 s38, s3, s4
	s_and_b32 s39, s3, s5
	s_mov_b32 s2, s6
	s_mov_b32 s3, s6
	;; [unrolled: 1-line block ×5, first 2 shown]
	s_and_b32 s40, s40, s41
	s_lshl_b64 s[14:15], s[22:23], 3
	s_lshl_b64 s[16:17], s[16:17], 3
	;; [unrolled: 1-line block ×3, first 2 shown]
                                        ; implicit-def: $vgpr18_vgpr19
	s_branch .LBB511_6
.LBB511_5:                              ;   in Loop: Header=BB511_6 Depth=1
	s_wait_xcnt 0x0
	s_or_b32 exec_lo, exec_lo, s28
	s_add_co_i32 s10, s10, 0x10000
	s_delay_alu instid0(SALU_CYCLE_1)
	s_cmp_lt_u32 s10, s33
	s_cbranch_scc0 .LBB511_38
.LBB511_6:                              ; =>This Loop Header: Depth=1
                                        ;     Child Loop BB511_9 Depth 2
	v_mov_b32_e32 v16, s10
	s_and_not1_b32 vcc_lo, exec_lo, s40
	global_load_b64 v[20:21], v16, s[26:27] scale_offset
	s_cbranch_vccnz .LBB511_17
; %bb.7:                                ;   in Loop: Header=BB511_6 Depth=1
	s_lshl_b64 s[28:29], s[10:11], 3
	v_dual_mov_b32 v26, 0 :: v_dual_mov_b32 v28, 0
	s_add_nc_u64 s[30:31], s[12:13], s[28:29]
	s_add_nc_u64 s[28:29], s[18:19], s[28:29]
	s_clause 0x1
	global_load_b64 v[22:23], v17, s[30:31]
	global_load_b64 v[24:25], v17, s[28:29]
	v_dual_mov_b32 v32, 0 :: v_dual_mov_b32 v30, 0
	v_dual_mov_b32 v36, 0 :: v_dual_mov_b32 v34, 0
	;; [unrolled: 1-line block ×3, first 2 shown]
	s_wait_xcnt 0x0
	s_mov_b64 s[28:29], 0
	s_wait_loadcnt 0x1
	v_add_nc_u64_e32 v[22:23], s[16:17], v[22:23]
	s_wait_loadcnt 0x0
	v_add_nc_u64_e32 v[24:25], s[14:15], v[24:25]
	s_delay_alu instid0(VALU_DEP_2) | instskip(NEXT) | instid1(VALU_DEP_2)
	v_lshl_add_u64 v[22:23], v[6:7], 3, v[22:23]
	v_lshl_add_u64 v[24:25], v[4:5], 3, v[24:25]
	s_branch .LBB511_9
.LBB511_8:                              ;   in Loop: Header=BB511_9 Depth=2
	s_wait_xcnt 0x0
	s_or_b32 exec_lo, exec_lo, s30
	s_wait_loadcnt_dscnt 0x0
	ds_store_b64 v3, v[42:43]
	s_wait_dscnt 0x0
	s_barrier_signal -1
	s_barrier_wait -1
	ds_load_b128 v[42:45], v29
	ds_load_2addr_b64 v[46:49], v27 offset1:16
	ds_load_b128 v[50:53], v29 offset:1024
	ds_load_b128 v[54:57], v29 offset:16
	;; [unrolled: 1-line block ×4, first 2 shown]
	ds_load_2addr_b64 v[66:69], v27 offset0:32 offset1:48
	ds_load_b128 v[70:73], v29 offset:1040
	s_add_nc_u64 s[28:29], s[28:29], 8
	s_delay_alu instid0(SALU_CYCLE_1)
	v_cmp_gt_i64_e64 s30, s[8:9], s[28:29]
	s_and_b32 vcc_lo, exec_lo, s30
	s_wait_dscnt 0x6
	v_dual_mul_f32 v16, v43, v47 :: v_dual_mul_f32 v31, v42, v47
	v_dual_mul_f32 v33, v43, v49 :: v_dual_mul_f32 v35, v42, v49
	s_wait_dscnt 0x5
	v_dual_mul_f32 v37, v51, v47 :: v_dual_mul_f32 v39, v50, v47
	v_dual_mul_f32 v41, v51, v49 :: v_dual_mul_f32 v47, v50, v49
	v_dual_fma_f32 v16, v42, v46, -v16 :: v_dual_fmac_f32 v31, v43, v46
	v_dual_fma_f32 v33, v42, v48, -v33 :: v_dual_fmac_f32 v35, v43, v48
	s_delay_alu instid0(VALU_DEP_4) | instskip(NEXT) | instid1(VALU_DEP_3)
	v_dual_fma_f32 v37, v50, v46, -v37 :: v_dual_fmac_f32 v39, v51, v46
	v_dual_add_f32 v16, v38, v16 :: v_dual_add_f32 v38, v40, v31
	v_fma_f32 v31, v50, v48, -v41
	s_delay_alu instid0(VALU_DEP_4) | instskip(NEXT) | instid1(VALU_DEP_4)
	v_dual_add_f32 v34, v34, v33 :: v_dual_add_f32 v35, v36, v35
	v_dual_add_f32 v36, v30, v37 :: v_dual_add_f32 v37, v32, v39
	s_wait_dscnt 0x1
	v_dual_mul_f32 v39, v45, v67 :: v_dual_fmac_f32 v47, v51, v48
	v_add_f32_e32 v28, v28, v31
	ds_load_2addr_b64 v[30:33], v27 offset0:64 offset1:80
	v_dual_mul_f32 v40, v44, v67 :: v_dual_fma_f32 v39, v44, v66, -v39
	v_dual_mul_f32 v41, v45, v69 :: v_dual_add_f32 v26, v26, v47
	s_delay_alu instid0(VALU_DEP_2) | instskip(NEXT) | instid1(VALU_DEP_3)
	v_dual_mul_f32 v42, v44, v69 :: v_dual_fmac_f32 v40, v45, v66
	v_add_f32_e32 v16, v16, v39
	s_delay_alu instid0(VALU_DEP_3) | instskip(NEXT) | instid1(VALU_DEP_3)
	v_dual_fma_f32 v39, v44, v68, -v41 :: v_dual_mul_f32 v41, v53, v67
	v_fmac_f32_e32 v42, v45, v68
	s_delay_alu instid0(VALU_DEP_4) | instskip(NEXT) | instid1(VALU_DEP_3)
	v_dual_add_f32 v38, v38, v40 :: v_dual_mul_f32 v40, v52, v67
	v_dual_add_f32 v39, v34, v39 :: v_dual_fma_f32 v34, v52, v66, -v41
	s_delay_alu instid0(VALU_DEP_3) | instskip(NEXT) | instid1(VALU_DEP_3)
	v_dual_mul_f32 v41, v53, v69 :: v_dual_add_f32 v42, v35, v42
	v_dual_fmac_f32 v40, v53, v66 :: v_dual_mul_f32 v43, v52, v69
	s_wait_dscnt 0x0
	s_delay_alu instid0(VALU_DEP_3) | instskip(NEXT) | instid1(VALU_DEP_3)
	v_dual_add_f32 v44, v36, v34 :: v_dual_mul_f32 v35, v55, v31
	v_fma_f32 v34, v52, v68, -v41
	s_delay_alu instid0(VALU_DEP_3) | instskip(SKIP_1) | instid1(VALU_DEP_4)
	v_dual_add_f32 v40, v37, v40 :: v_dual_mul_f32 v41, v54, v31
	v_fmac_f32_e32 v43, v53, v68
	v_fma_f32 v45, v54, v30, -v35
	s_delay_alu instid0(VALU_DEP_4) | instskip(SKIP_4) | instid1(VALU_DEP_3)
	v_dual_add_f32 v28, v28, v34 :: v_dual_mul_f32 v46, v55, v33
	ds_load_2addr_b64 v[34:37], v27 offset0:96 offset1:112
	v_dual_fmac_f32 v41, v55, v30 :: v_dual_add_f32 v26, v26, v43
	v_add_f32_e32 v16, v16, v45
	v_dual_mul_f32 v43, v54, v33 :: v_dual_fma_f32 v45, v54, v32, -v46
	v_dual_add_f32 v38, v38, v41 :: v_dual_mul_f32 v41, v71, v31
	s_delay_alu instid0(VALU_DEP_2) | instskip(NEXT) | instid1(VALU_DEP_3)
	v_dual_mul_f32 v31, v70, v31 :: v_dual_fmac_f32 v43, v55, v32
	v_add_f32_e32 v39, v39, v45
	s_delay_alu instid0(VALU_DEP_3) | instskip(NEXT) | instid1(VALU_DEP_3)
	v_dual_mul_f32 v45, v71, v33 :: v_dual_fma_f32 v41, v70, v30, -v41
	v_dual_fmac_f32 v31, v71, v30 :: v_dual_mul_f32 v46, v70, v33
	s_delay_alu instid0(VALU_DEP_4) | instskip(NEXT) | instid1(VALU_DEP_3)
	v_add_f32_e32 v42, v42, v43
	v_dual_fma_f32 v30, v70, v32, -v45 :: v_dual_add_f32 v43, v44, v41
	s_delay_alu instid0(VALU_DEP_3) | instskip(SKIP_1) | instid1(VALU_DEP_2)
	v_dual_add_f32 v44, v40, v31 :: v_dual_fmac_f32 v46, v71, v32
	s_wait_dscnt 0x0
	v_dual_mul_f32 v40, v57, v35 :: v_dual_add_f32 v28, v28, v30
	ds_load_2addr_b64 v[30:33], v27 offset0:128 offset1:144
	v_dual_mul_f32 v41, v56, v35 :: v_dual_mul_f32 v45, v57, v37
	v_fma_f32 v40, v56, v34, -v40
	v_dual_add_f32 v26, v26, v46 :: v_dual_mul_f32 v46, v56, v37
	s_delay_alu instid0(VALU_DEP_3) | instskip(NEXT) | instid1(VALU_DEP_4)
	v_fmac_f32_e32 v41, v57, v34
	v_fma_f32 v45, v56, v36, -v45
	s_delay_alu instid0(VALU_DEP_4) | instskip(NEXT) | instid1(VALU_DEP_3)
	v_dual_add_f32 v16, v16, v40 :: v_dual_mul_f32 v40, v73, v35
	v_dual_fmac_f32 v46, v57, v36 :: v_dual_add_f32 v47, v38, v41
	s_delay_alu instid0(VALU_DEP_3) | instskip(NEXT) | instid1(VALU_DEP_3)
	v_dual_add_f32 v48, v39, v45 :: v_dual_mul_f32 v35, v72, v35
	v_dual_fma_f32 v45, v72, v34, -v40 :: v_dual_mul_f32 v49, v73, v37
	s_delay_alu instid0(VALU_DEP_3)
	v_add_f32_e32 v46, v42, v46
	ds_load_b128 v[38:41], v29 offset:1056
	v_dual_fmac_f32 v35, v73, v34 :: v_dual_mul_f32 v42, v72, v37
	v_dual_fma_f32 v34, v72, v36, -v49 :: v_dual_add_f32 v49, v43, v45
	s_wait_dscnt 0x1
	v_dual_mul_f32 v37, v59, v31 :: v_dual_mul_f32 v51, v58, v31
	s_delay_alu instid0(VALU_DEP_3) | instskip(NEXT) | instid1(VALU_DEP_3)
	v_dual_fmac_f32 v42, v73, v36 :: v_dual_add_f32 v50, v44, v35
	v_add_f32_e32 v28, v28, v34
	s_delay_alu instid0(VALU_DEP_3) | instskip(NEXT) | instid1(VALU_DEP_3)
	v_dual_fma_f32 v43, v58, v30, -v37 :: v_dual_mul_f32 v44, v59, v33
	v_add_f32_e32 v26, v26, v42
	ds_load_2addr_b64 v[34:37], v27 offset0:160 offset1:176
	v_dual_fmac_f32 v51, v59, v30 :: v_dual_add_f32 v16, v16, v43
	v_dual_fma_f32 v52, v58, v32, -v44 :: v_dual_mul_f32 v53, v58, v33
	ds_load_b128 v[42:45], v29 offset:1072
	v_add_f32_e32 v47, v47, v51
	s_wait_dscnt 0x2
	v_dual_mul_f32 v54, v39, v31 :: v_dual_mul_f32 v31, v38, v31
	v_fmac_f32_e32 v53, v59, v32
	v_dual_add_f32 v48, v48, v52 :: v_dual_mul_f32 v52, v39, v33
	s_delay_alu instid0(VALU_DEP_3) | instskip(NEXT) | instid1(VALU_DEP_3)
	v_dual_fma_f32 v51, v38, v30, -v54 :: v_dual_fmac_f32 v31, v39, v30
	v_add_f32_e32 v46, v46, v53
	s_delay_alu instid0(VALU_DEP_3) | instskip(NEXT) | instid1(VALU_DEP_3)
	v_dual_mul_f32 v53, v38, v33 :: v_dual_fma_f32 v30, v38, v32, -v52
	v_add_f32_e32 v49, v49, v51
	s_delay_alu instid0(VALU_DEP_2)
	v_dual_add_f32 v38, v50, v31 :: v_dual_fmac_f32 v53, v39, v32
	s_wait_dscnt 0x1
	v_dual_mul_f32 v50, v61, v35 :: v_dual_mul_f32 v39, v60, v35
	v_dual_add_f32 v28, v28, v30 :: v_dual_mul_f32 v51, v61, v37
	ds_load_2addr_b64 v[30:33], v27 offset0:192 offset1:208
	v_dual_fma_f32 v50, v60, v34, -v50 :: v_dual_fmac_f32 v39, v61, v34
	v_add_f32_e32 v26, v26, v53
	v_mul_f32_e32 v52, v60, v37
	s_delay_alu instid0(VALU_DEP_3) | instskip(NEXT) | instid1(VALU_DEP_4)
	v_add_f32_e32 v16, v16, v50
	v_dual_fma_f32 v50, v60, v36, -v51 :: v_dual_add_f32 v39, v47, v39
	s_delay_alu instid0(VALU_DEP_3) | instskip(SKIP_1) | instid1(VALU_DEP_3)
	v_fmac_f32_e32 v52, v61, v36
	v_dual_mul_f32 v47, v41, v35 :: v_dual_mul_f32 v35, v40, v35
	v_dual_add_f32 v50, v48, v50 :: v_dual_mul_f32 v48, v41, v37
	s_delay_alu instid0(VALU_DEP_2) | instskip(NEXT) | instid1(VALU_DEP_3)
	v_dual_add_f32 v51, v46, v52 :: v_dual_fma_f32 v47, v40, v34, -v47
	v_dual_fmac_f32 v35, v41, v34 :: v_dual_mul_f32 v34, v40, v37
	s_delay_alu instid0(VALU_DEP_2) | instskip(SKIP_1) | instid1(VALU_DEP_2)
	v_dual_fma_f32 v37, v40, v36, -v48 :: v_dual_add_f32 v40, v49, v47
	s_wait_dscnt 0x0
	v_dual_mul_f32 v46, v63, v31 :: v_dual_fmac_f32 v34, v41, v36
	s_delay_alu instid0(VALU_DEP_2) | instskip(NEXT) | instid1(VALU_DEP_2)
	v_dual_add_f32 v35, v38, v35 :: v_dual_add_f32 v28, v28, v37
	v_dual_mul_f32 v36, v62, v31 :: v_dual_fma_f32 v37, v62, v30, -v46
	ds_load_2addr_b64 v[46:49], v27 offset0:224 offset1:240
	v_dual_add_f32 v26, v26, v34 :: v_dual_mul_f32 v34, v63, v33
	v_dual_fmac_f32 v36, v63, v30 :: v_dual_add_f32 v16, v16, v37
	v_dual_mul_f32 v37, v62, v33 :: v_dual_mul_f32 v38, v43, v31
	s_delay_alu instid0(VALU_DEP_3) | instskip(NEXT) | instid1(VALU_DEP_3)
	v_fma_f32 v34, v62, v32, -v34
	v_dual_mul_f32 v31, v42, v31 :: v_dual_add_f32 v36, v39, v36
	s_delay_alu instid0(VALU_DEP_3) | instskip(NEXT) | instid1(VALU_DEP_3)
	v_dual_fmac_f32 v37, v63, v32 :: v_dual_fma_f32 v38, v42, v30, -v38
	v_add_f32_e32 v34, v50, v34
	s_delay_alu instid0(VALU_DEP_3) | instskip(SKIP_1) | instid1(VALU_DEP_4)
	v_dual_fmac_f32 v31, v43, v30 :: v_dual_mul_f32 v30, v43, v33
	v_mul_f32_e32 v33, v42, v33
	v_dual_add_f32 v37, v51, v37 :: v_dual_add_f32 v39, v40, v38
	s_delay_alu instid0(VALU_DEP_3) | instskip(SKIP_3) | instid1(VALU_DEP_3)
	v_dual_add_f32 v31, v35, v31 :: v_dual_fma_f32 v30, v42, v32, -v30
	s_wait_dscnt 0x0
	v_dual_mul_f32 v35, v65, v47 :: v_dual_mul_f32 v40, v64, v47
	v_dual_fmac_f32 v33, v43, v32 :: v_dual_mul_f32 v32, v65, v49
	v_add_f32_e32 v28, v28, v30
	s_delay_alu instid0(VALU_DEP_3) | instskip(NEXT) | instid1(VALU_DEP_3)
	v_dual_fma_f32 v30, v64, v46, -v35 :: v_dual_fmac_f32 v40, v65, v46
	v_dual_mul_f32 v35, v64, v49 :: v_dual_fma_f32 v32, v64, v48, -v32
	s_delay_alu instid0(VALU_DEP_2) | instskip(NEXT) | instid1(VALU_DEP_3)
	v_dual_add_f32 v26, v26, v33 :: v_dual_add_f32 v38, v16, v30
	v_dual_add_f32 v40, v36, v40 :: v_dual_mul_f32 v16, v45, v47
	s_delay_alu instid0(VALU_DEP_3) | instskip(NEXT) | instid1(VALU_DEP_4)
	v_fmac_f32_e32 v35, v65, v48
	v_dual_add_f32 v34, v34, v32 :: v_dual_mul_f32 v30, v45, v49
	v_dual_mul_f32 v32, v44, v47 :: v_dual_mul_f32 v33, v44, v49
	s_delay_alu instid0(VALU_DEP_3) | instskip(NEXT) | instid1(VALU_DEP_2)
	v_dual_add_f32 v36, v37, v35 :: v_dual_fma_f32 v16, v44, v46, -v16
	v_dual_fma_f32 v35, v44, v48, -v30 :: v_dual_fmac_f32 v32, v45, v46
	s_delay_alu instid0(VALU_DEP_3) | instskip(NEXT) | instid1(VALU_DEP_2)
	v_fmac_f32_e32 v33, v45, v48
	v_dual_add_f32 v30, v39, v16 :: v_dual_add_f32 v28, v28, v35
	s_delay_alu instid0(VALU_DEP_2)
	v_dual_add_f32 v32, v31, v32 :: v_dual_add_f32 v26, v26, v33
	s_barrier_signal -1
	s_barrier_wait -1
	s_cbranch_vccz .LBB511_18
.LBB511_9:                              ;   Parent Loop BB511_6 Depth=1
                                        ; =>  This Inner Loop Header: Depth=2
	s_mov_b32 s30, 0
	s_mov_b32 s41, s34
	s_and_saveexec_b32 s31, s0
; %bb.10:                               ;   in Loop: Header=BB511_9 Depth=2
	v_add_nc_u32_e32 v16, s28, v2
	s_and_not1_b32 s41, s34, exec_lo
	s_mov_b32 s30, exec_lo
	s_delay_alu instid0(VALU_DEP_1) | instskip(SKIP_2) | instid1(SALU_CYCLE_1)
	v_cmp_le_u64_e32 vcc_lo, s[8:9], v[16:17]
	v_mov_b64_e32 v[18:19], v[16:17]
	s_and_b32 s42, vcc_lo, exec_lo
	s_or_b32 s41, s41, s42
; %bb.11:                               ;   in Loop: Header=BB511_9 Depth=2
	s_or_b32 exec_lo, exec_lo, s31
	s_and_saveexec_b32 s31, s41
	s_delay_alu instid0(SALU_CYCLE_1)
	s_xor_b32 s31, exec_lo, s31
; %bb.12:                               ;   in Loop: Header=BB511_9 Depth=2
	s_and_not1_b32 s30, s30, exec_lo
	ds_store_b32 v1, v17
; %bb.13:                               ;   in Loop: Header=BB511_9 Depth=2
	s_or_b32 exec_lo, exec_lo, s31
	v_dual_mov_b32 v42, 0 :: v_dual_mov_b32 v31, 0
	s_and_saveexec_b32 s31, s30
	s_cbranch_execz .LBB511_15
; %bb.14:                               ;   in Loop: Header=BB511_9 Depth=2
	v_lshl_add_u64 v[44:45], v[18:19], 3, v[22:23]
	flat_load_b64 v[44:45], v[44:45]
	s_wait_loadcnt_dscnt 0x0
	v_xor_b32_e32 v31, 0x80000000, v45
	ds_store_b32 v1, v44
.LBB511_15:                             ;   in Loop: Header=BB511_9 Depth=2
	s_wait_xcnt 0x0
	s_or_b32 exec_lo, exec_lo, s31
	v_dual_mov_b32 v43, 0 :: v_dual_add_nc_u32 v16, s28, v0
	ds_store_b32 v1, v31 offset:4
	v_cmp_gt_u64_e32 vcc_lo, s[8:9], v[16:17]
	s_and_b32 s31, vcc_lo, s1
	s_delay_alu instid0(SALU_CYCLE_1)
	s_and_saveexec_b32 s30, s31
	s_cbranch_execz .LBB511_8
; %bb.16:                               ;   in Loop: Header=BB511_9 Depth=2
	v_mul_u64_e32 v[42:43], s[20:21], v[16:17]
	s_delay_alu instid0(VALU_DEP_1)
	v_lshl_add_u64 v[42:43], v[42:43], 3, v[24:25]
	flat_load_b64 v[42:43], v[42:43]
	s_branch .LBB511_8
.LBB511_17:                             ;   in Loop: Header=BB511_6 Depth=1
	v_dual_mov_b32 v38, v17 :: v_dual_mov_b32 v40, v17
	v_dual_mov_b32 v34, v17 :: v_dual_mov_b32 v36, v17
	;; [unrolled: 1-line block ×4, first 2 shown]
.LBB511_18:                             ;   in Loop: Header=BB511_6 Depth=1
	s_wait_loadcnt 0x0
	v_add_nc_u64_e32 v[20:21], s[22:23], v[20:21]
	s_delay_alu instid0(VALU_DEP_1)
	v_lshl_add_u64 v[22:23], v[10:11], 3, v[20:21]
	s_wait_xcnt 0x0
	s_and_saveexec_b32 s28, s36
	s_cbranch_execz .LBB511_23
; %bb.19:                               ;   in Loop: Header=BB511_6 Depth=1
	v_mov_b64_e32 v[24:25], s[4:5]
	v_mov_b64_e32 v[42:43], s[24:25]
	s_and_b32 vcc_lo, exec_lo, s35
	s_mov_b32 s29, -1
	s_delay_alu instid0(VALU_DEP_2) | instskip(NEXT) | instid1(VALU_DEP_1)
	v_pk_mul_f32 v[24:25], v[40:41], v[24:25] op_sel_hi:[0,1]
	v_pk_fma_f32 v[40:41], v[38:39], v[42:43], v[24:25] op_sel_hi:[0,1,1]
	v_pk_fma_f32 v[24:25], v[38:39], v[42:43], v[24:25] neg_lo:[0,0,1] neg_hi:[0,0,1]
	v_lshl_add_u64 v[38:39], v[8:9], 3, v[22:23]
	s_delay_alu instid0(VALU_DEP_3)
	v_mov_b32_e32 v25, v41
	s_cbranch_vccz .LBB511_21
; %bb.20:                               ;   in Loop: Header=BB511_6 Depth=1
	flat_load_b64 v[40:41], v[38:39]
	v_mov_b64_e32 v[42:43], s[6:7]
	v_mov_b64_e32 v[44:45], s[2:3]
	s_mov_b32 s29, 0
	s_wait_loadcnt_dscnt 0x0
	s_delay_alu instid0(VALU_DEP_2) | instskip(NEXT) | instid1(VALU_DEP_1)
	v_pk_mul_f32 v[42:43], v[40:41], v[42:43]
	v_pk_fma_f32 v[46:47], v[40:41], v[44:45], v[42:43] op_sel:[0,0,1] op_sel_hi:[1,1,0]
	v_pk_fma_f32 v[40:41], v[40:41], v[44:45], v[42:43] op_sel:[0,0,1] op_sel_hi:[1,1,0] neg_lo:[0,0,1] neg_hi:[0,0,1]
	s_delay_alu instid0(VALU_DEP_2) | instskip(NEXT) | instid1(VALU_DEP_1)
	v_mov_b32_e32 v41, v47
	v_pk_add_f32 v[40:41], v[24:25], v[40:41]
	flat_store_b64 v[38:39], v[40:41]
.LBB511_21:                             ;   in Loop: Header=BB511_6 Depth=1
	s_and_not1_b32 vcc_lo, exec_lo, s29
	s_cbranch_vccnz .LBB511_23
; %bb.22:                               ;   in Loop: Header=BB511_6 Depth=1
	flat_store_b64 v[38:39], v[24:25]
.LBB511_23:                             ;   in Loop: Header=BB511_6 Depth=1
	s_wait_xcnt 0x0
	s_or_b32 exec_lo, exec_lo, s28
	s_and_saveexec_b32 s28, s37
	s_cbranch_execz .LBB511_28
; %bb.24:                               ;   in Loop: Header=BB511_6 Depth=1
	v_mov_b64_e32 v[24:25], s[4:5]
	v_mov_b64_e32 v[38:39], s[24:25]
	v_lshl_add_u64 v[22:23], v[14:15], 3, v[22:23]
	s_and_not1_b32 vcc_lo, exec_lo, s35
	s_mov_b32 s29, -1
	s_delay_alu instid0(VALU_DEP_3) | instskip(NEXT) | instid1(VALU_DEP_1)
	v_pk_mul_f32 v[24:25], v[36:37], v[24:25] op_sel_hi:[0,1]
	v_pk_fma_f32 v[36:37], v[34:35], v[38:39], v[24:25] op_sel_hi:[0,1,1]
	v_pk_fma_f32 v[24:25], v[34:35], v[38:39], v[24:25] neg_lo:[0,0,1] neg_hi:[0,0,1]
	s_delay_alu instid0(VALU_DEP_2)
	v_mov_b32_e32 v25, v37
	s_cbranch_vccnz .LBB511_26
; %bb.25:                               ;   in Loop: Header=BB511_6 Depth=1
	flat_load_b64 v[34:35], v[22:23]
	v_mov_b64_e32 v[36:37], s[6:7]
	v_mov_b64_e32 v[38:39], s[2:3]
	s_mov_b32 s29, 0
	s_wait_loadcnt_dscnt 0x0
	s_delay_alu instid0(VALU_DEP_2) | instskip(NEXT) | instid1(VALU_DEP_1)
	v_pk_mul_f32 v[36:37], v[34:35], v[36:37]
	v_pk_fma_f32 v[40:41], v[34:35], v[38:39], v[36:37] op_sel:[0,0,1] op_sel_hi:[1,1,0]
	v_pk_fma_f32 v[34:35], v[34:35], v[38:39], v[36:37] op_sel:[0,0,1] op_sel_hi:[1,1,0] neg_lo:[0,0,1] neg_hi:[0,0,1]
	s_delay_alu instid0(VALU_DEP_2) | instskip(NEXT) | instid1(VALU_DEP_1)
	v_mov_b32_e32 v35, v41
	v_pk_add_f32 v[34:35], v[24:25], v[34:35]
	flat_store_b64 v[22:23], v[34:35]
.LBB511_26:                             ;   in Loop: Header=BB511_6 Depth=1
	s_and_not1_b32 vcc_lo, exec_lo, s29
	s_cbranch_vccnz .LBB511_28
; %bb.27:                               ;   in Loop: Header=BB511_6 Depth=1
	flat_store_b64 v[22:23], v[24:25]
.LBB511_28:                             ;   in Loop: Header=BB511_6 Depth=1
	s_wait_xcnt 0x0
	s_or_b32 exec_lo, exec_lo, s28
	v_lshl_add_u64 v[20:21], v[12:13], 3, v[20:21]
	s_and_saveexec_b32 s28, s38
	s_cbranch_execz .LBB511_33
; %bb.29:                               ;   in Loop: Header=BB511_6 Depth=1
	v_mov_b64_e32 v[22:23], s[4:5]
	v_mov_b64_e32 v[24:25], s[24:25]
	s_and_not1_b32 vcc_lo, exec_lo, s35
	s_mov_b32 s29, -1
	s_delay_alu instid0(VALU_DEP_2) | instskip(NEXT) | instid1(VALU_DEP_1)
	v_pk_mul_f32 v[22:23], v[32:33], v[22:23] op_sel_hi:[0,1]
	v_pk_fma_f32 v[32:33], v[30:31], v[24:25], v[22:23] op_sel_hi:[0,1,1]
	v_pk_fma_f32 v[22:23], v[30:31], v[24:25], v[22:23] neg_lo:[0,0,1] neg_hi:[0,0,1]
	v_lshl_add_u64 v[24:25], v[8:9], 3, v[20:21]
	s_delay_alu instid0(VALU_DEP_3)
	v_mov_b32_e32 v23, v33
	s_cbranch_vccnz .LBB511_31
; %bb.30:                               ;   in Loop: Header=BB511_6 Depth=1
	flat_load_b64 v[30:31], v[24:25]
	v_mov_b64_e32 v[32:33], s[6:7]
	v_mov_b64_e32 v[34:35], s[2:3]
	s_mov_b32 s29, 0
	s_wait_loadcnt_dscnt 0x0
	s_delay_alu instid0(VALU_DEP_2) | instskip(NEXT) | instid1(VALU_DEP_1)
	v_pk_mul_f32 v[32:33], v[30:31], v[32:33]
	v_pk_fma_f32 v[36:37], v[30:31], v[34:35], v[32:33] op_sel:[0,0,1] op_sel_hi:[1,1,0]
	v_pk_fma_f32 v[30:31], v[30:31], v[34:35], v[32:33] op_sel:[0,0,1] op_sel_hi:[1,1,0] neg_lo:[0,0,1] neg_hi:[0,0,1]
	s_delay_alu instid0(VALU_DEP_2) | instskip(NEXT) | instid1(VALU_DEP_1)
	v_mov_b32_e32 v31, v37
	v_pk_add_f32 v[30:31], v[22:23], v[30:31]
	flat_store_b64 v[24:25], v[30:31]
.LBB511_31:                             ;   in Loop: Header=BB511_6 Depth=1
	s_and_not1_b32 vcc_lo, exec_lo, s29
	s_cbranch_vccnz .LBB511_33
; %bb.32:                               ;   in Loop: Header=BB511_6 Depth=1
	flat_store_b64 v[24:25], v[22:23]
.LBB511_33:                             ;   in Loop: Header=BB511_6 Depth=1
	s_wait_xcnt 0x0
	s_or_b32 exec_lo, exec_lo, s28
	s_and_saveexec_b32 s28, s39
	s_cbranch_execz .LBB511_5
; %bb.34:                               ;   in Loop: Header=BB511_6 Depth=1
	v_mov_b64_e32 v[22:23], s[4:5]
	v_mov_b64_e32 v[24:25], s[24:25]
	v_lshl_add_u64 v[20:21], v[14:15], 3, v[20:21]
	s_and_not1_b32 vcc_lo, exec_lo, s35
	s_mov_b32 s29, -1
	s_delay_alu instid0(VALU_DEP_3) | instskip(NEXT) | instid1(VALU_DEP_1)
	v_pk_mul_f32 v[22:23], v[26:27], v[22:23] op_sel_hi:[0,1]
	v_pk_fma_f32 v[30:31], v[28:29], v[24:25], v[22:23] op_sel_hi:[0,1,1]
	v_pk_fma_f32 v[22:23], v[28:29], v[24:25], v[22:23] neg_lo:[0,0,1] neg_hi:[0,0,1]
	s_delay_alu instid0(VALU_DEP_2)
	v_mov_b32_e32 v23, v31
	s_cbranch_vccnz .LBB511_36
; %bb.35:                               ;   in Loop: Header=BB511_6 Depth=1
	flat_load_b64 v[24:25], v[20:21]
	v_mov_b64_e32 v[30:31], s[6:7]
	v_mov_b64_e32 v[32:33], s[2:3]
	s_mov_b32 s29, 0
	s_wait_loadcnt_dscnt 0x0
	s_delay_alu instid0(VALU_DEP_2) | instskip(NEXT) | instid1(VALU_DEP_1)
	v_pk_mul_f32 v[30:31], v[24:25], v[30:31]
	v_pk_fma_f32 v[34:35], v[24:25], v[32:33], v[30:31] op_sel:[0,0,1] op_sel_hi:[1,1,0]
	v_pk_fma_f32 v[24:25], v[24:25], v[32:33], v[30:31] op_sel:[0,0,1] op_sel_hi:[1,1,0] neg_lo:[0,0,1] neg_hi:[0,0,1]
	s_delay_alu instid0(VALU_DEP_2) | instskip(NEXT) | instid1(VALU_DEP_1)
	v_mov_b32_e32 v25, v35
	v_pk_add_f32 v[24:25], v[22:23], v[24:25]
	flat_store_b64 v[20:21], v[24:25]
.LBB511_36:                             ;   in Loop: Header=BB511_6 Depth=1
	s_and_not1_b32 vcc_lo, exec_lo, s29
	s_cbranch_vccnz .LBB511_5
; %bb.37:                               ;   in Loop: Header=BB511_6 Depth=1
	flat_store_b64 v[20:21], v[22:23]
	s_branch .LBB511_5
.LBB511_38:
	s_sendmsg sendmsg(MSG_DEALLOC_VGPRS)
	s_endpgm
	.section	.rodata,"a",@progbits
	.p2align	6, 0x0
	.amdhsa_kernel _ZL29rocblas_internal_gemmt_kernelIlLi16ELi32ELi8ELc67ELc84ELc85ELb1ELb0E19rocblas_complex_numIfEPKS1_PKS3_PKPS1_EviT_T9_T10_S9_lSB_S9_lSA_T11_S9_li
		.amdhsa_group_segment_fixed_size 4096
		.amdhsa_private_segment_fixed_size 0
		.amdhsa_kernarg_size 108
		.amdhsa_user_sgpr_count 2
		.amdhsa_user_sgpr_dispatch_ptr 0
		.amdhsa_user_sgpr_queue_ptr 0
		.amdhsa_user_sgpr_kernarg_segment_ptr 1
		.amdhsa_user_sgpr_dispatch_id 0
		.amdhsa_user_sgpr_kernarg_preload_length 0
		.amdhsa_user_sgpr_kernarg_preload_offset 0
		.amdhsa_user_sgpr_private_segment_size 0
		.amdhsa_wavefront_size32 1
		.amdhsa_uses_dynamic_stack 0
		.amdhsa_enable_private_segment 0
		.amdhsa_system_sgpr_workgroup_id_x 1
		.amdhsa_system_sgpr_workgroup_id_y 1
		.amdhsa_system_sgpr_workgroup_id_z 1
		.amdhsa_system_sgpr_workgroup_info 0
		.amdhsa_system_vgpr_workitem_id 1
		.amdhsa_next_free_vgpr 74
		.amdhsa_next_free_sgpr 43
		.amdhsa_named_barrier_count 0
		.amdhsa_reserve_vcc 1
		.amdhsa_float_round_mode_32 0
		.amdhsa_float_round_mode_16_64 0
		.amdhsa_float_denorm_mode_32 3
		.amdhsa_float_denorm_mode_16_64 3
		.amdhsa_fp16_overflow 0
		.amdhsa_memory_ordered 1
		.amdhsa_forward_progress 1
		.amdhsa_inst_pref_size 26
		.amdhsa_round_robin_scheduling 0
		.amdhsa_exception_fp_ieee_invalid_op 0
		.amdhsa_exception_fp_denorm_src 0
		.amdhsa_exception_fp_ieee_div_zero 0
		.amdhsa_exception_fp_ieee_overflow 0
		.amdhsa_exception_fp_ieee_underflow 0
		.amdhsa_exception_fp_ieee_inexact 0
		.amdhsa_exception_int_div_zero 0
	.end_amdhsa_kernel
	.section	.text._ZL29rocblas_internal_gemmt_kernelIlLi16ELi32ELi8ELc67ELc84ELc85ELb1ELb0E19rocblas_complex_numIfEPKS1_PKS3_PKPS1_EviT_T9_T10_S9_lSB_S9_lSA_T11_S9_li,"axG",@progbits,_ZL29rocblas_internal_gemmt_kernelIlLi16ELi32ELi8ELc67ELc84ELc85ELb1ELb0E19rocblas_complex_numIfEPKS1_PKS3_PKPS1_EviT_T9_T10_S9_lSB_S9_lSA_T11_S9_li,comdat
.Lfunc_end511:
	.size	_ZL29rocblas_internal_gemmt_kernelIlLi16ELi32ELi8ELc67ELc84ELc85ELb1ELb0E19rocblas_complex_numIfEPKS1_PKS3_PKPS1_EviT_T9_T10_S9_lSB_S9_lSA_T11_S9_li, .Lfunc_end511-_ZL29rocblas_internal_gemmt_kernelIlLi16ELi32ELi8ELc67ELc84ELc85ELb1ELb0E19rocblas_complex_numIfEPKS1_PKS3_PKPS1_EviT_T9_T10_S9_lSB_S9_lSA_T11_S9_li
                                        ; -- End function
	.set _ZL29rocblas_internal_gemmt_kernelIlLi16ELi32ELi8ELc67ELc84ELc85ELb1ELb0E19rocblas_complex_numIfEPKS1_PKS3_PKPS1_EviT_T9_T10_S9_lSB_S9_lSA_T11_S9_li.num_vgpr, 74
	.set _ZL29rocblas_internal_gemmt_kernelIlLi16ELi32ELi8ELc67ELc84ELc85ELb1ELb0E19rocblas_complex_numIfEPKS1_PKS3_PKPS1_EviT_T9_T10_S9_lSB_S9_lSA_T11_S9_li.num_agpr, 0
	.set _ZL29rocblas_internal_gemmt_kernelIlLi16ELi32ELi8ELc67ELc84ELc85ELb1ELb0E19rocblas_complex_numIfEPKS1_PKS3_PKPS1_EviT_T9_T10_S9_lSB_S9_lSA_T11_S9_li.numbered_sgpr, 43
	.set _ZL29rocblas_internal_gemmt_kernelIlLi16ELi32ELi8ELc67ELc84ELc85ELb1ELb0E19rocblas_complex_numIfEPKS1_PKS3_PKPS1_EviT_T9_T10_S9_lSB_S9_lSA_T11_S9_li.num_named_barrier, 0
	.set _ZL29rocblas_internal_gemmt_kernelIlLi16ELi32ELi8ELc67ELc84ELc85ELb1ELb0E19rocblas_complex_numIfEPKS1_PKS3_PKPS1_EviT_T9_T10_S9_lSB_S9_lSA_T11_S9_li.private_seg_size, 0
	.set _ZL29rocblas_internal_gemmt_kernelIlLi16ELi32ELi8ELc67ELc84ELc85ELb1ELb0E19rocblas_complex_numIfEPKS1_PKS3_PKPS1_EviT_T9_T10_S9_lSB_S9_lSA_T11_S9_li.uses_vcc, 1
	.set _ZL29rocblas_internal_gemmt_kernelIlLi16ELi32ELi8ELc67ELc84ELc85ELb1ELb0E19rocblas_complex_numIfEPKS1_PKS3_PKPS1_EviT_T9_T10_S9_lSB_S9_lSA_T11_S9_li.uses_flat_scratch, 0
	.set _ZL29rocblas_internal_gemmt_kernelIlLi16ELi32ELi8ELc67ELc84ELc85ELb1ELb0E19rocblas_complex_numIfEPKS1_PKS3_PKPS1_EviT_T9_T10_S9_lSB_S9_lSA_T11_S9_li.has_dyn_sized_stack, 0
	.set _ZL29rocblas_internal_gemmt_kernelIlLi16ELi32ELi8ELc67ELc84ELc85ELb1ELb0E19rocblas_complex_numIfEPKS1_PKS3_PKPS1_EviT_T9_T10_S9_lSB_S9_lSA_T11_S9_li.has_recursion, 0
	.set _ZL29rocblas_internal_gemmt_kernelIlLi16ELi32ELi8ELc67ELc84ELc85ELb1ELb0E19rocblas_complex_numIfEPKS1_PKS3_PKPS1_EviT_T9_T10_S9_lSB_S9_lSA_T11_S9_li.has_indirect_call, 0
	.section	.AMDGPU.csdata,"",@progbits
; Kernel info:
; codeLenInByte = 3280
; TotalNumSgprs: 45
; NumVgprs: 74
; ScratchSize: 0
; MemoryBound: 0
; FloatMode: 240
; IeeeMode: 1
; LDSByteSize: 4096 bytes/workgroup (compile time only)
; SGPRBlocks: 0
; VGPRBlocks: 4
; NumSGPRsForWavesPerEU: 45
; NumVGPRsForWavesPerEU: 74
; NamedBarCnt: 0
; Occupancy: 12
; WaveLimiterHint : 1
; COMPUTE_PGM_RSRC2:SCRATCH_EN: 0
; COMPUTE_PGM_RSRC2:USER_SGPR: 2
; COMPUTE_PGM_RSRC2:TRAP_HANDLER: 0
; COMPUTE_PGM_RSRC2:TGID_X_EN: 1
; COMPUTE_PGM_RSRC2:TGID_Y_EN: 1
; COMPUTE_PGM_RSRC2:TGID_Z_EN: 1
; COMPUTE_PGM_RSRC2:TIDIG_COMP_CNT: 1
	.section	.text._ZL29rocblas_internal_gemmt_kernelIlLi16ELi32ELi8ELc67ELc67ELc85ELb1ELb1E19rocblas_complex_numIfEPKS1_PKS3_PKPS1_EviT_T9_T10_S9_lSB_S9_lSA_T11_S9_li,"axG",@progbits,_ZL29rocblas_internal_gemmt_kernelIlLi16ELi32ELi8ELc67ELc67ELc85ELb1ELb1E19rocblas_complex_numIfEPKS1_PKS3_PKPS1_EviT_T9_T10_S9_lSB_S9_lSA_T11_S9_li,comdat
	.globl	_ZL29rocblas_internal_gemmt_kernelIlLi16ELi32ELi8ELc67ELc67ELc85ELb1ELb1E19rocblas_complex_numIfEPKS1_PKS3_PKPS1_EviT_T9_T10_S9_lSB_S9_lSA_T11_S9_li ; -- Begin function _ZL29rocblas_internal_gemmt_kernelIlLi16ELi32ELi8ELc67ELc67ELc85ELb1ELb1E19rocblas_complex_numIfEPKS1_PKS3_PKPS1_EviT_T9_T10_S9_lSB_S9_lSA_T11_S9_li
	.p2align	8
	.type	_ZL29rocblas_internal_gemmt_kernelIlLi16ELi32ELi8ELc67ELc67ELc85ELb1ELb1E19rocblas_complex_numIfEPKS1_PKS3_PKPS1_EviT_T9_T10_S9_lSB_S9_lSA_T11_S9_li,@function
_ZL29rocblas_internal_gemmt_kernelIlLi16ELi32ELi8ELc67ELc67ELc85ELb1ELb1E19rocblas_complex_numIfEPKS1_PKS3_PKPS1_EviT_T9_T10_S9_lSB_S9_lSA_T11_S9_li: ; @_ZL29rocblas_internal_gemmt_kernelIlLi16ELi32ELi8ELc67ELc67ELc85ELb1ELb1E19rocblas_complex_numIfEPKS1_PKS3_PKPS1_EviT_T9_T10_S9_lSB_S9_lSA_T11_S9_li
; %bb.0:
	s_load_b256 s[24:31], s[0:1], 0x48
	s_wait_kmcnt 0x0
	s_load_b64 s[6:7], s[24:25], 0x0
	s_load_b512 s[8:23], s[0:1], 0x8
	s_wait_kmcnt 0x0
	s_cmp_neq_f32 s6, 1.0
	s_load_b64 s[24:25], s[10:11], 0x0
	s_cselect_b32 s2, -1, 0
	s_and_b32 s4, s7, 0x7fffffff
	s_delay_alu instid0(SALU_CYCLE_1) | instskip(SKIP_3) | instid1(SALU_CYCLE_1)
	s_cmp_eq_u32 s4, 0
	s_cselect_b32 s3, -1, 0
	s_cmp_lg_u32 s4, 0
	s_cselect_b32 s4, -1, 0
	s_or_b32 s2, s2, s4
	s_delay_alu instid0(SALU_CYCLE_1)
	s_and_b32 vcc_lo, exec_lo, s2
	s_cbranch_vccnz .LBB512_2
; %bb.1:
	s_cmp_lg_u64 s[8:9], 0
	s_cselect_b32 s2, -1, 0
	s_wait_kmcnt 0x0
	s_cmp_neq_f32 s24, 0
	s_cselect_b32 s4, -1, 0
	s_cmp_neq_f32 s25, 0
	s_cselect_b32 s5, -1, 0
	s_delay_alu instid0(SALU_CYCLE_1) | instskip(NEXT) | instid1(SALU_CYCLE_1)
	s_or_b32 s4, s4, s5
	s_and_b32 s2, s2, s4
.LBB512_2:
	s_delay_alu instid0(SALU_CYCLE_1)
	s_and_not1_b32 vcc_lo, exec_lo, s2
	s_cbranch_vccnz .LBB512_40
; %bb.3:
	s_load_b32 s33, s[0:1], 0x68
	s_bfe_u32 s2, ttmp6, 0x40014
	s_lshr_b32 s4, ttmp7, 16
	s_add_co_i32 s2, s2, 1
	s_wait_xcnt 0x0
	s_bfe_u32 s10, ttmp6, 0x40008
	s_mul_i32 s5, s4, s2
	s_getreg_b32 s2, hwreg(HW_REG_IB_STS2, 6, 4)
	s_add_co_i32 s10, s10, s5
	s_cmp_eq_u32 s2, 0
	s_mov_b32 s11, 0
	s_cselect_b32 s10, s4, s10
	s_wait_kmcnt 0x0
	s_cmp_ge_u32 s10, s33
	s_cbranch_scc1 .LBB512_40
; %bb.4:
	v_and_b32_e32 v9, 0x3ff, v0
	v_bfe_u32 v15, v0, 10, 10
	s_load_b32 s4, s[0:1], 0x0
	s_wait_xcnt 0x0
	s_bfe_u32 s0, ttmp6, 0x4000c
	s_bfe_u32 s5, ttmp6, 0x40010
	s_add_co_i32 s0, s0, 1
	s_and_b32 s34, ttmp7, 0xffff
	s_add_co_i32 s5, s5, 1
	v_lshl_add_u32 v1, v15, 4, v9
	s_and_b32 s1, ttmp6, 15
	s_mul_i32 s0, ttmp9, s0
	s_mul_i32 s5, s34, s5
	s_bfe_u32 s35, ttmp6, 0x40004
	s_add_co_i32 s1, s1, s0
	s_add_co_i32 s35, s35, s5
	s_cmp_eq_u32 s2, 0
	v_dual_lshrrev_b32 v3, 3, v1 :: v_dual_bitop2_b32 v5, 31, v1 bitop3:0x40
	s_cselect_b32 s0, ttmp9, s1
	s_cselect_b32 s1, s34, s35
	s_lshl_b32 s2, s0, 5
	s_lshl_b32 s1, s1, 5
	s_delay_alu instid0(SALU_CYCLE_1) | instskip(SKIP_3) | instid1(VALU_DEP_2)
	v_dual_add_nc_u32 v4, s1, v3 :: v_dual_bitop2_b32 v6, s2, v5 bitop3:0x54
	v_add_nc_u32_e32 v16, s1, v15
	s_cmp_neq_f32 s24, 0
	v_dual_lshrrev_b32 v2, 5, v1 :: v_dual_bitop2_b32 v0, 7, v0 bitop3:0x40
	v_dual_ashrrev_i32 v7, 31, v6 :: v_dual_add_nc_u32 v18, 16, v16
	v_ashrrev_i32_e32 v17, 31, v16
	s_cselect_b32 s0, -1, 0
	s_cmp_neq_f32 s25, 0
	v_dual_lshlrev_b32 v1, 3, v0 :: v_dual_lshlrev_b32 v5, 3, v5
	v_ashrrev_i32_e32 v19, 31, v18
	s_cselect_b32 s5, -1, 0
	s_wait_kmcnt 0x0
	v_cmp_le_i32_e64 s34, s4, v6
	s_or_b32 s39, s0, s5
	v_cmp_gt_i32_e64 s0, s4, v6
	v_lshl_or_b32 v3, v3, 6, v1
	v_lshl_or_b32 v1, v2, 8, v5
	v_mul_u64_e32 v[6:7], s[14:15], v[6:7]
	v_ashrrev_i32_e32 v5, 31, v4
	v_mul_u64_e32 v[10:11], s[28:29], v[16:17]
	v_mul_u64_e32 v[12:13], s[28:29], v[18:19]
	v_dual_add_nc_u32 v8, s2, v9 :: v_dual_lshlrev_b32 v27, 3, v9
	s_cmp_neq_f32 s6, 0
	v_cmp_gt_i32_e64 s1, s4, v16
	v_cmp_gt_i64_e64 s40, s[8:9], 0
	s_delay_alu instid0(VALU_DEP_3)
	v_cmp_le_i32_e64 s2, v8, v16
	v_dual_add_nc_u32 v14, 16, v8 :: v_dual_ashrrev_i32 v9, 31, v8
	s_cselect_b32 s5, -1, 0
	s_xor_b32 s3, s3, -1
	v_cmp_gt_i32_e32 vcc_lo, s4, v4
	s_or_b32 s35, s5, s3
	s_and_b32 s36, s1, s2
	v_cmp_le_i32_e64 s2, v14, v16
	v_cmp_gt_i32_e64 s3, s4, v18
	v_cmp_le_i32_e64 s4, v8, v18
	v_cmp_le_i32_e64 s5, v14, v18
	v_add_nc_u32_e32 v3, 0x800, v3
	v_lshl_add_u32 v29, v15, 6, 0x800
	v_dual_ashrrev_i32 v15, 31, v14 :: v_dual_mov_b32 v17, 0
	s_and_b32 s1, s1, s2
	s_and_b32 s37, s3, s4
	;; [unrolled: 1-line block ×3, first 2 shown]
	s_mov_b32 s2, s6
	s_mov_b32 s3, s6
	;; [unrolled: 1-line block ×5, first 2 shown]
	s_and_b32 s39, s39, s40
	s_lshl_b64 s[14:15], s[22:23], 3
	s_lshl_b64 s[16:17], s[16:17], 3
	s_xor_b32 s40, vcc_lo, -1
	s_lshl_b64 s[22:23], s[30:31], 3
                                        ; implicit-def: $vgpr18_vgpr19
	s_branch .LBB512_6
.LBB512_5:                              ;   in Loop: Header=BB512_6 Depth=1
	s_wait_xcnt 0x0
	s_or_b32 exec_lo, exec_lo, s28
	s_add_co_i32 s10, s10, 0x10000
	s_delay_alu instid0(SALU_CYCLE_1)
	s_cmp_lt_u32 s10, s33
	s_cbranch_scc0 .LBB512_40
.LBB512_6:                              ; =>This Loop Header: Depth=1
                                        ;     Child Loop BB512_9 Depth 2
	v_mov_b32_e32 v16, s10
	s_and_not1_b32 vcc_lo, exec_lo, s39
	global_load_b64 v[20:21], v16, s[26:27] scale_offset
	s_cbranch_vccnz .LBB512_19
; %bb.7:                                ;   in Loop: Header=BB512_6 Depth=1
	s_lshl_b64 s[28:29], s[10:11], 3
	v_dual_mov_b32 v26, 0 :: v_dual_mov_b32 v28, 0
	s_add_nc_u64 s[30:31], s[12:13], s[28:29]
	s_add_nc_u64 s[28:29], s[18:19], s[28:29]
	s_clause 0x1
	global_load_b64 v[22:23], v17, s[30:31]
	global_load_b64 v[24:25], v17, s[28:29]
	v_dual_mov_b32 v32, 0 :: v_dual_mov_b32 v30, 0
	v_dual_mov_b32 v36, 0 :: v_dual_mov_b32 v34, 0
	;; [unrolled: 1-line block ×3, first 2 shown]
	s_wait_xcnt 0x0
	s_mov_b64 s[28:29], 0
	s_wait_loadcnt 0x1
	v_add_nc_u64_e32 v[22:23], s[16:17], v[22:23]
	s_wait_loadcnt 0x0
	v_add_nc_u64_e32 v[24:25], s[14:15], v[24:25]
	s_delay_alu instid0(VALU_DEP_2) | instskip(NEXT) | instid1(VALU_DEP_2)
	v_lshl_add_u64 v[22:23], v[6:7], 3, v[22:23]
	v_lshl_add_u64 v[24:25], v[4:5], 3, v[24:25]
	s_branch .LBB512_9
.LBB512_8:                              ;   in Loop: Header=BB512_9 Depth=2
	s_wait_xcnt 0x0
	s_or_b32 exec_lo, exec_lo, s30
	ds_store_b32 v3, v31 offset:4
	s_wait_dscnt 0x0
	s_barrier_signal -1
	s_barrier_wait -1
	ds_load_b128 v[42:45], v29
	ds_load_2addr_b64 v[46:49], v27 offset1:16
	ds_load_b128 v[50:53], v29 offset:1024
	ds_load_b128 v[54:57], v29 offset:16
	;; [unrolled: 1-line block ×4, first 2 shown]
	ds_load_2addr_b64 v[66:69], v27 offset0:32 offset1:48
	ds_load_b128 v[70:73], v29 offset:1040
	s_add_nc_u64 s[28:29], s[28:29], 8
	s_delay_alu instid0(SALU_CYCLE_1)
	v_cmp_gt_i64_e64 s30, s[8:9], s[28:29]
	s_and_b32 vcc_lo, exec_lo, s30
	s_wait_dscnt 0x6
	v_dual_mul_f32 v16, v43, v47 :: v_dual_mul_f32 v31, v42, v47
	v_dual_mul_f32 v33, v43, v49 :: v_dual_mul_f32 v35, v42, v49
	s_wait_dscnt 0x5
	v_dual_mul_f32 v37, v51, v47 :: v_dual_mul_f32 v39, v50, v47
	v_dual_mul_f32 v41, v51, v49 :: v_dual_mul_f32 v47, v50, v49
	v_dual_fma_f32 v16, v42, v46, -v16 :: v_dual_fmac_f32 v31, v43, v46
	v_dual_fma_f32 v33, v42, v48, -v33 :: v_dual_fmac_f32 v35, v43, v48
	s_delay_alu instid0(VALU_DEP_4) | instskip(NEXT) | instid1(VALU_DEP_3)
	v_dual_fma_f32 v37, v50, v46, -v37 :: v_dual_fmac_f32 v39, v51, v46
	v_dual_add_f32 v16, v38, v16 :: v_dual_add_f32 v38, v40, v31
	v_fma_f32 v31, v50, v48, -v41
	s_delay_alu instid0(VALU_DEP_4) | instskip(NEXT) | instid1(VALU_DEP_4)
	v_dual_add_f32 v34, v34, v33 :: v_dual_add_f32 v35, v36, v35
	v_dual_add_f32 v36, v30, v37 :: v_dual_add_f32 v37, v32, v39
	s_wait_dscnt 0x1
	v_dual_mul_f32 v39, v45, v67 :: v_dual_fmac_f32 v47, v51, v48
	v_add_f32_e32 v28, v28, v31
	ds_load_2addr_b64 v[30:33], v27 offset0:64 offset1:80
	v_dual_mul_f32 v40, v44, v67 :: v_dual_fma_f32 v39, v44, v66, -v39
	v_dual_mul_f32 v41, v45, v69 :: v_dual_add_f32 v26, v26, v47
	s_delay_alu instid0(VALU_DEP_2) | instskip(NEXT) | instid1(VALU_DEP_3)
	v_dual_mul_f32 v42, v44, v69 :: v_dual_fmac_f32 v40, v45, v66
	v_add_f32_e32 v16, v16, v39
	s_delay_alu instid0(VALU_DEP_3) | instskip(NEXT) | instid1(VALU_DEP_3)
	v_dual_fma_f32 v39, v44, v68, -v41 :: v_dual_mul_f32 v41, v53, v67
	v_fmac_f32_e32 v42, v45, v68
	s_delay_alu instid0(VALU_DEP_4) | instskip(NEXT) | instid1(VALU_DEP_3)
	v_dual_add_f32 v38, v38, v40 :: v_dual_mul_f32 v40, v52, v67
	v_dual_add_f32 v39, v34, v39 :: v_dual_fma_f32 v34, v52, v66, -v41
	s_delay_alu instid0(VALU_DEP_3) | instskip(NEXT) | instid1(VALU_DEP_3)
	v_dual_mul_f32 v41, v53, v69 :: v_dual_add_f32 v42, v35, v42
	v_dual_fmac_f32 v40, v53, v66 :: v_dual_mul_f32 v43, v52, v69
	s_wait_dscnt 0x0
	s_delay_alu instid0(VALU_DEP_3) | instskip(NEXT) | instid1(VALU_DEP_3)
	v_dual_add_f32 v44, v36, v34 :: v_dual_mul_f32 v35, v55, v31
	v_fma_f32 v34, v52, v68, -v41
	s_delay_alu instid0(VALU_DEP_3) | instskip(SKIP_1) | instid1(VALU_DEP_4)
	v_dual_add_f32 v40, v37, v40 :: v_dual_mul_f32 v41, v54, v31
	v_fmac_f32_e32 v43, v53, v68
	v_fma_f32 v45, v54, v30, -v35
	s_delay_alu instid0(VALU_DEP_4) | instskip(SKIP_4) | instid1(VALU_DEP_3)
	v_dual_add_f32 v28, v28, v34 :: v_dual_mul_f32 v46, v55, v33
	ds_load_2addr_b64 v[34:37], v27 offset0:96 offset1:112
	v_dual_fmac_f32 v41, v55, v30 :: v_dual_add_f32 v26, v26, v43
	v_add_f32_e32 v16, v16, v45
	v_dual_mul_f32 v43, v54, v33 :: v_dual_fma_f32 v45, v54, v32, -v46
	v_dual_add_f32 v38, v38, v41 :: v_dual_mul_f32 v41, v71, v31
	s_delay_alu instid0(VALU_DEP_2) | instskip(NEXT) | instid1(VALU_DEP_3)
	v_dual_mul_f32 v31, v70, v31 :: v_dual_fmac_f32 v43, v55, v32
	v_add_f32_e32 v39, v39, v45
	s_delay_alu instid0(VALU_DEP_3) | instskip(NEXT) | instid1(VALU_DEP_3)
	v_dual_mul_f32 v45, v71, v33 :: v_dual_fma_f32 v41, v70, v30, -v41
	v_dual_fmac_f32 v31, v71, v30 :: v_dual_mul_f32 v46, v70, v33
	s_delay_alu instid0(VALU_DEP_4) | instskip(NEXT) | instid1(VALU_DEP_3)
	v_add_f32_e32 v42, v42, v43
	v_dual_fma_f32 v30, v70, v32, -v45 :: v_dual_add_f32 v43, v44, v41
	s_delay_alu instid0(VALU_DEP_3) | instskip(SKIP_1) | instid1(VALU_DEP_2)
	v_dual_add_f32 v44, v40, v31 :: v_dual_fmac_f32 v46, v71, v32
	s_wait_dscnt 0x0
	v_dual_mul_f32 v40, v57, v35 :: v_dual_add_f32 v28, v28, v30
	ds_load_2addr_b64 v[30:33], v27 offset0:128 offset1:144
	v_dual_mul_f32 v41, v56, v35 :: v_dual_mul_f32 v45, v57, v37
	v_fma_f32 v40, v56, v34, -v40
	v_dual_add_f32 v26, v26, v46 :: v_dual_mul_f32 v46, v56, v37
	s_delay_alu instid0(VALU_DEP_3) | instskip(NEXT) | instid1(VALU_DEP_4)
	v_fmac_f32_e32 v41, v57, v34
	v_fma_f32 v45, v56, v36, -v45
	s_delay_alu instid0(VALU_DEP_4) | instskip(NEXT) | instid1(VALU_DEP_3)
	v_dual_add_f32 v16, v16, v40 :: v_dual_mul_f32 v40, v73, v35
	v_dual_fmac_f32 v46, v57, v36 :: v_dual_add_f32 v47, v38, v41
	s_delay_alu instid0(VALU_DEP_3) | instskip(NEXT) | instid1(VALU_DEP_3)
	v_dual_add_f32 v48, v39, v45 :: v_dual_mul_f32 v35, v72, v35
	v_dual_fma_f32 v45, v72, v34, -v40 :: v_dual_mul_f32 v49, v73, v37
	s_delay_alu instid0(VALU_DEP_3)
	v_add_f32_e32 v46, v42, v46
	ds_load_b128 v[38:41], v29 offset:1056
	v_dual_fmac_f32 v35, v73, v34 :: v_dual_mul_f32 v42, v72, v37
	v_dual_fma_f32 v34, v72, v36, -v49 :: v_dual_add_f32 v49, v43, v45
	s_wait_dscnt 0x1
	v_dual_mul_f32 v37, v59, v31 :: v_dual_mul_f32 v51, v58, v31
	s_delay_alu instid0(VALU_DEP_3) | instskip(NEXT) | instid1(VALU_DEP_3)
	v_dual_fmac_f32 v42, v73, v36 :: v_dual_add_f32 v50, v44, v35
	v_add_f32_e32 v28, v28, v34
	s_delay_alu instid0(VALU_DEP_3) | instskip(NEXT) | instid1(VALU_DEP_3)
	v_dual_fma_f32 v43, v58, v30, -v37 :: v_dual_mul_f32 v44, v59, v33
	v_add_f32_e32 v26, v26, v42
	ds_load_2addr_b64 v[34:37], v27 offset0:160 offset1:176
	v_dual_fmac_f32 v51, v59, v30 :: v_dual_add_f32 v16, v16, v43
	v_dual_fma_f32 v52, v58, v32, -v44 :: v_dual_mul_f32 v53, v58, v33
	ds_load_b128 v[42:45], v29 offset:1072
	v_add_f32_e32 v47, v47, v51
	s_wait_dscnt 0x2
	v_dual_mul_f32 v54, v39, v31 :: v_dual_mul_f32 v31, v38, v31
	v_fmac_f32_e32 v53, v59, v32
	v_dual_add_f32 v48, v48, v52 :: v_dual_mul_f32 v52, v39, v33
	s_delay_alu instid0(VALU_DEP_3) | instskip(NEXT) | instid1(VALU_DEP_3)
	v_dual_fma_f32 v51, v38, v30, -v54 :: v_dual_fmac_f32 v31, v39, v30
	v_add_f32_e32 v46, v46, v53
	s_delay_alu instid0(VALU_DEP_3) | instskip(NEXT) | instid1(VALU_DEP_3)
	v_dual_mul_f32 v53, v38, v33 :: v_dual_fma_f32 v30, v38, v32, -v52
	v_add_f32_e32 v49, v49, v51
	s_delay_alu instid0(VALU_DEP_2)
	v_dual_add_f32 v38, v50, v31 :: v_dual_fmac_f32 v53, v39, v32
	s_wait_dscnt 0x1
	v_dual_mul_f32 v50, v61, v35 :: v_dual_mul_f32 v39, v60, v35
	v_dual_add_f32 v28, v28, v30 :: v_dual_mul_f32 v51, v61, v37
	ds_load_2addr_b64 v[30:33], v27 offset0:192 offset1:208
	v_dual_fma_f32 v50, v60, v34, -v50 :: v_dual_fmac_f32 v39, v61, v34
	v_add_f32_e32 v26, v26, v53
	v_mul_f32_e32 v52, v60, v37
	s_delay_alu instid0(VALU_DEP_3) | instskip(NEXT) | instid1(VALU_DEP_4)
	v_add_f32_e32 v16, v16, v50
	v_dual_fma_f32 v50, v60, v36, -v51 :: v_dual_add_f32 v39, v47, v39
	s_delay_alu instid0(VALU_DEP_3) | instskip(SKIP_1) | instid1(VALU_DEP_3)
	v_fmac_f32_e32 v52, v61, v36
	v_dual_mul_f32 v47, v41, v35 :: v_dual_mul_f32 v35, v40, v35
	v_dual_add_f32 v50, v48, v50 :: v_dual_mul_f32 v48, v41, v37
	s_delay_alu instid0(VALU_DEP_2) | instskip(NEXT) | instid1(VALU_DEP_3)
	v_dual_add_f32 v51, v46, v52 :: v_dual_fma_f32 v47, v40, v34, -v47
	v_dual_fmac_f32 v35, v41, v34 :: v_dual_mul_f32 v34, v40, v37
	s_delay_alu instid0(VALU_DEP_2) | instskip(SKIP_1) | instid1(VALU_DEP_2)
	v_dual_fma_f32 v37, v40, v36, -v48 :: v_dual_add_f32 v40, v49, v47
	s_wait_dscnt 0x0
	v_dual_mul_f32 v46, v63, v31 :: v_dual_fmac_f32 v34, v41, v36
	s_delay_alu instid0(VALU_DEP_2) | instskip(NEXT) | instid1(VALU_DEP_2)
	v_dual_add_f32 v35, v38, v35 :: v_dual_add_f32 v28, v28, v37
	v_dual_mul_f32 v36, v62, v31 :: v_dual_fma_f32 v37, v62, v30, -v46
	ds_load_2addr_b64 v[46:49], v27 offset0:224 offset1:240
	v_dual_add_f32 v26, v26, v34 :: v_dual_mul_f32 v34, v63, v33
	v_dual_fmac_f32 v36, v63, v30 :: v_dual_add_f32 v16, v16, v37
	v_dual_mul_f32 v37, v62, v33 :: v_dual_mul_f32 v38, v43, v31
	s_delay_alu instid0(VALU_DEP_3) | instskip(NEXT) | instid1(VALU_DEP_3)
	v_fma_f32 v34, v62, v32, -v34
	v_dual_mul_f32 v31, v42, v31 :: v_dual_add_f32 v36, v39, v36
	s_delay_alu instid0(VALU_DEP_3) | instskip(NEXT) | instid1(VALU_DEP_3)
	v_dual_fmac_f32 v37, v63, v32 :: v_dual_fma_f32 v38, v42, v30, -v38
	v_add_f32_e32 v34, v50, v34
	s_delay_alu instid0(VALU_DEP_3) | instskip(SKIP_1) | instid1(VALU_DEP_4)
	v_dual_fmac_f32 v31, v43, v30 :: v_dual_mul_f32 v30, v43, v33
	v_mul_f32_e32 v33, v42, v33
	v_dual_add_f32 v37, v51, v37 :: v_dual_add_f32 v39, v40, v38
	s_delay_alu instid0(VALU_DEP_3) | instskip(SKIP_3) | instid1(VALU_DEP_3)
	v_dual_add_f32 v31, v35, v31 :: v_dual_fma_f32 v30, v42, v32, -v30
	s_wait_dscnt 0x0
	v_dual_mul_f32 v35, v65, v47 :: v_dual_mul_f32 v40, v64, v47
	v_dual_fmac_f32 v33, v43, v32 :: v_dual_mul_f32 v32, v65, v49
	v_add_f32_e32 v28, v28, v30
	s_delay_alu instid0(VALU_DEP_3) | instskip(NEXT) | instid1(VALU_DEP_3)
	v_dual_fma_f32 v30, v64, v46, -v35 :: v_dual_fmac_f32 v40, v65, v46
	v_dual_mul_f32 v35, v64, v49 :: v_dual_fma_f32 v32, v64, v48, -v32
	s_delay_alu instid0(VALU_DEP_2) | instskip(NEXT) | instid1(VALU_DEP_3)
	v_dual_add_f32 v26, v26, v33 :: v_dual_add_f32 v38, v16, v30
	v_dual_add_f32 v40, v36, v40 :: v_dual_mul_f32 v16, v45, v47
	s_delay_alu instid0(VALU_DEP_3) | instskip(NEXT) | instid1(VALU_DEP_4)
	v_fmac_f32_e32 v35, v65, v48
	v_dual_add_f32 v34, v34, v32 :: v_dual_mul_f32 v30, v45, v49
	v_dual_mul_f32 v32, v44, v47 :: v_dual_mul_f32 v33, v44, v49
	s_delay_alu instid0(VALU_DEP_3) | instskip(NEXT) | instid1(VALU_DEP_2)
	v_dual_add_f32 v36, v37, v35 :: v_dual_fma_f32 v16, v44, v46, -v16
	v_dual_fma_f32 v35, v44, v48, -v30 :: v_dual_fmac_f32 v32, v45, v46
	s_delay_alu instid0(VALU_DEP_3) | instskip(NEXT) | instid1(VALU_DEP_2)
	v_fmac_f32_e32 v33, v45, v48
	v_dual_add_f32 v30, v39, v16 :: v_dual_add_f32 v28, v28, v35
	s_delay_alu instid0(VALU_DEP_2)
	v_dual_add_f32 v32, v31, v32 :: v_dual_add_f32 v26, v26, v33
	s_barrier_signal -1
	s_barrier_wait -1
	s_cbranch_vccz .LBB512_20
.LBB512_9:                              ;   Parent Loop BB512_6 Depth=1
                                        ; =>  This Inner Loop Header: Depth=2
	s_mov_b32 s30, 0
	s_mov_b32 s41, s34
	s_and_saveexec_b32 s31, s0
	s_cbranch_execnz .LBB512_17
; %bb.10:                               ;   in Loop: Header=BB512_9 Depth=2
	s_or_b32 exec_lo, exec_lo, s31
	s_and_saveexec_b32 s31, s41
	s_delay_alu instid0(SALU_CYCLE_1)
	s_xor_b32 s31, exec_lo, s31
	s_cbranch_execnz .LBB512_18
.LBB512_11:                             ;   in Loop: Header=BB512_9 Depth=2
	s_or_b32 exec_lo, exec_lo, s31
	v_mov_b32_e32 v31, 0
	s_and_saveexec_b32 s31, s30
	s_cbranch_execz .LBB512_13
.LBB512_12:                             ;   in Loop: Header=BB512_9 Depth=2
	v_lshl_add_u64 v[42:43], v[18:19], 3, v[22:23]
	flat_load_b64 v[42:43], v[42:43]
	s_wait_loadcnt_dscnt 0x0
	v_xor_b32_e32 v31, 0x80000000, v43
	ds_store_b32 v1, v42
.LBB512_13:                             ;   in Loop: Header=BB512_9 Depth=2
	s_wait_xcnt 0x0
	s_or_b32 exec_lo, exec_lo, s31
	v_add_nc_u32_e32 v16, s28, v0
	ds_store_b32 v1, v31 offset:4
	v_cmp_le_u64_e32 vcc_lo, s[8:9], v[16:17]
	s_or_b32 s30, vcc_lo, s40
	s_delay_alu instid0(SALU_CYCLE_1) | instskip(NEXT) | instid1(SALU_CYCLE_1)
	s_and_saveexec_b32 s31, s30
	s_xor_b32 s30, exec_lo, s31
; %bb.14:                               ;   in Loop: Header=BB512_9 Depth=2
	ds_store_b32 v3, v17
; %bb.15:                               ;   in Loop: Header=BB512_9 Depth=2
	s_or_saveexec_b32 s30, s30
	v_mov_b32_e32 v31, 0
	s_xor_b32 exec_lo, exec_lo, s30
	s_cbranch_execz .LBB512_8
; %bb.16:                               ;   in Loop: Header=BB512_9 Depth=2
	v_mul_u64_e32 v[42:43], s[20:21], v[16:17]
	s_delay_alu instid0(VALU_DEP_1)
	v_lshl_add_u64 v[42:43], v[42:43], 3, v[24:25]
	flat_load_b64 v[42:43], v[42:43]
	s_wait_loadcnt_dscnt 0x0
	v_xor_b32_e32 v31, 0x80000000, v43
	ds_store_b32 v3, v42
	s_branch .LBB512_8
.LBB512_17:                             ;   in Loop: Header=BB512_9 Depth=2
	v_add_nc_u32_e32 v16, s28, v2
	s_and_not1_b32 s41, s34, exec_lo
	s_mov_b32 s30, exec_lo
	s_delay_alu instid0(VALU_DEP_1) | instskip(SKIP_2) | instid1(SALU_CYCLE_1)
	v_cmp_le_u64_e32 vcc_lo, s[8:9], v[16:17]
	v_mov_b64_e32 v[18:19], v[16:17]
	s_and_b32 s42, vcc_lo, exec_lo
	s_or_b32 s41, s41, s42
	s_or_b32 exec_lo, exec_lo, s31
	s_and_saveexec_b32 s31, s41
	s_delay_alu instid0(SALU_CYCLE_1)
	s_xor_b32 s31, exec_lo, s31
	s_cbranch_execz .LBB512_11
.LBB512_18:                             ;   in Loop: Header=BB512_9 Depth=2
	s_and_not1_b32 s30, s30, exec_lo
	ds_store_b32 v1, v17
	s_or_b32 exec_lo, exec_lo, s31
	v_mov_b32_e32 v31, 0
	s_and_saveexec_b32 s31, s30
	s_cbranch_execnz .LBB512_12
	s_branch .LBB512_13
.LBB512_19:                             ;   in Loop: Header=BB512_6 Depth=1
	v_dual_mov_b32 v38, v17 :: v_dual_mov_b32 v40, v17
	v_dual_mov_b32 v34, v17 :: v_dual_mov_b32 v36, v17
	;; [unrolled: 1-line block ×4, first 2 shown]
.LBB512_20:                             ;   in Loop: Header=BB512_6 Depth=1
	s_wait_loadcnt 0x0
	v_add_nc_u64_e32 v[20:21], s[22:23], v[20:21]
	s_delay_alu instid0(VALU_DEP_1)
	v_lshl_add_u64 v[22:23], v[10:11], 3, v[20:21]
	s_wait_xcnt 0x0
	s_and_saveexec_b32 s28, s36
	s_cbranch_execz .LBB512_25
; %bb.21:                               ;   in Loop: Header=BB512_6 Depth=1
	v_mov_b64_e32 v[24:25], s[4:5]
	v_mov_b64_e32 v[42:43], s[24:25]
	s_and_b32 vcc_lo, exec_lo, s35
	s_mov_b32 s29, -1
	s_delay_alu instid0(VALU_DEP_2) | instskip(NEXT) | instid1(VALU_DEP_1)
	v_pk_mul_f32 v[24:25], v[40:41], v[24:25] op_sel_hi:[0,1]
	v_pk_fma_f32 v[40:41], v[38:39], v[42:43], v[24:25] op_sel_hi:[0,1,1]
	v_pk_fma_f32 v[24:25], v[38:39], v[42:43], v[24:25] neg_lo:[0,0,1] neg_hi:[0,0,1]
	v_lshl_add_u64 v[38:39], v[8:9], 3, v[22:23]
	s_delay_alu instid0(VALU_DEP_3)
	v_mov_b32_e32 v25, v41
	s_cbranch_vccz .LBB512_23
; %bb.22:                               ;   in Loop: Header=BB512_6 Depth=1
	flat_load_b64 v[40:41], v[38:39]
	v_mov_b64_e32 v[42:43], s[6:7]
	v_mov_b64_e32 v[44:45], s[2:3]
	s_mov_b32 s29, 0
	s_wait_loadcnt_dscnt 0x0
	s_delay_alu instid0(VALU_DEP_2) | instskip(NEXT) | instid1(VALU_DEP_1)
	v_pk_mul_f32 v[42:43], v[40:41], v[42:43]
	v_pk_fma_f32 v[46:47], v[40:41], v[44:45], v[42:43] op_sel:[0,0,1] op_sel_hi:[1,1,0]
	v_pk_fma_f32 v[40:41], v[40:41], v[44:45], v[42:43] op_sel:[0,0,1] op_sel_hi:[1,1,0] neg_lo:[0,0,1] neg_hi:[0,0,1]
	s_delay_alu instid0(VALU_DEP_2) | instskip(NEXT) | instid1(VALU_DEP_1)
	v_mov_b32_e32 v41, v47
	v_pk_add_f32 v[40:41], v[24:25], v[40:41]
	flat_store_b64 v[38:39], v[40:41]
.LBB512_23:                             ;   in Loop: Header=BB512_6 Depth=1
	s_and_not1_b32 vcc_lo, exec_lo, s29
	s_cbranch_vccnz .LBB512_25
; %bb.24:                               ;   in Loop: Header=BB512_6 Depth=1
	flat_store_b64 v[38:39], v[24:25]
.LBB512_25:                             ;   in Loop: Header=BB512_6 Depth=1
	s_wait_xcnt 0x0
	s_or_b32 exec_lo, exec_lo, s28
	s_and_saveexec_b32 s28, s1
	s_cbranch_execz .LBB512_30
; %bb.26:                               ;   in Loop: Header=BB512_6 Depth=1
	v_mov_b64_e32 v[24:25], s[4:5]
	v_mov_b64_e32 v[38:39], s[24:25]
	v_lshl_add_u64 v[22:23], v[14:15], 3, v[22:23]
	s_and_not1_b32 vcc_lo, exec_lo, s35
	s_mov_b32 s29, -1
	s_delay_alu instid0(VALU_DEP_3) | instskip(NEXT) | instid1(VALU_DEP_1)
	v_pk_mul_f32 v[24:25], v[36:37], v[24:25] op_sel_hi:[0,1]
	v_pk_fma_f32 v[36:37], v[34:35], v[38:39], v[24:25] op_sel_hi:[0,1,1]
	v_pk_fma_f32 v[24:25], v[34:35], v[38:39], v[24:25] neg_lo:[0,0,1] neg_hi:[0,0,1]
	s_delay_alu instid0(VALU_DEP_2)
	v_mov_b32_e32 v25, v37
	s_cbranch_vccnz .LBB512_28
; %bb.27:                               ;   in Loop: Header=BB512_6 Depth=1
	flat_load_b64 v[34:35], v[22:23]
	v_mov_b64_e32 v[36:37], s[6:7]
	v_mov_b64_e32 v[38:39], s[2:3]
	s_mov_b32 s29, 0
	s_wait_loadcnt_dscnt 0x0
	s_delay_alu instid0(VALU_DEP_2) | instskip(NEXT) | instid1(VALU_DEP_1)
	v_pk_mul_f32 v[36:37], v[34:35], v[36:37]
	v_pk_fma_f32 v[40:41], v[34:35], v[38:39], v[36:37] op_sel:[0,0,1] op_sel_hi:[1,1,0]
	v_pk_fma_f32 v[34:35], v[34:35], v[38:39], v[36:37] op_sel:[0,0,1] op_sel_hi:[1,1,0] neg_lo:[0,0,1] neg_hi:[0,0,1]
	s_delay_alu instid0(VALU_DEP_2) | instskip(NEXT) | instid1(VALU_DEP_1)
	v_mov_b32_e32 v35, v41
	v_pk_add_f32 v[34:35], v[24:25], v[34:35]
	flat_store_b64 v[22:23], v[34:35]
.LBB512_28:                             ;   in Loop: Header=BB512_6 Depth=1
	s_and_not1_b32 vcc_lo, exec_lo, s29
	s_cbranch_vccnz .LBB512_30
; %bb.29:                               ;   in Loop: Header=BB512_6 Depth=1
	flat_store_b64 v[22:23], v[24:25]
.LBB512_30:                             ;   in Loop: Header=BB512_6 Depth=1
	s_wait_xcnt 0x0
	s_or_b32 exec_lo, exec_lo, s28
	v_lshl_add_u64 v[20:21], v[12:13], 3, v[20:21]
	s_and_saveexec_b32 s28, s37
	s_cbranch_execz .LBB512_35
; %bb.31:                               ;   in Loop: Header=BB512_6 Depth=1
	v_mov_b64_e32 v[22:23], s[4:5]
	v_mov_b64_e32 v[24:25], s[24:25]
	s_and_not1_b32 vcc_lo, exec_lo, s35
	s_mov_b32 s29, -1
	s_delay_alu instid0(VALU_DEP_2) | instskip(NEXT) | instid1(VALU_DEP_1)
	v_pk_mul_f32 v[22:23], v[32:33], v[22:23] op_sel_hi:[0,1]
	v_pk_fma_f32 v[32:33], v[30:31], v[24:25], v[22:23] op_sel_hi:[0,1,1]
	v_pk_fma_f32 v[22:23], v[30:31], v[24:25], v[22:23] neg_lo:[0,0,1] neg_hi:[0,0,1]
	v_lshl_add_u64 v[24:25], v[8:9], 3, v[20:21]
	s_delay_alu instid0(VALU_DEP_3)
	v_mov_b32_e32 v23, v33
	s_cbranch_vccnz .LBB512_33
; %bb.32:                               ;   in Loop: Header=BB512_6 Depth=1
	flat_load_b64 v[30:31], v[24:25]
	v_mov_b64_e32 v[32:33], s[6:7]
	v_mov_b64_e32 v[34:35], s[2:3]
	s_mov_b32 s29, 0
	s_wait_loadcnt_dscnt 0x0
	s_delay_alu instid0(VALU_DEP_2) | instskip(NEXT) | instid1(VALU_DEP_1)
	v_pk_mul_f32 v[32:33], v[30:31], v[32:33]
	v_pk_fma_f32 v[36:37], v[30:31], v[34:35], v[32:33] op_sel:[0,0,1] op_sel_hi:[1,1,0]
	v_pk_fma_f32 v[30:31], v[30:31], v[34:35], v[32:33] op_sel:[0,0,1] op_sel_hi:[1,1,0] neg_lo:[0,0,1] neg_hi:[0,0,1]
	s_delay_alu instid0(VALU_DEP_2) | instskip(NEXT) | instid1(VALU_DEP_1)
	v_mov_b32_e32 v31, v37
	v_pk_add_f32 v[30:31], v[22:23], v[30:31]
	flat_store_b64 v[24:25], v[30:31]
.LBB512_33:                             ;   in Loop: Header=BB512_6 Depth=1
	s_and_not1_b32 vcc_lo, exec_lo, s29
	s_cbranch_vccnz .LBB512_35
; %bb.34:                               ;   in Loop: Header=BB512_6 Depth=1
	flat_store_b64 v[24:25], v[22:23]
.LBB512_35:                             ;   in Loop: Header=BB512_6 Depth=1
	s_wait_xcnt 0x0
	s_or_b32 exec_lo, exec_lo, s28
	s_and_saveexec_b32 s28, s38
	s_cbranch_execz .LBB512_5
; %bb.36:                               ;   in Loop: Header=BB512_6 Depth=1
	v_mov_b64_e32 v[22:23], s[4:5]
	v_mov_b64_e32 v[24:25], s[24:25]
	v_lshl_add_u64 v[20:21], v[14:15], 3, v[20:21]
	s_and_not1_b32 vcc_lo, exec_lo, s35
	s_mov_b32 s29, -1
	s_delay_alu instid0(VALU_DEP_3) | instskip(NEXT) | instid1(VALU_DEP_1)
	v_pk_mul_f32 v[22:23], v[26:27], v[22:23] op_sel_hi:[0,1]
	v_pk_fma_f32 v[30:31], v[28:29], v[24:25], v[22:23] op_sel_hi:[0,1,1]
	v_pk_fma_f32 v[22:23], v[28:29], v[24:25], v[22:23] neg_lo:[0,0,1] neg_hi:[0,0,1]
	s_delay_alu instid0(VALU_DEP_2)
	v_mov_b32_e32 v23, v31
	s_cbranch_vccnz .LBB512_38
; %bb.37:                               ;   in Loop: Header=BB512_6 Depth=1
	flat_load_b64 v[24:25], v[20:21]
	v_mov_b64_e32 v[30:31], s[6:7]
	v_mov_b64_e32 v[32:33], s[2:3]
	s_mov_b32 s29, 0
	s_wait_loadcnt_dscnt 0x0
	s_delay_alu instid0(VALU_DEP_2) | instskip(NEXT) | instid1(VALU_DEP_1)
	v_pk_mul_f32 v[30:31], v[24:25], v[30:31]
	v_pk_fma_f32 v[34:35], v[24:25], v[32:33], v[30:31] op_sel:[0,0,1] op_sel_hi:[1,1,0]
	v_pk_fma_f32 v[24:25], v[24:25], v[32:33], v[30:31] op_sel:[0,0,1] op_sel_hi:[1,1,0] neg_lo:[0,0,1] neg_hi:[0,0,1]
	s_delay_alu instid0(VALU_DEP_2) | instskip(NEXT) | instid1(VALU_DEP_1)
	v_mov_b32_e32 v25, v35
	v_pk_add_f32 v[24:25], v[22:23], v[24:25]
	flat_store_b64 v[20:21], v[24:25]
.LBB512_38:                             ;   in Loop: Header=BB512_6 Depth=1
	s_and_not1_b32 vcc_lo, exec_lo, s29
	s_cbranch_vccnz .LBB512_5
; %bb.39:                               ;   in Loop: Header=BB512_6 Depth=1
	flat_store_b64 v[20:21], v[22:23]
	s_branch .LBB512_5
.LBB512_40:
	s_sendmsg sendmsg(MSG_DEALLOC_VGPRS)
	s_endpgm
	.section	.rodata,"a",@progbits
	.p2align	6, 0x0
	.amdhsa_kernel _ZL29rocblas_internal_gemmt_kernelIlLi16ELi32ELi8ELc67ELc67ELc85ELb1ELb1E19rocblas_complex_numIfEPKS1_PKS3_PKPS1_EviT_T9_T10_S9_lSB_S9_lSA_T11_S9_li
		.amdhsa_group_segment_fixed_size 4096
		.amdhsa_private_segment_fixed_size 0
		.amdhsa_kernarg_size 108
		.amdhsa_user_sgpr_count 2
		.amdhsa_user_sgpr_dispatch_ptr 0
		.amdhsa_user_sgpr_queue_ptr 0
		.amdhsa_user_sgpr_kernarg_segment_ptr 1
		.amdhsa_user_sgpr_dispatch_id 0
		.amdhsa_user_sgpr_kernarg_preload_length 0
		.amdhsa_user_sgpr_kernarg_preload_offset 0
		.amdhsa_user_sgpr_private_segment_size 0
		.amdhsa_wavefront_size32 1
		.amdhsa_uses_dynamic_stack 0
		.amdhsa_enable_private_segment 0
		.amdhsa_system_sgpr_workgroup_id_x 1
		.amdhsa_system_sgpr_workgroup_id_y 1
		.amdhsa_system_sgpr_workgroup_id_z 1
		.amdhsa_system_sgpr_workgroup_info 0
		.amdhsa_system_vgpr_workitem_id 1
		.amdhsa_next_free_vgpr 74
		.amdhsa_next_free_sgpr 43
		.amdhsa_named_barrier_count 0
		.amdhsa_reserve_vcc 1
		.amdhsa_float_round_mode_32 0
		.amdhsa_float_round_mode_16_64 0
		.amdhsa_float_denorm_mode_32 3
		.amdhsa_float_denorm_mode_16_64 3
		.amdhsa_fp16_overflow 0
		.amdhsa_memory_ordered 1
		.amdhsa_forward_progress 1
		.amdhsa_inst_pref_size 27
		.amdhsa_round_robin_scheduling 0
		.amdhsa_exception_fp_ieee_invalid_op 0
		.amdhsa_exception_fp_denorm_src 0
		.amdhsa_exception_fp_ieee_div_zero 0
		.amdhsa_exception_fp_ieee_overflow 0
		.amdhsa_exception_fp_ieee_underflow 0
		.amdhsa_exception_fp_ieee_inexact 0
		.amdhsa_exception_int_div_zero 0
	.end_amdhsa_kernel
	.section	.text._ZL29rocblas_internal_gemmt_kernelIlLi16ELi32ELi8ELc67ELc67ELc85ELb1ELb1E19rocblas_complex_numIfEPKS1_PKS3_PKPS1_EviT_T9_T10_S9_lSB_S9_lSA_T11_S9_li,"axG",@progbits,_ZL29rocblas_internal_gemmt_kernelIlLi16ELi32ELi8ELc67ELc67ELc85ELb1ELb1E19rocblas_complex_numIfEPKS1_PKS3_PKPS1_EviT_T9_T10_S9_lSB_S9_lSA_T11_S9_li,comdat
.Lfunc_end512:
	.size	_ZL29rocblas_internal_gemmt_kernelIlLi16ELi32ELi8ELc67ELc67ELc85ELb1ELb1E19rocblas_complex_numIfEPKS1_PKS3_PKPS1_EviT_T9_T10_S9_lSB_S9_lSA_T11_S9_li, .Lfunc_end512-_ZL29rocblas_internal_gemmt_kernelIlLi16ELi32ELi8ELc67ELc67ELc85ELb1ELb1E19rocblas_complex_numIfEPKS1_PKS3_PKPS1_EviT_T9_T10_S9_lSB_S9_lSA_T11_S9_li
                                        ; -- End function
	.set _ZL29rocblas_internal_gemmt_kernelIlLi16ELi32ELi8ELc67ELc67ELc85ELb1ELb1E19rocblas_complex_numIfEPKS1_PKS3_PKPS1_EviT_T9_T10_S9_lSB_S9_lSA_T11_S9_li.num_vgpr, 74
	.set _ZL29rocblas_internal_gemmt_kernelIlLi16ELi32ELi8ELc67ELc67ELc85ELb1ELb1E19rocblas_complex_numIfEPKS1_PKS3_PKPS1_EviT_T9_T10_S9_lSB_S9_lSA_T11_S9_li.num_agpr, 0
	.set _ZL29rocblas_internal_gemmt_kernelIlLi16ELi32ELi8ELc67ELc67ELc85ELb1ELb1E19rocblas_complex_numIfEPKS1_PKS3_PKPS1_EviT_T9_T10_S9_lSB_S9_lSA_T11_S9_li.numbered_sgpr, 43
	.set _ZL29rocblas_internal_gemmt_kernelIlLi16ELi32ELi8ELc67ELc67ELc85ELb1ELb1E19rocblas_complex_numIfEPKS1_PKS3_PKPS1_EviT_T9_T10_S9_lSB_S9_lSA_T11_S9_li.num_named_barrier, 0
	.set _ZL29rocblas_internal_gemmt_kernelIlLi16ELi32ELi8ELc67ELc67ELc85ELb1ELb1E19rocblas_complex_numIfEPKS1_PKS3_PKPS1_EviT_T9_T10_S9_lSB_S9_lSA_T11_S9_li.private_seg_size, 0
	.set _ZL29rocblas_internal_gemmt_kernelIlLi16ELi32ELi8ELc67ELc67ELc85ELb1ELb1E19rocblas_complex_numIfEPKS1_PKS3_PKPS1_EviT_T9_T10_S9_lSB_S9_lSA_T11_S9_li.uses_vcc, 1
	.set _ZL29rocblas_internal_gemmt_kernelIlLi16ELi32ELi8ELc67ELc67ELc85ELb1ELb1E19rocblas_complex_numIfEPKS1_PKS3_PKPS1_EviT_T9_T10_S9_lSB_S9_lSA_T11_S9_li.uses_flat_scratch, 0
	.set _ZL29rocblas_internal_gemmt_kernelIlLi16ELi32ELi8ELc67ELc67ELc85ELb1ELb1E19rocblas_complex_numIfEPKS1_PKS3_PKPS1_EviT_T9_T10_S9_lSB_S9_lSA_T11_S9_li.has_dyn_sized_stack, 0
	.set _ZL29rocblas_internal_gemmt_kernelIlLi16ELi32ELi8ELc67ELc67ELc85ELb1ELb1E19rocblas_complex_numIfEPKS1_PKS3_PKPS1_EviT_T9_T10_S9_lSB_S9_lSA_T11_S9_li.has_recursion, 0
	.set _ZL29rocblas_internal_gemmt_kernelIlLi16ELi32ELi8ELc67ELc67ELc85ELb1ELb1E19rocblas_complex_numIfEPKS1_PKS3_PKPS1_EviT_T9_T10_S9_lSB_S9_lSA_T11_S9_li.has_indirect_call, 0
	.section	.AMDGPU.csdata,"",@progbits
; Kernel info:
; codeLenInByte = 3360
; TotalNumSgprs: 45
; NumVgprs: 74
; ScratchSize: 0
; MemoryBound: 0
; FloatMode: 240
; IeeeMode: 1
; LDSByteSize: 4096 bytes/workgroup (compile time only)
; SGPRBlocks: 0
; VGPRBlocks: 4
; NumSGPRsForWavesPerEU: 45
; NumVGPRsForWavesPerEU: 74
; NamedBarCnt: 0
; Occupancy: 12
; WaveLimiterHint : 1
; COMPUTE_PGM_RSRC2:SCRATCH_EN: 0
; COMPUTE_PGM_RSRC2:USER_SGPR: 2
; COMPUTE_PGM_RSRC2:TRAP_HANDLER: 0
; COMPUTE_PGM_RSRC2:TGID_X_EN: 1
; COMPUTE_PGM_RSRC2:TGID_Y_EN: 1
; COMPUTE_PGM_RSRC2:TGID_Z_EN: 1
; COMPUTE_PGM_RSRC2:TIDIG_COMP_CNT: 1
	.section	.text._ZL29rocblas_internal_gemmt_kernelIlLi16ELi32ELi8ELc78ELc78ELc76ELb0ELb0E19rocblas_complex_numIfEPKS1_PKS3_PKPS1_EviT_T9_T10_S9_lSB_S9_lSA_T11_S9_li,"axG",@progbits,_ZL29rocblas_internal_gemmt_kernelIlLi16ELi32ELi8ELc78ELc78ELc76ELb0ELb0E19rocblas_complex_numIfEPKS1_PKS3_PKPS1_EviT_T9_T10_S9_lSB_S9_lSA_T11_S9_li,comdat
	.globl	_ZL29rocblas_internal_gemmt_kernelIlLi16ELi32ELi8ELc78ELc78ELc76ELb0ELb0E19rocblas_complex_numIfEPKS1_PKS3_PKPS1_EviT_T9_T10_S9_lSB_S9_lSA_T11_S9_li ; -- Begin function _ZL29rocblas_internal_gemmt_kernelIlLi16ELi32ELi8ELc78ELc78ELc76ELb0ELb0E19rocblas_complex_numIfEPKS1_PKS3_PKPS1_EviT_T9_T10_S9_lSB_S9_lSA_T11_S9_li
	.p2align	8
	.type	_ZL29rocblas_internal_gemmt_kernelIlLi16ELi32ELi8ELc78ELc78ELc76ELb0ELb0E19rocblas_complex_numIfEPKS1_PKS3_PKPS1_EviT_T9_T10_S9_lSB_S9_lSA_T11_S9_li,@function
_ZL29rocblas_internal_gemmt_kernelIlLi16ELi32ELi8ELc78ELc78ELc76ELb0ELb0E19rocblas_complex_numIfEPKS1_PKS3_PKPS1_EviT_T9_T10_S9_lSB_S9_lSA_T11_S9_li: ; @_ZL29rocblas_internal_gemmt_kernelIlLi16ELi32ELi8ELc78ELc78ELc76ELb0ELb0E19rocblas_complex_numIfEPKS1_PKS3_PKPS1_EviT_T9_T10_S9_lSB_S9_lSA_T11_S9_li
; %bb.0:
	s_load_b256 s[24:31], s[0:1], 0x48
	s_wait_kmcnt 0x0
	s_load_b64 s[6:7], s[24:25], 0x0
	s_load_b512 s[8:23], s[0:1], 0x8
	s_wait_kmcnt 0x0
	s_cmp_neq_f32 s6, 1.0
	s_load_b64 s[24:25], s[10:11], 0x0
	s_cselect_b32 s3, -1, 0
	s_and_b32 s4, s7, 0x7fffffff
	s_delay_alu instid0(SALU_CYCLE_1) | instskip(SKIP_3) | instid1(SALU_CYCLE_1)
	s_cmp_eq_u32 s4, 0
	s_cselect_b32 s2, -1, 0
	s_cmp_lg_u32 s4, 0
	s_cselect_b32 s4, -1, 0
	s_or_b32 s3, s3, s4
	s_delay_alu instid0(SALU_CYCLE_1)
	s_and_b32 vcc_lo, exec_lo, s3
	s_cbranch_vccnz .LBB513_2
; %bb.1:
	s_cmp_lg_u64 s[8:9], 0
	s_cselect_b32 s3, -1, 0
	s_wait_kmcnt 0x0
	s_cmp_neq_f32 s24, 0
	s_cselect_b32 s4, -1, 0
	s_cmp_neq_f32 s25, 0
	s_cselect_b32 s5, -1, 0
	s_delay_alu instid0(SALU_CYCLE_1) | instskip(NEXT) | instid1(SALU_CYCLE_1)
	s_or_b32 s4, s4, s5
	s_and_b32 s3, s3, s4
.LBB513_2:
	s_delay_alu instid0(SALU_CYCLE_1)
	s_and_not1_b32 vcc_lo, exec_lo, s3
	s_cbranch_vccnz .LBB513_35
; %bb.3:
	s_load_b32 s33, s[0:1], 0x68
	s_bfe_u32 s3, ttmp6, 0x40014
	s_lshr_b32 s4, ttmp7, 16
	s_add_co_i32 s3, s3, 1
	s_wait_xcnt 0x0
	s_bfe_u32 s10, ttmp6, 0x40008
	s_mul_i32 s5, s4, s3
	s_getreg_b32 s3, hwreg(HW_REG_IB_STS2, 6, 4)
	s_add_co_i32 s10, s10, s5
	s_cmp_eq_u32 s3, 0
	s_mov_b32 s11, 0
	s_cselect_b32 s10, s4, s10
	s_wait_kmcnt 0x0
	s_cmp_ge_u32 s10, s33
	s_cbranch_scc1 .LBB513_35
; %bb.4:
	v_and_b32_e32 v9, 0x3ff, v0
	v_bfe_u32 v15, v0, 10, 10
	s_load_b32 s4, s[0:1], 0x0
	s_wait_xcnt 0x0
	s_bfe_u32 s0, ttmp6, 0x4000c
	s_bfe_u32 s5, ttmp6, 0x40010
	s_add_co_i32 s0, s0, 1
	s_and_b32 s34, ttmp7, 0xffff
	s_add_co_i32 s5, s5, 1
	v_lshl_add_u32 v1, v15, 4, v9
	s_and_b32 s1, ttmp6, 15
	s_mul_i32 s0, ttmp9, s0
	s_mul_i32 s5, s34, s5
	s_bfe_u32 s35, ttmp6, 0x40004
	s_add_co_i32 s1, s1, s0
	s_add_co_i32 s35, s35, s5
	s_cmp_eq_u32 s3, 0
	v_dual_lshrrev_b32 v2, 5, v1 :: v_dual_bitop2_b32 v3, 31, v1 bitop3:0x40
	v_dual_lshrrev_b32 v8, 3, v1 :: v_dual_bitop2_b32 v0, 7, v0 bitop3:0x40
	s_cselect_b32 s0, ttmp9, s1
	s_cselect_b32 s1, s34, s35
	s_lshl_b32 s3, s0, 5
	s_lshl_b32 s0, s1, 5
	s_delay_alu instid0(SALU_CYCLE_1) | instskip(SKIP_3) | instid1(VALU_DEP_3)
	v_dual_add_nc_u32 v6, s0, v8 :: v_dual_bitop2_b32 v4, s3, v3 bitop3:0x54
	v_add_nc_u32_e32 v16, s0, v15
	s_cmp_neq_f32 s24, 0
	v_dual_lshlrev_b32 v1, 3, v3 :: v_dual_lshlrev_b32 v3, 3, v0
	v_ashrrev_i32_e32 v5, 31, v4
	s_delay_alu instid0(VALU_DEP_3) | instskip(SKIP_2) | instid1(VALU_DEP_1)
	v_dual_add_nc_u32 v18, 16, v16 :: v_dual_ashrrev_i32 v7, 31, v6
	s_cselect_b32 s1, -1, 0
	s_cmp_neq_f32 s25, 0
	v_dual_ashrrev_i32 v17, 31, v16 :: v_dual_ashrrev_i32 v19, 31, v18
	v_lshl_or_b32 v3, v8, 6, v3
	s_cselect_b32 s5, -1, 0
	v_dual_add_nc_u32 v8, s3, v9 :: v_dual_lshlrev_b32 v25, 3, v9
	s_or_b32 s39, s1, s5
	s_wait_kmcnt 0x0
	v_cmp_gt_i32_e64 s1, s4, v6
	v_mul_u64_e32 v[6:7], s[20:21], v[6:7]
	v_mul_u64_e32 v[10:11], s[28:29], v[16:17]
	;; [unrolled: 1-line block ×3, first 2 shown]
	s_cmp_neq_f32 s6, 0
	v_dual_add_nc_u32 v14, 16, v8 :: v_dual_ashrrev_i32 v9, 31, v8
	v_cmp_le_i32_e32 vcc_lo, v16, v8
	s_cselect_b32 s3, -1, 0
	s_xor_b32 s5, s2, -1
	v_cmp_gt_i32_e64 s2, s4, v8
	v_cmp_gt_i64_e64 s40, s[8:9], 0
	v_cmp_gt_i32_e64 s0, s4, v4
	s_or_b32 s34, s3, s5
	v_cmp_le_i32_e64 s3, v16, v14
	v_cmp_gt_i32_e64 s4, s4, v14
	s_and_b32 s35, vcc_lo, s2
	v_cmp_le_i32_e32 vcc_lo, v18, v8
	v_cmp_le_i32_e64 s5, v18, v14
	v_lshl_or_b32 v1, v2, 8, v1
	v_add_nc_u32_e32 v3, 0x800, v3
	v_lshl_add_u32 v27, v15, 6, 0x800
	v_dual_ashrrev_i32 v15, 31, v14 :: v_dual_mov_b32 v17, 0
	s_and_b32 s36, s3, s4
	s_and_b32 s37, vcc_lo, s2
	s_and_b32 s38, s5, s4
	s_mov_b32 s2, s6
	s_mov_b32 s3, s6
	;; [unrolled: 1-line block ×5, first 2 shown]
	s_and_b32 s39, s39, s40
	s_lshl_b64 s[20:21], s[22:23], 3
	s_lshl_b64 s[16:17], s[16:17], 3
	;; [unrolled: 1-line block ×3, first 2 shown]
	s_branch .LBB513_6
.LBB513_5:                              ;   in Loop: Header=BB513_6 Depth=1
	s_wait_xcnt 0x0
	s_or_b32 exec_lo, exec_lo, s28
	s_add_co_i32 s10, s10, 0x10000
	s_delay_alu instid0(SALU_CYCLE_1)
	s_cmp_lt_u32 s10, s33
	s_cbranch_scc0 .LBB513_35
.LBB513_6:                              ; =>This Loop Header: Depth=1
                                        ;     Child Loop BB513_9 Depth 2
	v_dual_mov_b32 v16, s10 :: v_dual_mov_b32 v36, v17
	v_dual_mov_b32 v38, v17 :: v_dual_mov_b32 v32, v17
	;; [unrolled: 1-line block ×3, first 2 shown]
	global_load_b64 v[18:19], v16, s[26:27] scale_offset
	v_dual_mov_b32 v30, v17 :: v_dual_mov_b32 v24, v17
	v_mov_b32_e32 v26, v17
	s_and_not1_b32 vcc_lo, exec_lo, s39
	s_cbranch_vccnz .LBB513_15
; %bb.7:                                ;   in Loop: Header=BB513_6 Depth=1
	s_lshl_b64 s[28:29], s[10:11], 3
	v_dual_mov_b32 v26, 0 :: v_dual_mov_b32 v24, 0
	s_add_nc_u64 s[30:31], s[12:13], s[28:29]
	s_add_nc_u64 s[28:29], s[18:19], s[28:29]
	s_clause 0x1
	global_load_b64 v[20:21], v17, s[30:31]
	global_load_b64 v[22:23], v17, s[28:29]
	v_dual_mov_b32 v30, 0 :: v_dual_mov_b32 v28, 0
	v_dual_mov_b32 v34, 0 :: v_dual_mov_b32 v32, 0
	;; [unrolled: 1-line block ×3, first 2 shown]
	s_wait_xcnt 0x0
	s_mov_b64 s[28:29], 0
	s_wait_loadcnt 0x1
	v_add_nc_u64_e32 v[20:21], s[16:17], v[20:21]
	s_wait_loadcnt 0x0
	v_add_nc_u64_e32 v[22:23], s[20:21], v[22:23]
	s_delay_alu instid0(VALU_DEP_2) | instskip(NEXT) | instid1(VALU_DEP_2)
	v_lshl_add_u64 v[20:21], v[4:5], 3, v[20:21]
	v_lshl_add_u64 v[22:23], v[6:7], 3, v[22:23]
	s_branch .LBB513_9
.LBB513_8:                              ;   in Loop: Header=BB513_9 Depth=2
	s_wait_xcnt 0x0
	s_or_b32 exec_lo, exec_lo, s30
	s_wait_loadcnt_dscnt 0x0
	ds_store_b64 v3, v[42:43]
	s_wait_dscnt 0x0
	s_barrier_signal -1
	s_barrier_wait -1
	ds_load_b128 v[40:43], v27
	ds_load_2addr_b64 v[44:47], v25 offset1:16
	ds_load_b128 v[48:51], v27 offset:1024
	ds_load_b128 v[52:55], v27 offset:16
	;; [unrolled: 1-line block ×4, first 2 shown]
	ds_load_2addr_b64 v[64:67], v25 offset0:32 offset1:48
	ds_load_b128 v[68:71], v27 offset:1040
	s_add_nc_u64 s[28:29], s[28:29], 8
	s_delay_alu instid0(SALU_CYCLE_1)
	v_cmp_gt_i64_e64 s30, s[8:9], s[28:29]
	s_and_b32 vcc_lo, exec_lo, s30
	s_wait_dscnt 0x6
	v_dual_mul_f32 v16, v41, v45 :: v_dual_mul_f32 v29, v40, v45
	v_dual_mul_f32 v31, v41, v47 :: v_dual_mul_f32 v33, v40, v47
	s_wait_dscnt 0x5
	v_dual_mul_f32 v35, v49, v45 :: v_dual_mul_f32 v37, v48, v45
	v_dual_mul_f32 v39, v49, v47 :: v_dual_mul_f32 v45, v48, v47
	v_dual_fma_f32 v16, v40, v44, -v16 :: v_dual_fmac_f32 v29, v41, v44
	v_dual_fma_f32 v31, v40, v46, -v31 :: v_dual_fmac_f32 v33, v41, v46
	s_delay_alu instid0(VALU_DEP_4) | instskip(NEXT) | instid1(VALU_DEP_3)
	v_dual_fma_f32 v35, v48, v44, -v35 :: v_dual_fmac_f32 v37, v49, v44
	v_dual_add_f32 v16, v36, v16 :: v_dual_add_f32 v36, v38, v29
	v_fma_f32 v29, v48, v46, -v39
	s_delay_alu instid0(VALU_DEP_4) | instskip(NEXT) | instid1(VALU_DEP_4)
	v_dual_add_f32 v32, v32, v31 :: v_dual_add_f32 v33, v34, v33
	v_dual_add_f32 v34, v28, v35 :: v_dual_add_f32 v35, v30, v37
	s_wait_dscnt 0x1
	v_dual_mul_f32 v37, v43, v65 :: v_dual_fmac_f32 v45, v49, v46
	v_add_f32_e32 v24, v24, v29
	ds_load_2addr_b64 v[28:31], v25 offset0:64 offset1:80
	v_dual_mul_f32 v38, v42, v65 :: v_dual_fma_f32 v37, v42, v64, -v37
	v_dual_mul_f32 v39, v43, v67 :: v_dual_add_f32 v26, v26, v45
	s_delay_alu instid0(VALU_DEP_2) | instskip(NEXT) | instid1(VALU_DEP_2)
	v_dual_mul_f32 v40, v42, v67 :: v_dual_fmac_f32 v38, v43, v64
	v_dual_add_f32 v16, v16, v37 :: v_dual_fma_f32 v37, v42, v66, -v39
	v_mul_f32_e32 v39, v51, v65
	s_delay_alu instid0(VALU_DEP_3) | instskip(NEXT) | instid1(VALU_DEP_4)
	v_fmac_f32_e32 v40, v43, v66
	v_dual_add_f32 v36, v36, v38 :: v_dual_mul_f32 v38, v50, v65
	s_delay_alu instid0(VALU_DEP_3) | instskip(NEXT) | instid1(VALU_DEP_3)
	v_dual_add_f32 v37, v32, v37 :: v_dual_fma_f32 v32, v50, v64, -v39
	v_dual_mul_f32 v39, v51, v67 :: v_dual_add_f32 v40, v33, v40
	s_delay_alu instid0(VALU_DEP_3) | instskip(SKIP_1) | instid1(VALU_DEP_3)
	v_dual_fmac_f32 v38, v51, v64 :: v_dual_mul_f32 v41, v50, v67
	s_wait_dscnt 0x0
	v_dual_add_f32 v42, v34, v32 :: v_dual_mul_f32 v33, v53, v29
	s_delay_alu instid0(VALU_DEP_3) | instskip(NEXT) | instid1(VALU_DEP_3)
	v_fma_f32 v32, v50, v66, -v39
	v_dual_add_f32 v38, v35, v38 :: v_dual_mul_f32 v39, v52, v29
	v_fmac_f32_e32 v41, v51, v66
	s_delay_alu instid0(VALU_DEP_4) | instskip(NEXT) | instid1(VALU_DEP_4)
	v_fma_f32 v43, v52, v28, -v33
	v_dual_add_f32 v24, v24, v32 :: v_dual_mul_f32 v44, v53, v31
	ds_load_2addr_b64 v[32:35], v25 offset0:96 offset1:112
	v_dual_fmac_f32 v39, v53, v28 :: v_dual_add_f32 v26, v26, v41
	v_add_f32_e32 v16, v16, v43
	v_dual_mul_f32 v41, v52, v31 :: v_dual_fma_f32 v43, v52, v30, -v44
	s_delay_alu instid0(VALU_DEP_3) | instskip(NEXT) | instid1(VALU_DEP_2)
	v_dual_add_f32 v36, v36, v39 :: v_dual_mul_f32 v39, v69, v29
	v_dual_mul_f32 v29, v68, v29 :: v_dual_fmac_f32 v41, v53, v30
	s_delay_alu instid0(VALU_DEP_3) | instskip(NEXT) | instid1(VALU_DEP_3)
	v_add_f32_e32 v37, v37, v43
	v_dual_mul_f32 v43, v69, v31 :: v_dual_fma_f32 v39, v68, v28, -v39
	s_delay_alu instid0(VALU_DEP_3) | instskip(NEXT) | instid1(VALU_DEP_4)
	v_dual_fmac_f32 v29, v69, v28 :: v_dual_mul_f32 v44, v68, v31
	v_add_f32_e32 v40, v40, v41
	s_delay_alu instid0(VALU_DEP_3) | instskip(NEXT) | instid1(VALU_DEP_3)
	v_dual_fma_f32 v28, v68, v30, -v43 :: v_dual_add_f32 v41, v42, v39
	v_dual_add_f32 v42, v38, v29 :: v_dual_fmac_f32 v44, v69, v30
	s_wait_dscnt 0x0
	s_delay_alu instid0(VALU_DEP_2) | instskip(SKIP_2) | instid1(VALU_DEP_1)
	v_dual_mul_f32 v38, v55, v33 :: v_dual_add_f32 v24, v24, v28
	ds_load_2addr_b64 v[28:31], v25 offset0:128 offset1:144
	v_dual_mul_f32 v39, v54, v33 :: v_dual_mul_f32 v43, v55, v35
	v_dual_fma_f32 v38, v54, v32, -v38 :: v_dual_fmac_f32 v39, v55, v32
	s_delay_alu instid0(VALU_DEP_1) | instskip(NEXT) | instid1(VALU_DEP_3)
	v_dual_add_f32 v26, v26, v44 :: v_dual_add_f32 v16, v16, v38
	v_dual_mul_f32 v44, v54, v35 :: v_dual_fma_f32 v43, v54, v34, -v43
	s_delay_alu instid0(VALU_DEP_3) | instskip(NEXT) | instid1(VALU_DEP_2)
	v_dual_mul_f32 v38, v71, v33 :: v_dual_add_f32 v45, v36, v39
	v_dual_mul_f32 v33, v70, v33 :: v_dual_fmac_f32 v44, v55, v34
	s_delay_alu instid0(VALU_DEP_2)
	v_dual_add_f32 v46, v37, v43 :: v_dual_fma_f32 v43, v70, v32, -v38
	v_mul_f32_e32 v47, v71, v35
	ds_load_b128 v[36:39], v27 offset:1056
	v_add_f32_e32 v44, v40, v44
	v_dual_fmac_f32 v33, v71, v32 :: v_dual_mul_f32 v40, v70, v35
	v_dual_fma_f32 v32, v70, v34, -v47 :: v_dual_add_f32 v47, v41, v43
	s_wait_dscnt 0x1
	v_mul_f32_e32 v35, v57, v29
	s_delay_alu instid0(VALU_DEP_3) | instskip(NEXT) | instid1(VALU_DEP_3)
	v_dual_add_f32 v48, v42, v33 :: v_dual_fmac_f32 v40, v71, v34
	v_add_f32_e32 v24, v24, v32
	s_delay_alu instid0(VALU_DEP_3) | instskip(NEXT) | instid1(VALU_DEP_3)
	v_dual_mul_f32 v49, v56, v29 :: v_dual_fma_f32 v41, v56, v28, -v35
	v_dual_mul_f32 v42, v57, v31 :: v_dual_add_f32 v26, v26, v40
	ds_load_2addr_b64 v[32:35], v25 offset0:160 offset1:176
	v_dual_fmac_f32 v49, v57, v28 :: v_dual_add_f32 v16, v16, v41
	v_dual_fma_f32 v50, v56, v30, -v42 :: v_dual_mul_f32 v51, v56, v31
	ds_load_b128 v[40:43], v27 offset:1072
	s_wait_dscnt 0x2
	v_dual_mul_f32 v52, v37, v29 :: v_dual_mul_f32 v29, v36, v29
	v_dual_add_f32 v45, v45, v49 :: v_dual_add_f32 v46, v46, v50
	s_delay_alu instid0(VALU_DEP_2) | instskip(NEXT) | instid1(VALU_DEP_3)
	v_dual_fmac_f32 v51, v57, v30 :: v_dual_fma_f32 v49, v36, v28, -v52
	v_dual_mul_f32 v50, v37, v31 :: v_dual_fmac_f32 v29, v37, v28
	s_delay_alu instid0(VALU_DEP_2) | instskip(NEXT) | instid1(VALU_DEP_2)
	v_dual_add_f32 v44, v44, v51 :: v_dual_add_f32 v47, v47, v49
	v_dual_mul_f32 v51, v36, v31 :: v_dual_fma_f32 v28, v36, v30, -v50
	s_delay_alu instid0(VALU_DEP_3) | instskip(SKIP_2) | instid1(VALU_DEP_3)
	v_add_f32_e32 v36, v48, v29
	s_wait_dscnt 0x1
	v_dual_mul_f32 v48, v59, v33 :: v_dual_mul_f32 v49, v59, v35
	v_dual_fmac_f32 v51, v37, v30 :: v_dual_add_f32 v24, v24, v28
	ds_load_2addr_b64 v[28:31], v25 offset0:192 offset1:208
	v_dual_mul_f32 v37, v58, v33 :: v_dual_fma_f32 v48, v58, v32, -v48
	s_delay_alu instid0(VALU_DEP_1) | instskip(NEXT) | instid1(VALU_DEP_2)
	v_dual_mul_f32 v50, v58, v35 :: v_dual_fmac_f32 v37, v59, v32
	v_dual_add_f32 v26, v26, v51 :: v_dual_add_f32 v16, v16, v48
	s_delay_alu instid0(VALU_DEP_2) | instskip(NEXT) | instid1(VALU_DEP_3)
	v_dual_fma_f32 v48, v58, v34, -v49 :: v_dual_fmac_f32 v50, v59, v34
	v_add_f32_e32 v37, v45, v37
	v_dual_mul_f32 v45, v39, v33 :: v_dual_mul_f32 v33, v38, v33
	s_delay_alu instid0(VALU_DEP_3) | instskip(NEXT) | instid1(VALU_DEP_2)
	v_dual_add_f32 v48, v46, v48 :: v_dual_mul_f32 v46, v39, v35
	v_dual_add_f32 v49, v44, v50 :: v_dual_fma_f32 v45, v38, v32, -v45
	s_delay_alu instid0(VALU_DEP_3) | instskip(SKIP_1) | instid1(VALU_DEP_3)
	v_dual_fmac_f32 v33, v39, v32 :: v_dual_mul_f32 v32, v38, v35
	s_wait_dscnt 0x0
	v_dual_fma_f32 v35, v38, v34, -v46 :: v_dual_mul_f32 v44, v61, v29
	s_delay_alu instid0(VALU_DEP_3) | instskip(NEXT) | instid1(VALU_DEP_3)
	v_add_f32_e32 v38, v47, v45
	v_dual_fmac_f32 v32, v39, v34 :: v_dual_mul_f32 v34, v60, v29
	s_delay_alu instid0(VALU_DEP_3) | instskip(NEXT) | instid1(VALU_DEP_4)
	v_add_f32_e32 v24, v24, v35
	v_fma_f32 v35, v60, v28, -v44
	ds_load_2addr_b64 v[44:47], v25 offset0:224 offset1:240
	v_dual_add_f32 v33, v36, v33 :: v_dual_add_f32 v26, v26, v32
	v_dual_mul_f32 v32, v61, v31 :: v_dual_fmac_f32 v34, v61, v28
	v_dual_add_f32 v16, v16, v35 :: v_dual_mul_f32 v36, v41, v29
	s_delay_alu instid0(VALU_DEP_2) | instskip(NEXT) | instid1(VALU_DEP_3)
	v_dual_mul_f32 v35, v60, v31 :: v_dual_fma_f32 v32, v60, v30, -v32
	v_dual_mul_f32 v29, v40, v29 :: v_dual_add_f32 v34, v37, v34
	s_delay_alu instid0(VALU_DEP_2) | instskip(NEXT) | instid1(VALU_DEP_3)
	v_dual_fma_f32 v36, v40, v28, -v36 :: v_dual_fmac_f32 v35, v61, v30
	v_add_f32_e32 v32, v48, v32
	s_delay_alu instid0(VALU_DEP_3) | instskip(SKIP_1) | instid1(VALU_DEP_4)
	v_dual_fmac_f32 v29, v41, v28 :: v_dual_mul_f32 v28, v41, v31
	v_mul_f32_e32 v31, v40, v31
	v_dual_add_f32 v35, v49, v35 :: v_dual_add_f32 v37, v38, v36
	s_delay_alu instid0(VALU_DEP_3) | instskip(SKIP_3) | instid1(VALU_DEP_3)
	v_dual_add_f32 v29, v33, v29 :: v_dual_fma_f32 v28, v40, v30, -v28
	s_wait_dscnt 0x0
	v_dual_mul_f32 v33, v63, v45 :: v_dual_mul_f32 v38, v62, v45
	v_dual_fmac_f32 v31, v41, v30 :: v_dual_mul_f32 v30, v63, v47
	v_add_f32_e32 v24, v24, v28
	s_delay_alu instid0(VALU_DEP_3) | instskip(NEXT) | instid1(VALU_DEP_3)
	v_dual_fma_f32 v28, v62, v44, -v33 :: v_dual_fmac_f32 v38, v63, v44
	v_dual_mul_f32 v33, v62, v47 :: v_dual_fma_f32 v30, v62, v46, -v30
	s_delay_alu instid0(VALU_DEP_2) | instskip(NEXT) | instid1(VALU_DEP_3)
	v_dual_add_f32 v26, v26, v31 :: v_dual_add_f32 v36, v16, v28
	v_dual_add_f32 v38, v34, v38 :: v_dual_mul_f32 v16, v43, v45
	s_delay_alu instid0(VALU_DEP_3) | instskip(NEXT) | instid1(VALU_DEP_4)
	v_fmac_f32_e32 v33, v63, v46
	v_dual_add_f32 v32, v32, v30 :: v_dual_mul_f32 v28, v43, v47
	v_dual_mul_f32 v30, v42, v45 :: v_dual_mul_f32 v31, v42, v47
	s_delay_alu instid0(VALU_DEP_3) | instskip(NEXT) | instid1(VALU_DEP_2)
	v_dual_add_f32 v34, v35, v33 :: v_dual_fma_f32 v16, v42, v44, -v16
	v_dual_fma_f32 v33, v42, v46, -v28 :: v_dual_fmac_f32 v30, v43, v44
	s_delay_alu instid0(VALU_DEP_3) | instskip(NEXT) | instid1(VALU_DEP_2)
	v_fmac_f32_e32 v31, v43, v46
	v_dual_add_f32 v28, v37, v16 :: v_dual_add_f32 v24, v24, v33
	s_delay_alu instid0(VALU_DEP_2)
	v_dual_add_f32 v30, v29, v30 :: v_dual_add_f32 v26, v26, v31
	s_barrier_signal -1
	s_barrier_wait -1
	s_cbranch_vccz .LBB513_15
.LBB513_9:                              ;   Parent Loop BB513_6 Depth=1
                                        ; =>  This Inner Loop Header: Depth=2
	v_dual_mov_b32 v40, 0 :: v_dual_mov_b32 v41, 0
	s_and_saveexec_b32 s30, s0
	s_cbranch_execz .LBB513_13
; %bb.10:                               ;   in Loop: Header=BB513_9 Depth=2
	v_dual_mov_b32 v41, 0 :: v_dual_add_nc_u32 v16, s28, v2
	v_mov_b32_e32 v40, 0
	s_mov_b32 s31, exec_lo
	s_delay_alu instid0(VALU_DEP_2)
	v_cmpx_gt_u64_e64 s[8:9], v[16:17]
	s_cbranch_execz .LBB513_12
; %bb.11:                               ;   in Loop: Header=BB513_9 Depth=2
	v_mul_u64_e32 v[40:41], s[14:15], v[16:17]
	s_delay_alu instid0(VALU_DEP_1)
	v_lshl_add_u64 v[40:41], v[40:41], 3, v[20:21]
	flat_load_b64 v[40:41], v[40:41]
.LBB513_12:                             ;   in Loop: Header=BB513_9 Depth=2
	s_wait_xcnt 0x0
	s_or_b32 exec_lo, exec_lo, s31
.LBB513_13:                             ;   in Loop: Header=BB513_9 Depth=2
	s_delay_alu instid0(SALU_CYCLE_1)
	s_or_b32 exec_lo, exec_lo, s30
	v_dual_add_nc_u32 v16, s28, v0 :: v_dual_mov_b32 v42, 0
	v_mov_b32_e32 v43, 0
	s_wait_loadcnt_dscnt 0x0
	ds_store_b64 v1, v[40:41]
	v_cmp_gt_u64_e32 vcc_lo, s[8:9], v[16:17]
	s_and_b32 s31, vcc_lo, s1
	s_delay_alu instid0(SALU_CYCLE_1)
	s_and_saveexec_b32 s30, s31
	s_cbranch_execz .LBB513_8
; %bb.14:                               ;   in Loop: Header=BB513_9 Depth=2
	v_lshl_add_u64 v[40:41], v[16:17], 3, v[22:23]
	flat_load_b64 v[42:43], v[40:41]
	s_branch .LBB513_8
.LBB513_15:                             ;   in Loop: Header=BB513_6 Depth=1
	s_wait_loadcnt 0x0
	v_add_nc_u64_e32 v[18:19], s[22:23], v[18:19]
	s_delay_alu instid0(VALU_DEP_1)
	v_lshl_add_u64 v[20:21], v[10:11], 3, v[18:19]
	s_wait_xcnt 0x0
	s_and_saveexec_b32 s28, s35
	s_cbranch_execz .LBB513_20
; %bb.16:                               ;   in Loop: Header=BB513_6 Depth=1
	v_mov_b64_e32 v[22:23], s[4:5]
	v_mov_b64_e32 v[40:41], s[24:25]
	s_and_b32 vcc_lo, exec_lo, s34
	s_mov_b32 s29, -1
	s_delay_alu instid0(VALU_DEP_2) | instskip(NEXT) | instid1(VALU_DEP_1)
	v_pk_mul_f32 v[22:23], v[38:39], v[22:23] op_sel_hi:[0,1]
	v_pk_fma_f32 v[38:39], v[36:37], v[40:41], v[22:23] op_sel_hi:[0,1,1]
	v_pk_fma_f32 v[22:23], v[36:37], v[40:41], v[22:23] neg_lo:[0,0,1] neg_hi:[0,0,1]
	v_lshl_add_u64 v[36:37], v[8:9], 3, v[20:21]
	s_delay_alu instid0(VALU_DEP_3)
	v_mov_b32_e32 v23, v39
	s_cbranch_vccz .LBB513_18
; %bb.17:                               ;   in Loop: Header=BB513_6 Depth=1
	flat_load_b64 v[38:39], v[36:37]
	v_mov_b64_e32 v[40:41], s[6:7]
	v_mov_b64_e32 v[42:43], s[2:3]
	s_mov_b32 s29, 0
	s_wait_loadcnt_dscnt 0x0
	s_delay_alu instid0(VALU_DEP_2) | instskip(NEXT) | instid1(VALU_DEP_1)
	v_pk_mul_f32 v[40:41], v[38:39], v[40:41]
	v_pk_fma_f32 v[44:45], v[38:39], v[42:43], v[40:41] op_sel:[0,0,1] op_sel_hi:[1,1,0]
	v_pk_fma_f32 v[38:39], v[38:39], v[42:43], v[40:41] op_sel:[0,0,1] op_sel_hi:[1,1,0] neg_lo:[0,0,1] neg_hi:[0,0,1]
	s_delay_alu instid0(VALU_DEP_2) | instskip(NEXT) | instid1(VALU_DEP_1)
	v_mov_b32_e32 v39, v45
	v_pk_add_f32 v[38:39], v[22:23], v[38:39]
	flat_store_b64 v[36:37], v[38:39]
.LBB513_18:                             ;   in Loop: Header=BB513_6 Depth=1
	s_and_not1_b32 vcc_lo, exec_lo, s29
	s_cbranch_vccnz .LBB513_20
; %bb.19:                               ;   in Loop: Header=BB513_6 Depth=1
	flat_store_b64 v[36:37], v[22:23]
.LBB513_20:                             ;   in Loop: Header=BB513_6 Depth=1
	s_wait_xcnt 0x0
	s_or_b32 exec_lo, exec_lo, s28
	s_and_saveexec_b32 s28, s36
	s_cbranch_execz .LBB513_25
; %bb.21:                               ;   in Loop: Header=BB513_6 Depth=1
	v_mov_b64_e32 v[22:23], s[4:5]
	v_mov_b64_e32 v[36:37], s[24:25]
	v_lshl_add_u64 v[20:21], v[14:15], 3, v[20:21]
	s_and_not1_b32 vcc_lo, exec_lo, s34
	s_mov_b32 s29, -1
	s_delay_alu instid0(VALU_DEP_3) | instskip(NEXT) | instid1(VALU_DEP_1)
	v_pk_mul_f32 v[22:23], v[34:35], v[22:23] op_sel_hi:[0,1]
	v_pk_fma_f32 v[34:35], v[32:33], v[36:37], v[22:23] op_sel_hi:[0,1,1]
	v_pk_fma_f32 v[22:23], v[32:33], v[36:37], v[22:23] neg_lo:[0,0,1] neg_hi:[0,0,1]
	s_delay_alu instid0(VALU_DEP_2)
	v_mov_b32_e32 v23, v35
	s_cbranch_vccnz .LBB513_23
; %bb.22:                               ;   in Loop: Header=BB513_6 Depth=1
	flat_load_b64 v[32:33], v[20:21]
	v_mov_b64_e32 v[34:35], s[6:7]
	v_mov_b64_e32 v[36:37], s[2:3]
	s_mov_b32 s29, 0
	s_wait_loadcnt_dscnt 0x0
	s_delay_alu instid0(VALU_DEP_2) | instskip(NEXT) | instid1(VALU_DEP_1)
	v_pk_mul_f32 v[34:35], v[32:33], v[34:35]
	v_pk_fma_f32 v[38:39], v[32:33], v[36:37], v[34:35] op_sel:[0,0,1] op_sel_hi:[1,1,0]
	v_pk_fma_f32 v[32:33], v[32:33], v[36:37], v[34:35] op_sel:[0,0,1] op_sel_hi:[1,1,0] neg_lo:[0,0,1] neg_hi:[0,0,1]
	s_delay_alu instid0(VALU_DEP_2) | instskip(NEXT) | instid1(VALU_DEP_1)
	v_mov_b32_e32 v33, v39
	v_pk_add_f32 v[32:33], v[22:23], v[32:33]
	flat_store_b64 v[20:21], v[32:33]
.LBB513_23:                             ;   in Loop: Header=BB513_6 Depth=1
	s_and_not1_b32 vcc_lo, exec_lo, s29
	s_cbranch_vccnz .LBB513_25
; %bb.24:                               ;   in Loop: Header=BB513_6 Depth=1
	flat_store_b64 v[20:21], v[22:23]
.LBB513_25:                             ;   in Loop: Header=BB513_6 Depth=1
	s_wait_xcnt 0x0
	s_or_b32 exec_lo, exec_lo, s28
	v_lshl_add_u64 v[18:19], v[12:13], 3, v[18:19]
	s_and_saveexec_b32 s28, s37
	s_cbranch_execz .LBB513_30
; %bb.26:                               ;   in Loop: Header=BB513_6 Depth=1
	v_mov_b64_e32 v[20:21], s[4:5]
	v_mov_b64_e32 v[22:23], s[24:25]
	s_and_not1_b32 vcc_lo, exec_lo, s34
	s_mov_b32 s29, -1
	s_delay_alu instid0(VALU_DEP_2) | instskip(NEXT) | instid1(VALU_DEP_1)
	v_pk_mul_f32 v[20:21], v[30:31], v[20:21] op_sel_hi:[0,1]
	v_pk_fma_f32 v[30:31], v[28:29], v[22:23], v[20:21] op_sel_hi:[0,1,1]
	v_pk_fma_f32 v[20:21], v[28:29], v[22:23], v[20:21] neg_lo:[0,0,1] neg_hi:[0,0,1]
	v_lshl_add_u64 v[22:23], v[8:9], 3, v[18:19]
	s_delay_alu instid0(VALU_DEP_3)
	v_mov_b32_e32 v21, v31
	s_cbranch_vccnz .LBB513_28
; %bb.27:                               ;   in Loop: Header=BB513_6 Depth=1
	flat_load_b64 v[28:29], v[22:23]
	v_mov_b64_e32 v[30:31], s[6:7]
	v_mov_b64_e32 v[32:33], s[2:3]
	s_mov_b32 s29, 0
	s_wait_loadcnt_dscnt 0x0
	s_delay_alu instid0(VALU_DEP_2) | instskip(NEXT) | instid1(VALU_DEP_1)
	v_pk_mul_f32 v[30:31], v[28:29], v[30:31]
	v_pk_fma_f32 v[34:35], v[28:29], v[32:33], v[30:31] op_sel:[0,0,1] op_sel_hi:[1,1,0]
	v_pk_fma_f32 v[28:29], v[28:29], v[32:33], v[30:31] op_sel:[0,0,1] op_sel_hi:[1,1,0] neg_lo:[0,0,1] neg_hi:[0,0,1]
	s_delay_alu instid0(VALU_DEP_2) | instskip(NEXT) | instid1(VALU_DEP_1)
	v_mov_b32_e32 v29, v35
	v_pk_add_f32 v[28:29], v[20:21], v[28:29]
	flat_store_b64 v[22:23], v[28:29]
.LBB513_28:                             ;   in Loop: Header=BB513_6 Depth=1
	s_and_not1_b32 vcc_lo, exec_lo, s29
	s_cbranch_vccnz .LBB513_30
; %bb.29:                               ;   in Loop: Header=BB513_6 Depth=1
	flat_store_b64 v[22:23], v[20:21]
.LBB513_30:                             ;   in Loop: Header=BB513_6 Depth=1
	s_wait_xcnt 0x0
	s_or_b32 exec_lo, exec_lo, s28
	s_and_saveexec_b32 s28, s38
	s_cbranch_execz .LBB513_5
; %bb.31:                               ;   in Loop: Header=BB513_6 Depth=1
	v_mov_b64_e32 v[20:21], s[4:5]
	v_mov_b64_e32 v[22:23], s[24:25]
	v_lshl_add_u64 v[18:19], v[14:15], 3, v[18:19]
	s_and_not1_b32 vcc_lo, exec_lo, s34
	s_mov_b32 s29, -1
	s_delay_alu instid0(VALU_DEP_3) | instskip(NEXT) | instid1(VALU_DEP_1)
	v_pk_mul_f32 v[20:21], v[26:27], v[20:21] op_sel_hi:[0,1]
	v_pk_fma_f32 v[28:29], v[24:25], v[22:23], v[20:21] op_sel_hi:[0,1,1]
	v_pk_fma_f32 v[20:21], v[24:25], v[22:23], v[20:21] neg_lo:[0,0,1] neg_hi:[0,0,1]
	s_delay_alu instid0(VALU_DEP_2)
	v_mov_b32_e32 v21, v29
	s_cbranch_vccnz .LBB513_33
; %bb.32:                               ;   in Loop: Header=BB513_6 Depth=1
	flat_load_b64 v[22:23], v[18:19]
	v_mov_b64_e32 v[28:29], s[6:7]
	v_mov_b64_e32 v[30:31], s[2:3]
	s_mov_b32 s29, 0
	s_wait_loadcnt_dscnt 0x0
	s_delay_alu instid0(VALU_DEP_2) | instskip(NEXT) | instid1(VALU_DEP_1)
	v_pk_mul_f32 v[28:29], v[22:23], v[28:29]
	v_pk_fma_f32 v[32:33], v[22:23], v[30:31], v[28:29] op_sel:[0,0,1] op_sel_hi:[1,1,0]
	v_pk_fma_f32 v[22:23], v[22:23], v[30:31], v[28:29] op_sel:[0,0,1] op_sel_hi:[1,1,0] neg_lo:[0,0,1] neg_hi:[0,0,1]
	s_delay_alu instid0(VALU_DEP_2) | instskip(NEXT) | instid1(VALU_DEP_1)
	v_mov_b32_e32 v23, v33
	v_pk_add_f32 v[22:23], v[20:21], v[22:23]
	flat_store_b64 v[18:19], v[22:23]
.LBB513_33:                             ;   in Loop: Header=BB513_6 Depth=1
	s_and_not1_b32 vcc_lo, exec_lo, s29
	s_cbranch_vccnz .LBB513_5
; %bb.34:                               ;   in Loop: Header=BB513_6 Depth=1
	flat_store_b64 v[18:19], v[20:21]
	s_branch .LBB513_5
.LBB513_35:
	s_sendmsg sendmsg(MSG_DEALLOC_VGPRS)
	s_endpgm
	.section	.rodata,"a",@progbits
	.p2align	6, 0x0
	.amdhsa_kernel _ZL29rocblas_internal_gemmt_kernelIlLi16ELi32ELi8ELc78ELc78ELc76ELb0ELb0E19rocblas_complex_numIfEPKS1_PKS3_PKPS1_EviT_T9_T10_S9_lSB_S9_lSA_T11_S9_li
		.amdhsa_group_segment_fixed_size 4096
		.amdhsa_private_segment_fixed_size 0
		.amdhsa_kernarg_size 108
		.amdhsa_user_sgpr_count 2
		.amdhsa_user_sgpr_dispatch_ptr 0
		.amdhsa_user_sgpr_queue_ptr 0
		.amdhsa_user_sgpr_kernarg_segment_ptr 1
		.amdhsa_user_sgpr_dispatch_id 0
		.amdhsa_user_sgpr_kernarg_preload_length 0
		.amdhsa_user_sgpr_kernarg_preload_offset 0
		.amdhsa_user_sgpr_private_segment_size 0
		.amdhsa_wavefront_size32 1
		.amdhsa_uses_dynamic_stack 0
		.amdhsa_enable_private_segment 0
		.amdhsa_system_sgpr_workgroup_id_x 1
		.amdhsa_system_sgpr_workgroup_id_y 1
		.amdhsa_system_sgpr_workgroup_id_z 1
		.amdhsa_system_sgpr_workgroup_info 0
		.amdhsa_system_vgpr_workitem_id 1
		.amdhsa_next_free_vgpr 72
		.amdhsa_next_free_sgpr 41
		.amdhsa_named_barrier_count 0
		.amdhsa_reserve_vcc 1
		.amdhsa_float_round_mode_32 0
		.amdhsa_float_round_mode_16_64 0
		.amdhsa_float_denorm_mode_32 3
		.amdhsa_float_denorm_mode_16_64 3
		.amdhsa_fp16_overflow 0
		.amdhsa_memory_ordered 1
		.amdhsa_forward_progress 1
		.amdhsa_inst_pref_size 26
		.amdhsa_round_robin_scheduling 0
		.amdhsa_exception_fp_ieee_invalid_op 0
		.amdhsa_exception_fp_denorm_src 0
		.amdhsa_exception_fp_ieee_div_zero 0
		.amdhsa_exception_fp_ieee_overflow 0
		.amdhsa_exception_fp_ieee_underflow 0
		.amdhsa_exception_fp_ieee_inexact 0
		.amdhsa_exception_int_div_zero 0
	.end_amdhsa_kernel
	.section	.text._ZL29rocblas_internal_gemmt_kernelIlLi16ELi32ELi8ELc78ELc78ELc76ELb0ELb0E19rocblas_complex_numIfEPKS1_PKS3_PKPS1_EviT_T9_T10_S9_lSB_S9_lSA_T11_S9_li,"axG",@progbits,_ZL29rocblas_internal_gemmt_kernelIlLi16ELi32ELi8ELc78ELc78ELc76ELb0ELb0E19rocblas_complex_numIfEPKS1_PKS3_PKPS1_EviT_T9_T10_S9_lSB_S9_lSA_T11_S9_li,comdat
.Lfunc_end513:
	.size	_ZL29rocblas_internal_gemmt_kernelIlLi16ELi32ELi8ELc78ELc78ELc76ELb0ELb0E19rocblas_complex_numIfEPKS1_PKS3_PKPS1_EviT_T9_T10_S9_lSB_S9_lSA_T11_S9_li, .Lfunc_end513-_ZL29rocblas_internal_gemmt_kernelIlLi16ELi32ELi8ELc78ELc78ELc76ELb0ELb0E19rocblas_complex_numIfEPKS1_PKS3_PKPS1_EviT_T9_T10_S9_lSB_S9_lSA_T11_S9_li
                                        ; -- End function
	.set _ZL29rocblas_internal_gemmt_kernelIlLi16ELi32ELi8ELc78ELc78ELc76ELb0ELb0E19rocblas_complex_numIfEPKS1_PKS3_PKPS1_EviT_T9_T10_S9_lSB_S9_lSA_T11_S9_li.num_vgpr, 72
	.set _ZL29rocblas_internal_gemmt_kernelIlLi16ELi32ELi8ELc78ELc78ELc76ELb0ELb0E19rocblas_complex_numIfEPKS1_PKS3_PKPS1_EviT_T9_T10_S9_lSB_S9_lSA_T11_S9_li.num_agpr, 0
	.set _ZL29rocblas_internal_gemmt_kernelIlLi16ELi32ELi8ELc78ELc78ELc76ELb0ELb0E19rocblas_complex_numIfEPKS1_PKS3_PKPS1_EviT_T9_T10_S9_lSB_S9_lSA_T11_S9_li.numbered_sgpr, 41
	.set _ZL29rocblas_internal_gemmt_kernelIlLi16ELi32ELi8ELc78ELc78ELc76ELb0ELb0E19rocblas_complex_numIfEPKS1_PKS3_PKPS1_EviT_T9_T10_S9_lSB_S9_lSA_T11_S9_li.num_named_barrier, 0
	.set _ZL29rocblas_internal_gemmt_kernelIlLi16ELi32ELi8ELc78ELc78ELc76ELb0ELb0E19rocblas_complex_numIfEPKS1_PKS3_PKPS1_EviT_T9_T10_S9_lSB_S9_lSA_T11_S9_li.private_seg_size, 0
	.set _ZL29rocblas_internal_gemmt_kernelIlLi16ELi32ELi8ELc78ELc78ELc76ELb0ELb0E19rocblas_complex_numIfEPKS1_PKS3_PKPS1_EviT_T9_T10_S9_lSB_S9_lSA_T11_S9_li.uses_vcc, 1
	.set _ZL29rocblas_internal_gemmt_kernelIlLi16ELi32ELi8ELc78ELc78ELc76ELb0ELb0E19rocblas_complex_numIfEPKS1_PKS3_PKPS1_EviT_T9_T10_S9_lSB_S9_lSA_T11_S9_li.uses_flat_scratch, 0
	.set _ZL29rocblas_internal_gemmt_kernelIlLi16ELi32ELi8ELc78ELc78ELc76ELb0ELb0E19rocblas_complex_numIfEPKS1_PKS3_PKPS1_EviT_T9_T10_S9_lSB_S9_lSA_T11_S9_li.has_dyn_sized_stack, 0
	.set _ZL29rocblas_internal_gemmt_kernelIlLi16ELi32ELi8ELc78ELc78ELc76ELb0ELb0E19rocblas_complex_numIfEPKS1_PKS3_PKPS1_EviT_T9_T10_S9_lSB_S9_lSA_T11_S9_li.has_recursion, 0
	.set _ZL29rocblas_internal_gemmt_kernelIlLi16ELi32ELi8ELc78ELc78ELc76ELb0ELb0E19rocblas_complex_numIfEPKS1_PKS3_PKPS1_EviT_T9_T10_S9_lSB_S9_lSA_T11_S9_li.has_indirect_call, 0
	.section	.AMDGPU.csdata,"",@progbits
; Kernel info:
; codeLenInByte = 3220
; TotalNumSgprs: 43
; NumVgprs: 72
; ScratchSize: 0
; MemoryBound: 0
; FloatMode: 240
; IeeeMode: 1
; LDSByteSize: 4096 bytes/workgroup (compile time only)
; SGPRBlocks: 0
; VGPRBlocks: 4
; NumSGPRsForWavesPerEU: 43
; NumVGPRsForWavesPerEU: 72
; NamedBarCnt: 0
; Occupancy: 12
; WaveLimiterHint : 1
; COMPUTE_PGM_RSRC2:SCRATCH_EN: 0
; COMPUTE_PGM_RSRC2:USER_SGPR: 2
; COMPUTE_PGM_RSRC2:TRAP_HANDLER: 0
; COMPUTE_PGM_RSRC2:TGID_X_EN: 1
; COMPUTE_PGM_RSRC2:TGID_Y_EN: 1
; COMPUTE_PGM_RSRC2:TGID_Z_EN: 1
; COMPUTE_PGM_RSRC2:TIDIG_COMP_CNT: 1
	.section	.text._ZL29rocblas_internal_gemmt_kernelIlLi16ELi32ELi8ELc78ELc84ELc76ELb0ELb0E19rocblas_complex_numIfEPKS1_PKS3_PKPS1_EviT_T9_T10_S9_lSB_S9_lSA_T11_S9_li,"axG",@progbits,_ZL29rocblas_internal_gemmt_kernelIlLi16ELi32ELi8ELc78ELc84ELc76ELb0ELb0E19rocblas_complex_numIfEPKS1_PKS3_PKPS1_EviT_T9_T10_S9_lSB_S9_lSA_T11_S9_li,comdat
	.globl	_ZL29rocblas_internal_gemmt_kernelIlLi16ELi32ELi8ELc78ELc84ELc76ELb0ELb0E19rocblas_complex_numIfEPKS1_PKS3_PKPS1_EviT_T9_T10_S9_lSB_S9_lSA_T11_S9_li ; -- Begin function _ZL29rocblas_internal_gemmt_kernelIlLi16ELi32ELi8ELc78ELc84ELc76ELb0ELb0E19rocblas_complex_numIfEPKS1_PKS3_PKPS1_EviT_T9_T10_S9_lSB_S9_lSA_T11_S9_li
	.p2align	8
	.type	_ZL29rocblas_internal_gemmt_kernelIlLi16ELi32ELi8ELc78ELc84ELc76ELb0ELb0E19rocblas_complex_numIfEPKS1_PKS3_PKPS1_EviT_T9_T10_S9_lSB_S9_lSA_T11_S9_li,@function
_ZL29rocblas_internal_gemmt_kernelIlLi16ELi32ELi8ELc78ELc84ELc76ELb0ELb0E19rocblas_complex_numIfEPKS1_PKS3_PKPS1_EviT_T9_T10_S9_lSB_S9_lSA_T11_S9_li: ; @_ZL29rocblas_internal_gemmt_kernelIlLi16ELi32ELi8ELc78ELc84ELc76ELb0ELb0E19rocblas_complex_numIfEPKS1_PKS3_PKPS1_EviT_T9_T10_S9_lSB_S9_lSA_T11_S9_li
; %bb.0:
	s_load_b256 s[24:31], s[0:1], 0x48
	s_wait_kmcnt 0x0
	s_load_b64 s[6:7], s[24:25], 0x0
	s_load_b512 s[8:23], s[0:1], 0x8
	s_wait_kmcnt 0x0
	s_cmp_neq_f32 s6, 1.0
	s_load_b64 s[24:25], s[10:11], 0x0
	s_cselect_b32 s3, -1, 0
	s_and_b32 s4, s7, 0x7fffffff
	s_delay_alu instid0(SALU_CYCLE_1) | instskip(SKIP_3) | instid1(SALU_CYCLE_1)
	s_cmp_eq_u32 s4, 0
	s_cselect_b32 s2, -1, 0
	s_cmp_lg_u32 s4, 0
	s_cselect_b32 s4, -1, 0
	s_or_b32 s3, s3, s4
	s_delay_alu instid0(SALU_CYCLE_1)
	s_and_b32 vcc_lo, exec_lo, s3
	s_cbranch_vccnz .LBB514_2
; %bb.1:
	s_cmp_lg_u64 s[8:9], 0
	s_cselect_b32 s3, -1, 0
	s_wait_kmcnt 0x0
	s_cmp_neq_f32 s24, 0
	s_cselect_b32 s4, -1, 0
	s_cmp_neq_f32 s25, 0
	s_cselect_b32 s5, -1, 0
	s_delay_alu instid0(SALU_CYCLE_1) | instskip(NEXT) | instid1(SALU_CYCLE_1)
	s_or_b32 s4, s4, s5
	s_and_b32 s3, s3, s4
.LBB514_2:
	s_delay_alu instid0(SALU_CYCLE_1)
	s_and_not1_b32 vcc_lo, exec_lo, s3
	s_cbranch_vccnz .LBB514_35
; %bb.3:
	s_load_b32 s33, s[0:1], 0x68
	s_bfe_u32 s3, ttmp6, 0x40014
	s_lshr_b32 s4, ttmp7, 16
	s_add_co_i32 s3, s3, 1
	s_wait_xcnt 0x0
	s_bfe_u32 s10, ttmp6, 0x40008
	s_mul_i32 s5, s4, s3
	s_getreg_b32 s3, hwreg(HW_REG_IB_STS2, 6, 4)
	s_add_co_i32 s10, s10, s5
	s_cmp_eq_u32 s3, 0
	s_mov_b32 s11, 0
	s_cselect_b32 s10, s4, s10
	s_wait_kmcnt 0x0
	s_cmp_ge_u32 s10, s33
	s_cbranch_scc1 .LBB514_35
; %bb.4:
	v_and_b32_e32 v9, 0x3ff, v0
	v_bfe_u32 v15, v0, 10, 10
	s_bfe_u32 s4, ttmp6, 0x4000c
	s_bfe_u32 s34, ttmp6, 0x40010
	s_add_co_i32 s4, s4, 1
	s_and_b32 s35, ttmp7, 0xffff
	s_add_co_i32 s34, s34, 1
	v_lshl_add_u32 v1, v15, 4, v9
	s_and_b32 s5, ttmp6, 15
	s_mul_i32 s4, ttmp9, s4
	s_mul_i32 s34, s35, s34
	s_bfe_u32 s36, ttmp6, 0x40004
	s_add_co_i32 s5, s5, s4
	s_add_co_i32 s36, s36, s34
	s_cmp_eq_u32 s3, 0
	v_dual_lshrrev_b32 v3, 3, v1 :: v_dual_bitop2_b32 v5, 31, v1 bitop3:0x40
	s_load_b32 s4, s[0:1], 0x0
	s_wait_xcnt 0x0
	s_cselect_b32 s0, ttmp9, s5
	s_cselect_b32 s1, s35, s36
	s_lshl_b32 s3, s0, 5
	s_lshl_b32 s0, s1, 5
	v_dual_lshrrev_b32 v2, 5, v1 :: v_dual_bitop2_b32 v0, 7, v0 bitop3:0x40
	v_dual_lshlrev_b32 v1, 3, v5 :: v_dual_add_nc_u32 v16, s0, v15
	v_dual_add_nc_u32 v6, s0, v3 :: v_dual_bitop2_b32 v4, s3, v5 bitop3:0x54
	s_cmp_neq_f32 s24, 0
	s_delay_alu instid0(VALU_DEP_2)
	v_dual_add_nc_u32 v8, s3, v9 :: v_dual_add_nc_u32 v18, 16, v16
	v_ashrrev_i32_e32 v17, 31, v16
	v_lshlrev_b32_e32 v5, 3, v0
	s_cselect_b32 s1, -1, 0
	s_cmp_neq_f32 s25, 0
	v_ashrrev_i32_e32 v19, 31, v18
	v_mul_u64_e32 v[10:11], s[28:29], v[16:17]
	v_lshl_or_b32 v3, v3, 6, v5
	s_cselect_b32 s5, -1, 0
	v_ashrrev_i32_e32 v5, 31, v4
	v_mul_u64_e32 v[12:13], s[28:29], v[18:19]
	s_or_b32 s39, s1, s5
	s_cmp_neq_f32 s6, 0
	v_add_nc_u32_e32 v14, 16, v8
	v_cmp_le_i32_e32 vcc_lo, v16, v8
	v_cmp_gt_i64_e64 s40, s[8:9], 0
	s_cselect_b32 s3, -1, 0
	s_xor_b32 s5, s2, -1
	s_wait_kmcnt 0x0
	v_cmp_gt_i32_e64 s2, s4, v8
	v_cmp_gt_i32_e64 s0, s4, v4
	;; [unrolled: 1-line block ×3, first 2 shown]
	v_dual_ashrrev_i32 v7, 31, v6 :: v_dual_lshlrev_b32 v25, 3, v9
	s_or_b32 s34, s3, s5
	s_and_b32 s35, vcc_lo, s2
	v_cmp_le_i32_e32 vcc_lo, v18, v8
	v_ashrrev_i32_e32 v9, 31, v8
	v_cmp_le_i32_e64 s3, v16, v14
	v_cmp_gt_i32_e64 s4, s4, v14
	v_cmp_le_i32_e64 s5, v18, v14
	v_lshl_or_b32 v1, v2, 8, v1
	v_add_nc_u32_e32 v3, 0x800, v3
	v_lshl_add_u32 v27, v15, 6, 0x800
	v_dual_ashrrev_i32 v15, 31, v14 :: v_dual_mov_b32 v17, 0
	s_and_b32 s36, s3, s4
	s_and_b32 s37, vcc_lo, s2
	s_and_b32 s38, s5, s4
	s_mov_b32 s2, s6
	s_mov_b32 s3, s6
	;; [unrolled: 1-line block ×5, first 2 shown]
	s_and_b32 s39, s39, s40
	s_lshl_b64 s[22:23], s[22:23], 3
	s_lshl_b64 s[16:17], s[16:17], 3
	;; [unrolled: 1-line block ×3, first 2 shown]
	s_branch .LBB514_6
.LBB514_5:                              ;   in Loop: Header=BB514_6 Depth=1
	s_wait_xcnt 0x0
	s_or_b32 exec_lo, exec_lo, s30
	s_add_co_i32 s10, s10, 0x10000
	s_delay_alu instid0(SALU_CYCLE_1)
	s_cmp_lt_u32 s10, s33
	s_cbranch_scc0 .LBB514_35
.LBB514_6:                              ; =>This Loop Header: Depth=1
                                        ;     Child Loop BB514_9 Depth 2
	v_dual_mov_b32 v16, s10 :: v_dual_mov_b32 v36, v17
	v_dual_mov_b32 v38, v17 :: v_dual_mov_b32 v32, v17
	;; [unrolled: 1-line block ×3, first 2 shown]
	global_load_b64 v[18:19], v16, s[26:27] scale_offset
	v_dual_mov_b32 v30, v17 :: v_dual_mov_b32 v24, v17
	v_mov_b32_e32 v26, v17
	s_and_not1_b32 vcc_lo, exec_lo, s39
	s_cbranch_vccnz .LBB514_15
; %bb.7:                                ;   in Loop: Header=BB514_6 Depth=1
	s_lshl_b64 s[30:31], s[10:11], 3
	v_dual_mov_b32 v26, 0 :: v_dual_mov_b32 v24, 0
	s_add_nc_u64 s[40:41], s[12:13], s[30:31]
	s_add_nc_u64 s[30:31], s[18:19], s[30:31]
	s_clause 0x1
	global_load_b64 v[20:21], v17, s[40:41]
	global_load_b64 v[22:23], v17, s[30:31]
	v_dual_mov_b32 v30, 0 :: v_dual_mov_b32 v28, 0
	v_dual_mov_b32 v34, 0 :: v_dual_mov_b32 v32, 0
	;; [unrolled: 1-line block ×3, first 2 shown]
	s_wait_xcnt 0x0
	s_mov_b64 s[30:31], 0
	s_wait_loadcnt 0x1
	v_add_nc_u64_e32 v[20:21], s[16:17], v[20:21]
	s_wait_loadcnt 0x0
	v_add_nc_u64_e32 v[22:23], s[22:23], v[22:23]
	s_delay_alu instid0(VALU_DEP_2) | instskip(NEXT) | instid1(VALU_DEP_2)
	v_lshl_add_u64 v[20:21], v[4:5], 3, v[20:21]
	v_lshl_add_u64 v[22:23], v[6:7], 3, v[22:23]
	s_branch .LBB514_9
.LBB514_8:                              ;   in Loop: Header=BB514_9 Depth=2
	s_wait_xcnt 0x0
	s_or_b32 exec_lo, exec_lo, s40
	s_wait_loadcnt_dscnt 0x0
	ds_store_b64 v3, v[42:43]
	s_wait_dscnt 0x0
	s_barrier_signal -1
	s_barrier_wait -1
	ds_load_b128 v[40:43], v27
	ds_load_2addr_b64 v[44:47], v25 offset1:16
	ds_load_b128 v[48:51], v27 offset:1024
	ds_load_b128 v[52:55], v27 offset:16
	;; [unrolled: 1-line block ×4, first 2 shown]
	ds_load_2addr_b64 v[64:67], v25 offset0:32 offset1:48
	ds_load_b128 v[68:71], v27 offset:1040
	s_add_nc_u64 s[30:31], s[30:31], 8
	s_delay_alu instid0(SALU_CYCLE_1)
	v_cmp_gt_i64_e64 s40, s[8:9], s[30:31]
	s_and_b32 vcc_lo, exec_lo, s40
	s_wait_dscnt 0x6
	v_dual_mul_f32 v16, v41, v45 :: v_dual_mul_f32 v29, v40, v45
	v_dual_mul_f32 v31, v41, v47 :: v_dual_mul_f32 v33, v40, v47
	s_wait_dscnt 0x5
	v_dual_mul_f32 v35, v49, v45 :: v_dual_mul_f32 v37, v48, v45
	v_dual_mul_f32 v39, v49, v47 :: v_dual_mul_f32 v45, v48, v47
	v_dual_fma_f32 v16, v40, v44, -v16 :: v_dual_fmac_f32 v29, v41, v44
	v_dual_fma_f32 v31, v40, v46, -v31 :: v_dual_fmac_f32 v33, v41, v46
	s_delay_alu instid0(VALU_DEP_4) | instskip(NEXT) | instid1(VALU_DEP_3)
	v_dual_fma_f32 v35, v48, v44, -v35 :: v_dual_fmac_f32 v37, v49, v44
	v_dual_add_f32 v16, v36, v16 :: v_dual_add_f32 v36, v38, v29
	v_fma_f32 v29, v48, v46, -v39
	s_delay_alu instid0(VALU_DEP_4) | instskip(NEXT) | instid1(VALU_DEP_4)
	v_dual_add_f32 v32, v32, v31 :: v_dual_add_f32 v33, v34, v33
	v_dual_add_f32 v34, v28, v35 :: v_dual_add_f32 v35, v30, v37
	s_wait_dscnt 0x1
	v_dual_mul_f32 v37, v43, v65 :: v_dual_fmac_f32 v45, v49, v46
	v_add_f32_e32 v24, v24, v29
	ds_load_2addr_b64 v[28:31], v25 offset0:64 offset1:80
	v_dual_mul_f32 v38, v42, v65 :: v_dual_fma_f32 v37, v42, v64, -v37
	v_dual_mul_f32 v39, v43, v67 :: v_dual_add_f32 v26, v26, v45
	s_delay_alu instid0(VALU_DEP_2) | instskip(NEXT) | instid1(VALU_DEP_2)
	v_dual_mul_f32 v40, v42, v67 :: v_dual_fmac_f32 v38, v43, v64
	v_dual_add_f32 v16, v16, v37 :: v_dual_fma_f32 v37, v42, v66, -v39
	v_mul_f32_e32 v39, v51, v65
	s_delay_alu instid0(VALU_DEP_3) | instskip(NEXT) | instid1(VALU_DEP_4)
	v_fmac_f32_e32 v40, v43, v66
	v_dual_add_f32 v36, v36, v38 :: v_dual_mul_f32 v38, v50, v65
	s_delay_alu instid0(VALU_DEP_3) | instskip(NEXT) | instid1(VALU_DEP_3)
	v_dual_add_f32 v37, v32, v37 :: v_dual_fma_f32 v32, v50, v64, -v39
	v_dual_mul_f32 v39, v51, v67 :: v_dual_add_f32 v40, v33, v40
	s_delay_alu instid0(VALU_DEP_3) | instskip(SKIP_1) | instid1(VALU_DEP_3)
	v_dual_fmac_f32 v38, v51, v64 :: v_dual_mul_f32 v41, v50, v67
	s_wait_dscnt 0x0
	v_dual_add_f32 v42, v34, v32 :: v_dual_mul_f32 v33, v53, v29
	s_delay_alu instid0(VALU_DEP_3) | instskip(NEXT) | instid1(VALU_DEP_3)
	v_fma_f32 v32, v50, v66, -v39
	v_dual_add_f32 v38, v35, v38 :: v_dual_mul_f32 v39, v52, v29
	v_fmac_f32_e32 v41, v51, v66
	s_delay_alu instid0(VALU_DEP_4) | instskip(NEXT) | instid1(VALU_DEP_4)
	v_fma_f32 v43, v52, v28, -v33
	v_dual_add_f32 v24, v24, v32 :: v_dual_mul_f32 v44, v53, v31
	ds_load_2addr_b64 v[32:35], v25 offset0:96 offset1:112
	v_dual_fmac_f32 v39, v53, v28 :: v_dual_add_f32 v26, v26, v41
	v_add_f32_e32 v16, v16, v43
	v_dual_mul_f32 v41, v52, v31 :: v_dual_fma_f32 v43, v52, v30, -v44
	s_delay_alu instid0(VALU_DEP_3) | instskip(NEXT) | instid1(VALU_DEP_2)
	v_dual_add_f32 v36, v36, v39 :: v_dual_mul_f32 v39, v69, v29
	v_dual_mul_f32 v29, v68, v29 :: v_dual_fmac_f32 v41, v53, v30
	s_delay_alu instid0(VALU_DEP_3) | instskip(NEXT) | instid1(VALU_DEP_3)
	v_add_f32_e32 v37, v37, v43
	v_dual_mul_f32 v43, v69, v31 :: v_dual_fma_f32 v39, v68, v28, -v39
	s_delay_alu instid0(VALU_DEP_3) | instskip(NEXT) | instid1(VALU_DEP_4)
	v_dual_fmac_f32 v29, v69, v28 :: v_dual_mul_f32 v44, v68, v31
	v_add_f32_e32 v40, v40, v41
	s_delay_alu instid0(VALU_DEP_3) | instskip(NEXT) | instid1(VALU_DEP_3)
	v_dual_fma_f32 v28, v68, v30, -v43 :: v_dual_add_f32 v41, v42, v39
	v_dual_add_f32 v42, v38, v29 :: v_dual_fmac_f32 v44, v69, v30
	s_wait_dscnt 0x0
	s_delay_alu instid0(VALU_DEP_2) | instskip(SKIP_2) | instid1(VALU_DEP_1)
	v_dual_mul_f32 v38, v55, v33 :: v_dual_add_f32 v24, v24, v28
	ds_load_2addr_b64 v[28:31], v25 offset0:128 offset1:144
	v_dual_mul_f32 v39, v54, v33 :: v_dual_mul_f32 v43, v55, v35
	v_dual_fma_f32 v38, v54, v32, -v38 :: v_dual_fmac_f32 v39, v55, v32
	s_delay_alu instid0(VALU_DEP_1) | instskip(NEXT) | instid1(VALU_DEP_3)
	v_dual_add_f32 v26, v26, v44 :: v_dual_add_f32 v16, v16, v38
	v_dual_mul_f32 v44, v54, v35 :: v_dual_fma_f32 v43, v54, v34, -v43
	s_delay_alu instid0(VALU_DEP_3) | instskip(NEXT) | instid1(VALU_DEP_2)
	v_dual_mul_f32 v38, v71, v33 :: v_dual_add_f32 v45, v36, v39
	v_dual_mul_f32 v33, v70, v33 :: v_dual_fmac_f32 v44, v55, v34
	s_delay_alu instid0(VALU_DEP_2)
	v_dual_add_f32 v46, v37, v43 :: v_dual_fma_f32 v43, v70, v32, -v38
	v_mul_f32_e32 v47, v71, v35
	ds_load_b128 v[36:39], v27 offset:1056
	v_add_f32_e32 v44, v40, v44
	v_dual_fmac_f32 v33, v71, v32 :: v_dual_mul_f32 v40, v70, v35
	v_dual_fma_f32 v32, v70, v34, -v47 :: v_dual_add_f32 v47, v41, v43
	s_wait_dscnt 0x1
	v_mul_f32_e32 v35, v57, v29
	s_delay_alu instid0(VALU_DEP_3) | instskip(NEXT) | instid1(VALU_DEP_3)
	v_dual_add_f32 v48, v42, v33 :: v_dual_fmac_f32 v40, v71, v34
	v_add_f32_e32 v24, v24, v32
	s_delay_alu instid0(VALU_DEP_3) | instskip(NEXT) | instid1(VALU_DEP_3)
	v_dual_mul_f32 v49, v56, v29 :: v_dual_fma_f32 v41, v56, v28, -v35
	v_dual_mul_f32 v42, v57, v31 :: v_dual_add_f32 v26, v26, v40
	ds_load_2addr_b64 v[32:35], v25 offset0:160 offset1:176
	v_dual_fmac_f32 v49, v57, v28 :: v_dual_add_f32 v16, v16, v41
	v_dual_fma_f32 v50, v56, v30, -v42 :: v_dual_mul_f32 v51, v56, v31
	ds_load_b128 v[40:43], v27 offset:1072
	s_wait_dscnt 0x2
	v_dual_mul_f32 v52, v37, v29 :: v_dual_mul_f32 v29, v36, v29
	v_dual_add_f32 v45, v45, v49 :: v_dual_add_f32 v46, v46, v50
	s_delay_alu instid0(VALU_DEP_2) | instskip(NEXT) | instid1(VALU_DEP_3)
	v_dual_fmac_f32 v51, v57, v30 :: v_dual_fma_f32 v49, v36, v28, -v52
	v_dual_mul_f32 v50, v37, v31 :: v_dual_fmac_f32 v29, v37, v28
	s_delay_alu instid0(VALU_DEP_2) | instskip(NEXT) | instid1(VALU_DEP_2)
	v_dual_add_f32 v44, v44, v51 :: v_dual_add_f32 v47, v47, v49
	v_dual_mul_f32 v51, v36, v31 :: v_dual_fma_f32 v28, v36, v30, -v50
	s_delay_alu instid0(VALU_DEP_3) | instskip(SKIP_2) | instid1(VALU_DEP_3)
	v_add_f32_e32 v36, v48, v29
	s_wait_dscnt 0x1
	v_dual_mul_f32 v48, v59, v33 :: v_dual_mul_f32 v49, v59, v35
	v_dual_fmac_f32 v51, v37, v30 :: v_dual_add_f32 v24, v24, v28
	ds_load_2addr_b64 v[28:31], v25 offset0:192 offset1:208
	v_dual_mul_f32 v37, v58, v33 :: v_dual_fma_f32 v48, v58, v32, -v48
	s_delay_alu instid0(VALU_DEP_1) | instskip(NEXT) | instid1(VALU_DEP_2)
	v_dual_mul_f32 v50, v58, v35 :: v_dual_fmac_f32 v37, v59, v32
	v_dual_add_f32 v26, v26, v51 :: v_dual_add_f32 v16, v16, v48
	s_delay_alu instid0(VALU_DEP_2) | instskip(NEXT) | instid1(VALU_DEP_3)
	v_dual_fma_f32 v48, v58, v34, -v49 :: v_dual_fmac_f32 v50, v59, v34
	v_add_f32_e32 v37, v45, v37
	v_dual_mul_f32 v45, v39, v33 :: v_dual_mul_f32 v33, v38, v33
	s_delay_alu instid0(VALU_DEP_3) | instskip(NEXT) | instid1(VALU_DEP_2)
	v_dual_add_f32 v48, v46, v48 :: v_dual_mul_f32 v46, v39, v35
	v_dual_add_f32 v49, v44, v50 :: v_dual_fma_f32 v45, v38, v32, -v45
	s_delay_alu instid0(VALU_DEP_3) | instskip(SKIP_1) | instid1(VALU_DEP_3)
	v_dual_fmac_f32 v33, v39, v32 :: v_dual_mul_f32 v32, v38, v35
	s_wait_dscnt 0x0
	v_dual_fma_f32 v35, v38, v34, -v46 :: v_dual_mul_f32 v44, v61, v29
	s_delay_alu instid0(VALU_DEP_3) | instskip(NEXT) | instid1(VALU_DEP_3)
	v_add_f32_e32 v38, v47, v45
	v_dual_fmac_f32 v32, v39, v34 :: v_dual_mul_f32 v34, v60, v29
	s_delay_alu instid0(VALU_DEP_3) | instskip(NEXT) | instid1(VALU_DEP_4)
	v_add_f32_e32 v24, v24, v35
	v_fma_f32 v35, v60, v28, -v44
	ds_load_2addr_b64 v[44:47], v25 offset0:224 offset1:240
	v_dual_add_f32 v33, v36, v33 :: v_dual_add_f32 v26, v26, v32
	v_dual_mul_f32 v32, v61, v31 :: v_dual_fmac_f32 v34, v61, v28
	v_dual_add_f32 v16, v16, v35 :: v_dual_mul_f32 v36, v41, v29
	s_delay_alu instid0(VALU_DEP_2) | instskip(NEXT) | instid1(VALU_DEP_3)
	v_dual_mul_f32 v35, v60, v31 :: v_dual_fma_f32 v32, v60, v30, -v32
	v_dual_mul_f32 v29, v40, v29 :: v_dual_add_f32 v34, v37, v34
	s_delay_alu instid0(VALU_DEP_2) | instskip(NEXT) | instid1(VALU_DEP_3)
	v_dual_fma_f32 v36, v40, v28, -v36 :: v_dual_fmac_f32 v35, v61, v30
	v_add_f32_e32 v32, v48, v32
	s_delay_alu instid0(VALU_DEP_3) | instskip(SKIP_1) | instid1(VALU_DEP_4)
	v_dual_fmac_f32 v29, v41, v28 :: v_dual_mul_f32 v28, v41, v31
	v_mul_f32_e32 v31, v40, v31
	v_dual_add_f32 v35, v49, v35 :: v_dual_add_f32 v37, v38, v36
	s_delay_alu instid0(VALU_DEP_3) | instskip(SKIP_3) | instid1(VALU_DEP_3)
	v_dual_add_f32 v29, v33, v29 :: v_dual_fma_f32 v28, v40, v30, -v28
	s_wait_dscnt 0x0
	v_dual_mul_f32 v33, v63, v45 :: v_dual_mul_f32 v38, v62, v45
	v_dual_fmac_f32 v31, v41, v30 :: v_dual_mul_f32 v30, v63, v47
	v_add_f32_e32 v24, v24, v28
	s_delay_alu instid0(VALU_DEP_3) | instskip(NEXT) | instid1(VALU_DEP_3)
	v_dual_fma_f32 v28, v62, v44, -v33 :: v_dual_fmac_f32 v38, v63, v44
	v_dual_mul_f32 v33, v62, v47 :: v_dual_fma_f32 v30, v62, v46, -v30
	s_delay_alu instid0(VALU_DEP_2) | instskip(NEXT) | instid1(VALU_DEP_3)
	v_dual_add_f32 v26, v26, v31 :: v_dual_add_f32 v36, v16, v28
	v_dual_add_f32 v38, v34, v38 :: v_dual_mul_f32 v16, v43, v45
	s_delay_alu instid0(VALU_DEP_3) | instskip(NEXT) | instid1(VALU_DEP_4)
	v_fmac_f32_e32 v33, v63, v46
	v_dual_add_f32 v32, v32, v30 :: v_dual_mul_f32 v28, v43, v47
	v_dual_mul_f32 v30, v42, v45 :: v_dual_mul_f32 v31, v42, v47
	s_delay_alu instid0(VALU_DEP_3) | instskip(NEXT) | instid1(VALU_DEP_2)
	v_dual_add_f32 v34, v35, v33 :: v_dual_fma_f32 v16, v42, v44, -v16
	v_dual_fma_f32 v33, v42, v46, -v28 :: v_dual_fmac_f32 v30, v43, v44
	s_delay_alu instid0(VALU_DEP_3) | instskip(NEXT) | instid1(VALU_DEP_2)
	v_fmac_f32_e32 v31, v43, v46
	v_dual_add_f32 v28, v37, v16 :: v_dual_add_f32 v24, v24, v33
	s_delay_alu instid0(VALU_DEP_2)
	v_dual_add_f32 v30, v29, v30 :: v_dual_add_f32 v26, v26, v31
	s_barrier_signal -1
	s_barrier_wait -1
	s_cbranch_vccz .LBB514_15
.LBB514_9:                              ;   Parent Loop BB514_6 Depth=1
                                        ; =>  This Inner Loop Header: Depth=2
	v_dual_mov_b32 v40, 0 :: v_dual_mov_b32 v41, 0
	s_and_saveexec_b32 s40, s0
	s_cbranch_execz .LBB514_13
; %bb.10:                               ;   in Loop: Header=BB514_9 Depth=2
	v_dual_mov_b32 v41, 0 :: v_dual_add_nc_u32 v16, s30, v2
	v_mov_b32_e32 v40, 0
	s_mov_b32 s41, exec_lo
	s_delay_alu instid0(VALU_DEP_2)
	v_cmpx_gt_u64_e64 s[8:9], v[16:17]
	s_cbranch_execz .LBB514_12
; %bb.11:                               ;   in Loop: Header=BB514_9 Depth=2
	v_mul_u64_e32 v[40:41], s[14:15], v[16:17]
	s_delay_alu instid0(VALU_DEP_1)
	v_lshl_add_u64 v[40:41], v[40:41], 3, v[20:21]
	flat_load_b64 v[40:41], v[40:41]
.LBB514_12:                             ;   in Loop: Header=BB514_9 Depth=2
	s_wait_xcnt 0x0
	s_or_b32 exec_lo, exec_lo, s41
.LBB514_13:                             ;   in Loop: Header=BB514_9 Depth=2
	s_delay_alu instid0(SALU_CYCLE_1)
	s_or_b32 exec_lo, exec_lo, s40
	v_dual_add_nc_u32 v16, s30, v0 :: v_dual_mov_b32 v42, 0
	v_mov_b32_e32 v43, 0
	s_wait_loadcnt_dscnt 0x0
	ds_store_b64 v1, v[40:41]
	v_cmp_gt_u64_e32 vcc_lo, s[8:9], v[16:17]
	s_and_b32 s41, vcc_lo, s1
	s_delay_alu instid0(SALU_CYCLE_1)
	s_and_saveexec_b32 s40, s41
	s_cbranch_execz .LBB514_8
; %bb.14:                               ;   in Loop: Header=BB514_9 Depth=2
	v_mul_u64_e32 v[40:41], s[20:21], v[16:17]
	s_delay_alu instid0(VALU_DEP_1)
	v_lshl_add_u64 v[40:41], v[40:41], 3, v[22:23]
	flat_load_b64 v[42:43], v[40:41]
	s_branch .LBB514_8
.LBB514_15:                             ;   in Loop: Header=BB514_6 Depth=1
	s_wait_loadcnt 0x0
	v_add_nc_u64_e32 v[18:19], s[28:29], v[18:19]
	s_delay_alu instid0(VALU_DEP_1)
	v_lshl_add_u64 v[20:21], v[10:11], 3, v[18:19]
	s_wait_xcnt 0x0
	s_and_saveexec_b32 s30, s35
	s_cbranch_execz .LBB514_20
; %bb.16:                               ;   in Loop: Header=BB514_6 Depth=1
	v_mov_b64_e32 v[22:23], s[4:5]
	v_mov_b64_e32 v[40:41], s[24:25]
	s_and_b32 vcc_lo, exec_lo, s34
	s_mov_b32 s31, -1
	s_delay_alu instid0(VALU_DEP_2) | instskip(NEXT) | instid1(VALU_DEP_1)
	v_pk_mul_f32 v[22:23], v[38:39], v[22:23] op_sel_hi:[0,1]
	v_pk_fma_f32 v[38:39], v[36:37], v[40:41], v[22:23] op_sel_hi:[0,1,1]
	v_pk_fma_f32 v[22:23], v[36:37], v[40:41], v[22:23] neg_lo:[0,0,1] neg_hi:[0,0,1]
	v_lshl_add_u64 v[36:37], v[8:9], 3, v[20:21]
	s_delay_alu instid0(VALU_DEP_3)
	v_mov_b32_e32 v23, v39
	s_cbranch_vccz .LBB514_18
; %bb.17:                               ;   in Loop: Header=BB514_6 Depth=1
	flat_load_b64 v[38:39], v[36:37]
	v_mov_b64_e32 v[40:41], s[6:7]
	v_mov_b64_e32 v[42:43], s[2:3]
	s_mov_b32 s31, 0
	s_wait_loadcnt_dscnt 0x0
	s_delay_alu instid0(VALU_DEP_2) | instskip(NEXT) | instid1(VALU_DEP_1)
	v_pk_mul_f32 v[40:41], v[38:39], v[40:41]
	v_pk_fma_f32 v[44:45], v[38:39], v[42:43], v[40:41] op_sel:[0,0,1] op_sel_hi:[1,1,0]
	v_pk_fma_f32 v[38:39], v[38:39], v[42:43], v[40:41] op_sel:[0,0,1] op_sel_hi:[1,1,0] neg_lo:[0,0,1] neg_hi:[0,0,1]
	s_delay_alu instid0(VALU_DEP_2) | instskip(NEXT) | instid1(VALU_DEP_1)
	v_mov_b32_e32 v39, v45
	v_pk_add_f32 v[38:39], v[22:23], v[38:39]
	flat_store_b64 v[36:37], v[38:39]
.LBB514_18:                             ;   in Loop: Header=BB514_6 Depth=1
	s_and_not1_b32 vcc_lo, exec_lo, s31
	s_cbranch_vccnz .LBB514_20
; %bb.19:                               ;   in Loop: Header=BB514_6 Depth=1
	flat_store_b64 v[36:37], v[22:23]
.LBB514_20:                             ;   in Loop: Header=BB514_6 Depth=1
	s_wait_xcnt 0x0
	s_or_b32 exec_lo, exec_lo, s30
	s_and_saveexec_b32 s30, s36
	s_cbranch_execz .LBB514_25
; %bb.21:                               ;   in Loop: Header=BB514_6 Depth=1
	v_mov_b64_e32 v[22:23], s[4:5]
	v_mov_b64_e32 v[36:37], s[24:25]
	v_lshl_add_u64 v[20:21], v[14:15], 3, v[20:21]
	s_and_not1_b32 vcc_lo, exec_lo, s34
	s_mov_b32 s31, -1
	s_delay_alu instid0(VALU_DEP_3) | instskip(NEXT) | instid1(VALU_DEP_1)
	v_pk_mul_f32 v[22:23], v[34:35], v[22:23] op_sel_hi:[0,1]
	v_pk_fma_f32 v[34:35], v[32:33], v[36:37], v[22:23] op_sel_hi:[0,1,1]
	v_pk_fma_f32 v[22:23], v[32:33], v[36:37], v[22:23] neg_lo:[0,0,1] neg_hi:[0,0,1]
	s_delay_alu instid0(VALU_DEP_2)
	v_mov_b32_e32 v23, v35
	s_cbranch_vccnz .LBB514_23
; %bb.22:                               ;   in Loop: Header=BB514_6 Depth=1
	flat_load_b64 v[32:33], v[20:21]
	v_mov_b64_e32 v[34:35], s[6:7]
	v_mov_b64_e32 v[36:37], s[2:3]
	s_mov_b32 s31, 0
	s_wait_loadcnt_dscnt 0x0
	s_delay_alu instid0(VALU_DEP_2) | instskip(NEXT) | instid1(VALU_DEP_1)
	v_pk_mul_f32 v[34:35], v[32:33], v[34:35]
	v_pk_fma_f32 v[38:39], v[32:33], v[36:37], v[34:35] op_sel:[0,0,1] op_sel_hi:[1,1,0]
	v_pk_fma_f32 v[32:33], v[32:33], v[36:37], v[34:35] op_sel:[0,0,1] op_sel_hi:[1,1,0] neg_lo:[0,0,1] neg_hi:[0,0,1]
	s_delay_alu instid0(VALU_DEP_2) | instskip(NEXT) | instid1(VALU_DEP_1)
	v_mov_b32_e32 v33, v39
	v_pk_add_f32 v[32:33], v[22:23], v[32:33]
	flat_store_b64 v[20:21], v[32:33]
.LBB514_23:                             ;   in Loop: Header=BB514_6 Depth=1
	s_and_not1_b32 vcc_lo, exec_lo, s31
	s_cbranch_vccnz .LBB514_25
; %bb.24:                               ;   in Loop: Header=BB514_6 Depth=1
	flat_store_b64 v[20:21], v[22:23]
.LBB514_25:                             ;   in Loop: Header=BB514_6 Depth=1
	s_wait_xcnt 0x0
	s_or_b32 exec_lo, exec_lo, s30
	v_lshl_add_u64 v[18:19], v[12:13], 3, v[18:19]
	s_and_saveexec_b32 s30, s37
	s_cbranch_execz .LBB514_30
; %bb.26:                               ;   in Loop: Header=BB514_6 Depth=1
	v_mov_b64_e32 v[20:21], s[4:5]
	v_mov_b64_e32 v[22:23], s[24:25]
	s_and_not1_b32 vcc_lo, exec_lo, s34
	s_mov_b32 s31, -1
	s_delay_alu instid0(VALU_DEP_2) | instskip(NEXT) | instid1(VALU_DEP_1)
	v_pk_mul_f32 v[20:21], v[30:31], v[20:21] op_sel_hi:[0,1]
	v_pk_fma_f32 v[30:31], v[28:29], v[22:23], v[20:21] op_sel_hi:[0,1,1]
	v_pk_fma_f32 v[20:21], v[28:29], v[22:23], v[20:21] neg_lo:[0,0,1] neg_hi:[0,0,1]
	v_lshl_add_u64 v[22:23], v[8:9], 3, v[18:19]
	s_delay_alu instid0(VALU_DEP_3)
	v_mov_b32_e32 v21, v31
	s_cbranch_vccnz .LBB514_28
; %bb.27:                               ;   in Loop: Header=BB514_6 Depth=1
	flat_load_b64 v[28:29], v[22:23]
	v_mov_b64_e32 v[30:31], s[6:7]
	v_mov_b64_e32 v[32:33], s[2:3]
	s_mov_b32 s31, 0
	s_wait_loadcnt_dscnt 0x0
	s_delay_alu instid0(VALU_DEP_2) | instskip(NEXT) | instid1(VALU_DEP_1)
	v_pk_mul_f32 v[30:31], v[28:29], v[30:31]
	v_pk_fma_f32 v[34:35], v[28:29], v[32:33], v[30:31] op_sel:[0,0,1] op_sel_hi:[1,1,0]
	v_pk_fma_f32 v[28:29], v[28:29], v[32:33], v[30:31] op_sel:[0,0,1] op_sel_hi:[1,1,0] neg_lo:[0,0,1] neg_hi:[0,0,1]
	s_delay_alu instid0(VALU_DEP_2) | instskip(NEXT) | instid1(VALU_DEP_1)
	v_mov_b32_e32 v29, v35
	v_pk_add_f32 v[28:29], v[20:21], v[28:29]
	flat_store_b64 v[22:23], v[28:29]
.LBB514_28:                             ;   in Loop: Header=BB514_6 Depth=1
	s_and_not1_b32 vcc_lo, exec_lo, s31
	s_cbranch_vccnz .LBB514_30
; %bb.29:                               ;   in Loop: Header=BB514_6 Depth=1
	flat_store_b64 v[22:23], v[20:21]
.LBB514_30:                             ;   in Loop: Header=BB514_6 Depth=1
	s_wait_xcnt 0x0
	s_or_b32 exec_lo, exec_lo, s30
	s_and_saveexec_b32 s30, s38
	s_cbranch_execz .LBB514_5
; %bb.31:                               ;   in Loop: Header=BB514_6 Depth=1
	v_mov_b64_e32 v[20:21], s[4:5]
	v_mov_b64_e32 v[22:23], s[24:25]
	v_lshl_add_u64 v[18:19], v[14:15], 3, v[18:19]
	s_and_not1_b32 vcc_lo, exec_lo, s34
	s_mov_b32 s31, -1
	s_delay_alu instid0(VALU_DEP_3) | instskip(NEXT) | instid1(VALU_DEP_1)
	v_pk_mul_f32 v[20:21], v[26:27], v[20:21] op_sel_hi:[0,1]
	v_pk_fma_f32 v[28:29], v[24:25], v[22:23], v[20:21] op_sel_hi:[0,1,1]
	v_pk_fma_f32 v[20:21], v[24:25], v[22:23], v[20:21] neg_lo:[0,0,1] neg_hi:[0,0,1]
	s_delay_alu instid0(VALU_DEP_2)
	v_mov_b32_e32 v21, v29
	s_cbranch_vccnz .LBB514_33
; %bb.32:                               ;   in Loop: Header=BB514_6 Depth=1
	flat_load_b64 v[22:23], v[18:19]
	v_mov_b64_e32 v[28:29], s[6:7]
	v_mov_b64_e32 v[30:31], s[2:3]
	s_mov_b32 s31, 0
	s_wait_loadcnt_dscnt 0x0
	s_delay_alu instid0(VALU_DEP_2) | instskip(NEXT) | instid1(VALU_DEP_1)
	v_pk_mul_f32 v[28:29], v[22:23], v[28:29]
	v_pk_fma_f32 v[32:33], v[22:23], v[30:31], v[28:29] op_sel:[0,0,1] op_sel_hi:[1,1,0]
	v_pk_fma_f32 v[22:23], v[22:23], v[30:31], v[28:29] op_sel:[0,0,1] op_sel_hi:[1,1,0] neg_lo:[0,0,1] neg_hi:[0,0,1]
	s_delay_alu instid0(VALU_DEP_2) | instskip(NEXT) | instid1(VALU_DEP_1)
	v_mov_b32_e32 v23, v33
	v_pk_add_f32 v[22:23], v[20:21], v[22:23]
	flat_store_b64 v[18:19], v[22:23]
.LBB514_33:                             ;   in Loop: Header=BB514_6 Depth=1
	s_and_not1_b32 vcc_lo, exec_lo, s31
	s_cbranch_vccnz .LBB514_5
; %bb.34:                               ;   in Loop: Header=BB514_6 Depth=1
	flat_store_b64 v[18:19], v[20:21]
	s_branch .LBB514_5
.LBB514_35:
	s_sendmsg sendmsg(MSG_DEALLOC_VGPRS)
	s_endpgm
	.section	.rodata,"a",@progbits
	.p2align	6, 0x0
	.amdhsa_kernel _ZL29rocblas_internal_gemmt_kernelIlLi16ELi32ELi8ELc78ELc84ELc76ELb0ELb0E19rocblas_complex_numIfEPKS1_PKS3_PKPS1_EviT_T9_T10_S9_lSB_S9_lSA_T11_S9_li
		.amdhsa_group_segment_fixed_size 4096
		.amdhsa_private_segment_fixed_size 0
		.amdhsa_kernarg_size 108
		.amdhsa_user_sgpr_count 2
		.amdhsa_user_sgpr_dispatch_ptr 0
		.amdhsa_user_sgpr_queue_ptr 0
		.amdhsa_user_sgpr_kernarg_segment_ptr 1
		.amdhsa_user_sgpr_dispatch_id 0
		.amdhsa_user_sgpr_kernarg_preload_length 0
		.amdhsa_user_sgpr_kernarg_preload_offset 0
		.amdhsa_user_sgpr_private_segment_size 0
		.amdhsa_wavefront_size32 1
		.amdhsa_uses_dynamic_stack 0
		.amdhsa_enable_private_segment 0
		.amdhsa_system_sgpr_workgroup_id_x 1
		.amdhsa_system_sgpr_workgroup_id_y 1
		.amdhsa_system_sgpr_workgroup_id_z 1
		.amdhsa_system_sgpr_workgroup_info 0
		.amdhsa_system_vgpr_workitem_id 1
		.amdhsa_next_free_vgpr 72
		.amdhsa_next_free_sgpr 42
		.amdhsa_named_barrier_count 0
		.amdhsa_reserve_vcc 1
		.amdhsa_float_round_mode_32 0
		.amdhsa_float_round_mode_16_64 0
		.amdhsa_float_denorm_mode_32 3
		.amdhsa_float_denorm_mode_16_64 3
		.amdhsa_fp16_overflow 0
		.amdhsa_memory_ordered 1
		.amdhsa_forward_progress 1
		.amdhsa_inst_pref_size 26
		.amdhsa_round_robin_scheduling 0
		.amdhsa_exception_fp_ieee_invalid_op 0
		.amdhsa_exception_fp_denorm_src 0
		.amdhsa_exception_fp_ieee_div_zero 0
		.amdhsa_exception_fp_ieee_overflow 0
		.amdhsa_exception_fp_ieee_underflow 0
		.amdhsa_exception_fp_ieee_inexact 0
		.amdhsa_exception_int_div_zero 0
	.end_amdhsa_kernel
	.section	.text._ZL29rocblas_internal_gemmt_kernelIlLi16ELi32ELi8ELc78ELc84ELc76ELb0ELb0E19rocblas_complex_numIfEPKS1_PKS3_PKPS1_EviT_T9_T10_S9_lSB_S9_lSA_T11_S9_li,"axG",@progbits,_ZL29rocblas_internal_gemmt_kernelIlLi16ELi32ELi8ELc78ELc84ELc76ELb0ELb0E19rocblas_complex_numIfEPKS1_PKS3_PKPS1_EviT_T9_T10_S9_lSB_S9_lSA_T11_S9_li,comdat
.Lfunc_end514:
	.size	_ZL29rocblas_internal_gemmt_kernelIlLi16ELi32ELi8ELc78ELc84ELc76ELb0ELb0E19rocblas_complex_numIfEPKS1_PKS3_PKPS1_EviT_T9_T10_S9_lSB_S9_lSA_T11_S9_li, .Lfunc_end514-_ZL29rocblas_internal_gemmt_kernelIlLi16ELi32ELi8ELc78ELc84ELc76ELb0ELb0E19rocblas_complex_numIfEPKS1_PKS3_PKPS1_EviT_T9_T10_S9_lSB_S9_lSA_T11_S9_li
                                        ; -- End function
	.set _ZL29rocblas_internal_gemmt_kernelIlLi16ELi32ELi8ELc78ELc84ELc76ELb0ELb0E19rocblas_complex_numIfEPKS1_PKS3_PKPS1_EviT_T9_T10_S9_lSB_S9_lSA_T11_S9_li.num_vgpr, 72
	.set _ZL29rocblas_internal_gemmt_kernelIlLi16ELi32ELi8ELc78ELc84ELc76ELb0ELb0E19rocblas_complex_numIfEPKS1_PKS3_PKPS1_EviT_T9_T10_S9_lSB_S9_lSA_T11_S9_li.num_agpr, 0
	.set _ZL29rocblas_internal_gemmt_kernelIlLi16ELi32ELi8ELc78ELc84ELc76ELb0ELb0E19rocblas_complex_numIfEPKS1_PKS3_PKPS1_EviT_T9_T10_S9_lSB_S9_lSA_T11_S9_li.numbered_sgpr, 42
	.set _ZL29rocblas_internal_gemmt_kernelIlLi16ELi32ELi8ELc78ELc84ELc76ELb0ELb0E19rocblas_complex_numIfEPKS1_PKS3_PKPS1_EviT_T9_T10_S9_lSB_S9_lSA_T11_S9_li.num_named_barrier, 0
	.set _ZL29rocblas_internal_gemmt_kernelIlLi16ELi32ELi8ELc78ELc84ELc76ELb0ELb0E19rocblas_complex_numIfEPKS1_PKS3_PKPS1_EviT_T9_T10_S9_lSB_S9_lSA_T11_S9_li.private_seg_size, 0
	.set _ZL29rocblas_internal_gemmt_kernelIlLi16ELi32ELi8ELc78ELc84ELc76ELb0ELb0E19rocblas_complex_numIfEPKS1_PKS3_PKPS1_EviT_T9_T10_S9_lSB_S9_lSA_T11_S9_li.uses_vcc, 1
	.set _ZL29rocblas_internal_gemmt_kernelIlLi16ELi32ELi8ELc78ELc84ELc76ELb0ELb0E19rocblas_complex_numIfEPKS1_PKS3_PKPS1_EviT_T9_T10_S9_lSB_S9_lSA_T11_S9_li.uses_flat_scratch, 0
	.set _ZL29rocblas_internal_gemmt_kernelIlLi16ELi32ELi8ELc78ELc84ELc76ELb0ELb0E19rocblas_complex_numIfEPKS1_PKS3_PKPS1_EviT_T9_T10_S9_lSB_S9_lSA_T11_S9_li.has_dyn_sized_stack, 0
	.set _ZL29rocblas_internal_gemmt_kernelIlLi16ELi32ELi8ELc78ELc84ELc76ELb0ELb0E19rocblas_complex_numIfEPKS1_PKS3_PKPS1_EviT_T9_T10_S9_lSB_S9_lSA_T11_S9_li.has_recursion, 0
	.set _ZL29rocblas_internal_gemmt_kernelIlLi16ELi32ELi8ELc78ELc84ELc76ELb0ELb0E19rocblas_complex_numIfEPKS1_PKS3_PKPS1_EviT_T9_T10_S9_lSB_S9_lSA_T11_S9_li.has_indirect_call, 0
	.section	.AMDGPU.csdata,"",@progbits
; Kernel info:
; codeLenInByte = 3212
; TotalNumSgprs: 44
; NumVgprs: 72
; ScratchSize: 0
; MemoryBound: 0
; FloatMode: 240
; IeeeMode: 1
; LDSByteSize: 4096 bytes/workgroup (compile time only)
; SGPRBlocks: 0
; VGPRBlocks: 4
; NumSGPRsForWavesPerEU: 44
; NumVGPRsForWavesPerEU: 72
; NamedBarCnt: 0
; Occupancy: 12
; WaveLimiterHint : 1
; COMPUTE_PGM_RSRC2:SCRATCH_EN: 0
; COMPUTE_PGM_RSRC2:USER_SGPR: 2
; COMPUTE_PGM_RSRC2:TRAP_HANDLER: 0
; COMPUTE_PGM_RSRC2:TGID_X_EN: 1
; COMPUTE_PGM_RSRC2:TGID_Y_EN: 1
; COMPUTE_PGM_RSRC2:TGID_Z_EN: 1
; COMPUTE_PGM_RSRC2:TIDIG_COMP_CNT: 1
	.section	.text._ZL29rocblas_internal_gemmt_kernelIlLi16ELi32ELi8ELc78ELc67ELc76ELb0ELb1E19rocblas_complex_numIfEPKS1_PKS3_PKPS1_EviT_T9_T10_S9_lSB_S9_lSA_T11_S9_li,"axG",@progbits,_ZL29rocblas_internal_gemmt_kernelIlLi16ELi32ELi8ELc78ELc67ELc76ELb0ELb1E19rocblas_complex_numIfEPKS1_PKS3_PKPS1_EviT_T9_T10_S9_lSB_S9_lSA_T11_S9_li,comdat
	.globl	_ZL29rocblas_internal_gemmt_kernelIlLi16ELi32ELi8ELc78ELc67ELc76ELb0ELb1E19rocblas_complex_numIfEPKS1_PKS3_PKPS1_EviT_T9_T10_S9_lSB_S9_lSA_T11_S9_li ; -- Begin function _ZL29rocblas_internal_gemmt_kernelIlLi16ELi32ELi8ELc78ELc67ELc76ELb0ELb1E19rocblas_complex_numIfEPKS1_PKS3_PKPS1_EviT_T9_T10_S9_lSB_S9_lSA_T11_S9_li
	.p2align	8
	.type	_ZL29rocblas_internal_gemmt_kernelIlLi16ELi32ELi8ELc78ELc67ELc76ELb0ELb1E19rocblas_complex_numIfEPKS1_PKS3_PKPS1_EviT_T9_T10_S9_lSB_S9_lSA_T11_S9_li,@function
_ZL29rocblas_internal_gemmt_kernelIlLi16ELi32ELi8ELc78ELc67ELc76ELb0ELb1E19rocblas_complex_numIfEPKS1_PKS3_PKPS1_EviT_T9_T10_S9_lSB_S9_lSA_T11_S9_li: ; @_ZL29rocblas_internal_gemmt_kernelIlLi16ELi32ELi8ELc78ELc67ELc76ELb0ELb1E19rocblas_complex_numIfEPKS1_PKS3_PKPS1_EviT_T9_T10_S9_lSB_S9_lSA_T11_S9_li
; %bb.0:
	s_load_b256 s[24:31], s[0:1], 0x48
	s_wait_kmcnt 0x0
	s_load_b64 s[6:7], s[24:25], 0x0
	s_load_b512 s[8:23], s[0:1], 0x8
	s_wait_kmcnt 0x0
	s_cmp_neq_f32 s6, 1.0
	s_load_b64 s[24:25], s[10:11], 0x0
	s_cselect_b32 s3, -1, 0
	s_and_b32 s4, s7, 0x7fffffff
	s_delay_alu instid0(SALU_CYCLE_1) | instskip(SKIP_3) | instid1(SALU_CYCLE_1)
	s_cmp_eq_u32 s4, 0
	s_cselect_b32 s2, -1, 0
	s_cmp_lg_u32 s4, 0
	s_cselect_b32 s4, -1, 0
	s_or_b32 s3, s3, s4
	s_delay_alu instid0(SALU_CYCLE_1)
	s_and_b32 vcc_lo, exec_lo, s3
	s_cbranch_vccnz .LBB515_2
; %bb.1:
	s_cmp_lg_u64 s[8:9], 0
	s_cselect_b32 s3, -1, 0
	s_wait_kmcnt 0x0
	s_cmp_neq_f32 s24, 0
	s_cselect_b32 s4, -1, 0
	s_cmp_neq_f32 s25, 0
	s_cselect_b32 s5, -1, 0
	s_delay_alu instid0(SALU_CYCLE_1) | instskip(NEXT) | instid1(SALU_CYCLE_1)
	s_or_b32 s4, s4, s5
	s_and_b32 s3, s3, s4
.LBB515_2:
	s_delay_alu instid0(SALU_CYCLE_1)
	s_and_not1_b32 vcc_lo, exec_lo, s3
	s_cbranch_vccnz .LBB515_37
; %bb.3:
	s_load_b32 s33, s[0:1], 0x68
	s_bfe_u32 s3, ttmp6, 0x40014
	s_lshr_b32 s4, ttmp7, 16
	s_add_co_i32 s3, s3, 1
	s_wait_xcnt 0x0
	s_bfe_u32 s10, ttmp6, 0x40008
	s_mul_i32 s5, s4, s3
	s_getreg_b32 s3, hwreg(HW_REG_IB_STS2, 6, 4)
	s_add_co_i32 s10, s10, s5
	s_cmp_eq_u32 s3, 0
	s_mov_b32 s11, 0
	s_cselect_b32 s10, s4, s10
	s_wait_kmcnt 0x0
	s_cmp_ge_u32 s10, s33
	s_cbranch_scc1 .LBB515_37
; %bb.4:
	v_and_b32_e32 v9, 0x3ff, v0
	v_bfe_u32 v15, v0, 10, 10
	s_bfe_u32 s4, ttmp6, 0x4000c
	s_bfe_u32 s34, ttmp6, 0x40010
	s_add_co_i32 s4, s4, 1
	s_and_b32 s35, ttmp7, 0xffff
	s_add_co_i32 s34, s34, 1
	v_lshl_add_u32 v1, v15, 4, v9
	s_and_b32 s5, ttmp6, 15
	s_mul_i32 s4, ttmp9, s4
	s_mul_i32 s34, s35, s34
	s_bfe_u32 s36, ttmp6, 0x40004
	s_add_co_i32 s5, s5, s4
	s_add_co_i32 s36, s36, s34
	s_cmp_eq_u32 s3, 0
	v_dual_lshrrev_b32 v3, 3, v1 :: v_dual_bitop2_b32 v5, 31, v1 bitop3:0x40
	v_dual_lshrrev_b32 v2, 5, v1 :: v_dual_bitop2_b32 v0, 7, v0 bitop3:0x40
	s_load_b32 s4, s[0:1], 0x0
	s_wait_xcnt 0x0
	s_cselect_b32 s0, ttmp9, s5
	s_cselect_b32 s1, s35, s36
	s_lshl_b32 s3, s0, 5
	s_lshl_b32 s0, s1, 5
	s_delay_alu instid0(SALU_CYCLE_1) | instskip(SKIP_3) | instid1(VALU_DEP_2)
	v_dual_add_nc_u32 v6, s0, v3 :: v_dual_bitop2_b32 v4, s3, v5 bitop3:0x54
	v_dual_lshlrev_b32 v1, 3, v0 :: v_dual_lshlrev_b32 v5, 3, v5
	v_dual_add_nc_u32 v16, s0, v15 :: v_dual_add_nc_u32 v8, s3, v9
	s_cmp_neq_f32 s24, 0
	v_lshl_or_b32 v3, v3, 6, v1
	s_delay_alu instid0(VALU_DEP_3) | instskip(SKIP_4) | instid1(VALU_DEP_1)
	v_lshl_or_b32 v1, v2, 8, v5
	v_ashrrev_i32_e32 v5, 31, v4
	v_dual_add_nc_u32 v18, 16, v16 :: v_dual_ashrrev_i32 v17, 31, v16
	s_cselect_b32 s1, -1, 0
	s_cmp_neq_f32 s25, 0
	v_dual_add_nc_u32 v14, 16, v8 :: v_dual_ashrrev_i32 v19, 31, v18
	s_delay_alu instid0(VALU_DEP_2)
	v_mul_u64_e32 v[10:11], s[28:29], v[16:17]
	s_cselect_b32 s5, -1, 0
	v_cmp_gt_i64_e64 s39, s[8:9], 0
	s_or_b32 s38, s1, s5
	v_mul_u64_e32 v[12:13], s[28:29], v[18:19]
	s_cmp_neq_f32 s6, 0
	v_cmp_le_i32_e64 s1, v16, v8
	s_wait_kmcnt 0x0
	v_cmp_gt_i32_e64 s0, s4, v4
	v_cmp_gt_i32_e32 vcc_lo, s4, v6
	s_cselect_b32 s3, -1, 0
	s_xor_b32 s5, s2, -1
	v_cmp_gt_i32_e64 s2, s4, v8
	v_dual_ashrrev_i32 v7, 31, v6 :: v_dual_lshlrev_b32 v25, 3, v9
	s_or_b32 s34, s3, s5
	v_ashrrev_i32_e32 v9, 31, v8
	v_cmp_le_i32_e64 s3, v16, v14
	v_cmp_gt_i32_e64 s4, s4, v14
	s_and_b32 s35, s1, s2
	v_cmp_le_i32_e64 s1, v18, v8
	v_cmp_le_i32_e64 s5, v18, v14
	v_add_nc_u32_e32 v3, 0x800, v3
	v_lshl_add_u32 v27, v15, 6, 0x800
	v_dual_ashrrev_i32 v15, 31, v14 :: v_dual_mov_b32 v17, 0
	s_and_b32 s36, s3, s4
	s_and_b32 s1, s1, s2
	;; [unrolled: 1-line block ×3, first 2 shown]
	s_mov_b32 s2, s6
	s_mov_b32 s3, s6
	;; [unrolled: 1-line block ×5, first 2 shown]
	s_and_b32 s38, s38, s39
	s_lshl_b64 s[22:23], s[22:23], 3
	s_lshl_b64 s[16:17], s[16:17], 3
	s_xor_b32 s39, vcc_lo, -1
	s_lshl_b64 s[28:29], s[30:31], 3
	s_branch .LBB515_6
.LBB515_5:                              ;   in Loop: Header=BB515_6 Depth=1
	s_wait_xcnt 0x0
	s_or_b32 exec_lo, exec_lo, s30
	s_add_co_i32 s10, s10, 0x10000
	s_delay_alu instid0(SALU_CYCLE_1)
	s_cmp_lt_u32 s10, s33
	s_cbranch_scc0 .LBB515_37
.LBB515_6:                              ; =>This Loop Header: Depth=1
                                        ;     Child Loop BB515_9 Depth 2
	v_dual_mov_b32 v16, s10 :: v_dual_mov_b32 v36, v17
	v_dual_mov_b32 v38, v17 :: v_dual_mov_b32 v32, v17
	;; [unrolled: 1-line block ×3, first 2 shown]
	global_load_b64 v[18:19], v16, s[26:27] scale_offset
	v_dual_mov_b32 v30, v17 :: v_dual_mov_b32 v24, v17
	v_mov_b32_e32 v26, v17
	s_and_not1_b32 vcc_lo, exec_lo, s38
	s_cbranch_vccnz .LBB515_17
; %bb.7:                                ;   in Loop: Header=BB515_6 Depth=1
	s_lshl_b64 s[30:31], s[10:11], 3
	v_dual_mov_b32 v26, 0 :: v_dual_mov_b32 v24, 0
	s_add_nc_u64 s[40:41], s[12:13], s[30:31]
	s_add_nc_u64 s[30:31], s[18:19], s[30:31]
	s_clause 0x1
	global_load_b64 v[20:21], v17, s[40:41]
	global_load_b64 v[22:23], v17, s[30:31]
	v_dual_mov_b32 v30, 0 :: v_dual_mov_b32 v28, 0
	v_dual_mov_b32 v34, 0 :: v_dual_mov_b32 v32, 0
	;; [unrolled: 1-line block ×3, first 2 shown]
	s_wait_xcnt 0x0
	s_mov_b64 s[30:31], 0
	s_wait_loadcnt 0x1
	v_add_nc_u64_e32 v[20:21], s[16:17], v[20:21]
	s_wait_loadcnt 0x0
	v_add_nc_u64_e32 v[22:23], s[22:23], v[22:23]
	s_delay_alu instid0(VALU_DEP_2) | instskip(NEXT) | instid1(VALU_DEP_2)
	v_lshl_add_u64 v[20:21], v[4:5], 3, v[20:21]
	v_lshl_add_u64 v[22:23], v[6:7], 3, v[22:23]
	s_branch .LBB515_9
.LBB515_8:                              ;   in Loop: Header=BB515_9 Depth=2
	s_wait_xcnt 0x0
	s_or_b32 exec_lo, exec_lo, s40
	ds_store_b32 v3, v29 offset:4
	s_wait_dscnt 0x0
	s_barrier_signal -1
	s_barrier_wait -1
	ds_load_b128 v[40:43], v27
	ds_load_2addr_b64 v[44:47], v25 offset1:16
	ds_load_b128 v[48:51], v27 offset:1024
	ds_load_b128 v[52:55], v27 offset:16
	;; [unrolled: 1-line block ×4, first 2 shown]
	ds_load_2addr_b64 v[64:67], v25 offset0:32 offset1:48
	ds_load_b128 v[68:71], v27 offset:1040
	s_add_nc_u64 s[30:31], s[30:31], 8
	s_delay_alu instid0(SALU_CYCLE_1)
	v_cmp_gt_i64_e64 s40, s[8:9], s[30:31]
	s_and_b32 vcc_lo, exec_lo, s40
	s_wait_dscnt 0x6
	v_dual_mul_f32 v16, v41, v45 :: v_dual_mul_f32 v29, v40, v45
	v_dual_mul_f32 v31, v41, v47 :: v_dual_mul_f32 v33, v40, v47
	s_wait_dscnt 0x5
	v_dual_mul_f32 v35, v49, v45 :: v_dual_mul_f32 v37, v48, v45
	v_dual_mul_f32 v39, v49, v47 :: v_dual_mul_f32 v45, v48, v47
	v_dual_fma_f32 v16, v40, v44, -v16 :: v_dual_fmac_f32 v29, v41, v44
	v_dual_fma_f32 v31, v40, v46, -v31 :: v_dual_fmac_f32 v33, v41, v46
	s_delay_alu instid0(VALU_DEP_4) | instskip(NEXT) | instid1(VALU_DEP_3)
	v_dual_fma_f32 v35, v48, v44, -v35 :: v_dual_fmac_f32 v37, v49, v44
	v_dual_add_f32 v16, v36, v16 :: v_dual_add_f32 v36, v38, v29
	v_fma_f32 v29, v48, v46, -v39
	s_delay_alu instid0(VALU_DEP_4) | instskip(NEXT) | instid1(VALU_DEP_4)
	v_dual_add_f32 v32, v32, v31 :: v_dual_add_f32 v33, v34, v33
	v_dual_add_f32 v34, v28, v35 :: v_dual_add_f32 v35, v30, v37
	s_wait_dscnt 0x1
	v_dual_mul_f32 v37, v43, v65 :: v_dual_fmac_f32 v45, v49, v46
	v_add_f32_e32 v24, v24, v29
	ds_load_2addr_b64 v[28:31], v25 offset0:64 offset1:80
	v_dual_mul_f32 v38, v42, v65 :: v_dual_fma_f32 v37, v42, v64, -v37
	v_dual_mul_f32 v39, v43, v67 :: v_dual_add_f32 v26, v26, v45
	s_delay_alu instid0(VALU_DEP_2) | instskip(NEXT) | instid1(VALU_DEP_2)
	v_dual_mul_f32 v40, v42, v67 :: v_dual_fmac_f32 v38, v43, v64
	v_dual_add_f32 v16, v16, v37 :: v_dual_fma_f32 v37, v42, v66, -v39
	v_mul_f32_e32 v39, v51, v65
	s_delay_alu instid0(VALU_DEP_3) | instskip(NEXT) | instid1(VALU_DEP_4)
	v_fmac_f32_e32 v40, v43, v66
	v_dual_add_f32 v36, v36, v38 :: v_dual_mul_f32 v38, v50, v65
	s_delay_alu instid0(VALU_DEP_3) | instskip(NEXT) | instid1(VALU_DEP_3)
	v_dual_add_f32 v37, v32, v37 :: v_dual_fma_f32 v32, v50, v64, -v39
	v_dual_mul_f32 v39, v51, v67 :: v_dual_add_f32 v40, v33, v40
	s_delay_alu instid0(VALU_DEP_3) | instskip(SKIP_1) | instid1(VALU_DEP_3)
	v_dual_fmac_f32 v38, v51, v64 :: v_dual_mul_f32 v41, v50, v67
	s_wait_dscnt 0x0
	v_dual_add_f32 v42, v34, v32 :: v_dual_mul_f32 v33, v53, v29
	s_delay_alu instid0(VALU_DEP_3) | instskip(NEXT) | instid1(VALU_DEP_3)
	v_fma_f32 v32, v50, v66, -v39
	v_dual_add_f32 v38, v35, v38 :: v_dual_mul_f32 v39, v52, v29
	v_fmac_f32_e32 v41, v51, v66
	s_delay_alu instid0(VALU_DEP_4) | instskip(NEXT) | instid1(VALU_DEP_4)
	v_fma_f32 v43, v52, v28, -v33
	v_dual_add_f32 v24, v24, v32 :: v_dual_mul_f32 v44, v53, v31
	ds_load_2addr_b64 v[32:35], v25 offset0:96 offset1:112
	v_dual_fmac_f32 v39, v53, v28 :: v_dual_add_f32 v26, v26, v41
	v_add_f32_e32 v16, v16, v43
	v_dual_mul_f32 v41, v52, v31 :: v_dual_fma_f32 v43, v52, v30, -v44
	s_delay_alu instid0(VALU_DEP_3) | instskip(NEXT) | instid1(VALU_DEP_2)
	v_dual_add_f32 v36, v36, v39 :: v_dual_mul_f32 v39, v69, v29
	v_dual_mul_f32 v29, v68, v29 :: v_dual_fmac_f32 v41, v53, v30
	s_delay_alu instid0(VALU_DEP_3) | instskip(NEXT) | instid1(VALU_DEP_3)
	v_add_f32_e32 v37, v37, v43
	v_dual_mul_f32 v43, v69, v31 :: v_dual_fma_f32 v39, v68, v28, -v39
	s_delay_alu instid0(VALU_DEP_3) | instskip(NEXT) | instid1(VALU_DEP_4)
	v_dual_fmac_f32 v29, v69, v28 :: v_dual_mul_f32 v44, v68, v31
	v_add_f32_e32 v40, v40, v41
	s_delay_alu instid0(VALU_DEP_3) | instskip(NEXT) | instid1(VALU_DEP_3)
	v_dual_fma_f32 v28, v68, v30, -v43 :: v_dual_add_f32 v41, v42, v39
	v_dual_add_f32 v42, v38, v29 :: v_dual_fmac_f32 v44, v69, v30
	s_wait_dscnt 0x0
	s_delay_alu instid0(VALU_DEP_2) | instskip(SKIP_2) | instid1(VALU_DEP_1)
	v_dual_mul_f32 v38, v55, v33 :: v_dual_add_f32 v24, v24, v28
	ds_load_2addr_b64 v[28:31], v25 offset0:128 offset1:144
	v_dual_mul_f32 v39, v54, v33 :: v_dual_mul_f32 v43, v55, v35
	v_dual_fma_f32 v38, v54, v32, -v38 :: v_dual_fmac_f32 v39, v55, v32
	s_delay_alu instid0(VALU_DEP_1) | instskip(NEXT) | instid1(VALU_DEP_3)
	v_dual_add_f32 v26, v26, v44 :: v_dual_add_f32 v16, v16, v38
	v_dual_mul_f32 v44, v54, v35 :: v_dual_fma_f32 v43, v54, v34, -v43
	s_delay_alu instid0(VALU_DEP_3) | instskip(NEXT) | instid1(VALU_DEP_2)
	v_dual_mul_f32 v38, v71, v33 :: v_dual_add_f32 v45, v36, v39
	v_dual_mul_f32 v33, v70, v33 :: v_dual_fmac_f32 v44, v55, v34
	s_delay_alu instid0(VALU_DEP_2)
	v_dual_add_f32 v46, v37, v43 :: v_dual_fma_f32 v43, v70, v32, -v38
	v_mul_f32_e32 v47, v71, v35
	ds_load_b128 v[36:39], v27 offset:1056
	v_add_f32_e32 v44, v40, v44
	v_dual_fmac_f32 v33, v71, v32 :: v_dual_mul_f32 v40, v70, v35
	v_dual_fma_f32 v32, v70, v34, -v47 :: v_dual_add_f32 v47, v41, v43
	s_wait_dscnt 0x1
	v_mul_f32_e32 v35, v57, v29
	s_delay_alu instid0(VALU_DEP_3) | instskip(NEXT) | instid1(VALU_DEP_3)
	v_dual_add_f32 v48, v42, v33 :: v_dual_fmac_f32 v40, v71, v34
	v_add_f32_e32 v24, v24, v32
	s_delay_alu instid0(VALU_DEP_3) | instskip(NEXT) | instid1(VALU_DEP_3)
	v_dual_mul_f32 v49, v56, v29 :: v_dual_fma_f32 v41, v56, v28, -v35
	v_dual_mul_f32 v42, v57, v31 :: v_dual_add_f32 v26, v26, v40
	ds_load_2addr_b64 v[32:35], v25 offset0:160 offset1:176
	v_dual_fmac_f32 v49, v57, v28 :: v_dual_add_f32 v16, v16, v41
	v_dual_fma_f32 v50, v56, v30, -v42 :: v_dual_mul_f32 v51, v56, v31
	ds_load_b128 v[40:43], v27 offset:1072
	s_wait_dscnt 0x2
	v_dual_mul_f32 v52, v37, v29 :: v_dual_mul_f32 v29, v36, v29
	v_dual_add_f32 v45, v45, v49 :: v_dual_add_f32 v46, v46, v50
	s_delay_alu instid0(VALU_DEP_2) | instskip(NEXT) | instid1(VALU_DEP_3)
	v_dual_fmac_f32 v51, v57, v30 :: v_dual_fma_f32 v49, v36, v28, -v52
	v_dual_mul_f32 v50, v37, v31 :: v_dual_fmac_f32 v29, v37, v28
	s_delay_alu instid0(VALU_DEP_2) | instskip(NEXT) | instid1(VALU_DEP_2)
	v_dual_add_f32 v44, v44, v51 :: v_dual_add_f32 v47, v47, v49
	v_dual_mul_f32 v51, v36, v31 :: v_dual_fma_f32 v28, v36, v30, -v50
	s_delay_alu instid0(VALU_DEP_3) | instskip(SKIP_2) | instid1(VALU_DEP_3)
	v_add_f32_e32 v36, v48, v29
	s_wait_dscnt 0x1
	v_dual_mul_f32 v48, v59, v33 :: v_dual_mul_f32 v49, v59, v35
	v_dual_fmac_f32 v51, v37, v30 :: v_dual_add_f32 v24, v24, v28
	ds_load_2addr_b64 v[28:31], v25 offset0:192 offset1:208
	v_dual_mul_f32 v37, v58, v33 :: v_dual_fma_f32 v48, v58, v32, -v48
	s_delay_alu instid0(VALU_DEP_1) | instskip(NEXT) | instid1(VALU_DEP_2)
	v_dual_mul_f32 v50, v58, v35 :: v_dual_fmac_f32 v37, v59, v32
	v_dual_add_f32 v26, v26, v51 :: v_dual_add_f32 v16, v16, v48
	s_delay_alu instid0(VALU_DEP_2) | instskip(NEXT) | instid1(VALU_DEP_3)
	v_dual_fma_f32 v48, v58, v34, -v49 :: v_dual_fmac_f32 v50, v59, v34
	v_add_f32_e32 v37, v45, v37
	v_dual_mul_f32 v45, v39, v33 :: v_dual_mul_f32 v33, v38, v33
	s_delay_alu instid0(VALU_DEP_3) | instskip(NEXT) | instid1(VALU_DEP_2)
	v_dual_add_f32 v48, v46, v48 :: v_dual_mul_f32 v46, v39, v35
	v_dual_add_f32 v49, v44, v50 :: v_dual_fma_f32 v45, v38, v32, -v45
	s_delay_alu instid0(VALU_DEP_3) | instskip(SKIP_1) | instid1(VALU_DEP_3)
	v_dual_fmac_f32 v33, v39, v32 :: v_dual_mul_f32 v32, v38, v35
	s_wait_dscnt 0x0
	v_dual_fma_f32 v35, v38, v34, -v46 :: v_dual_mul_f32 v44, v61, v29
	s_delay_alu instid0(VALU_DEP_3) | instskip(NEXT) | instid1(VALU_DEP_3)
	v_add_f32_e32 v38, v47, v45
	v_dual_fmac_f32 v32, v39, v34 :: v_dual_mul_f32 v34, v60, v29
	s_delay_alu instid0(VALU_DEP_3) | instskip(NEXT) | instid1(VALU_DEP_4)
	v_add_f32_e32 v24, v24, v35
	v_fma_f32 v35, v60, v28, -v44
	ds_load_2addr_b64 v[44:47], v25 offset0:224 offset1:240
	v_dual_add_f32 v33, v36, v33 :: v_dual_add_f32 v26, v26, v32
	v_dual_mul_f32 v32, v61, v31 :: v_dual_fmac_f32 v34, v61, v28
	v_dual_add_f32 v16, v16, v35 :: v_dual_mul_f32 v36, v41, v29
	s_delay_alu instid0(VALU_DEP_2) | instskip(NEXT) | instid1(VALU_DEP_3)
	v_dual_mul_f32 v35, v60, v31 :: v_dual_fma_f32 v32, v60, v30, -v32
	v_dual_mul_f32 v29, v40, v29 :: v_dual_add_f32 v34, v37, v34
	s_delay_alu instid0(VALU_DEP_2) | instskip(NEXT) | instid1(VALU_DEP_3)
	v_dual_fma_f32 v36, v40, v28, -v36 :: v_dual_fmac_f32 v35, v61, v30
	v_add_f32_e32 v32, v48, v32
	s_delay_alu instid0(VALU_DEP_3) | instskip(SKIP_1) | instid1(VALU_DEP_4)
	v_dual_fmac_f32 v29, v41, v28 :: v_dual_mul_f32 v28, v41, v31
	v_mul_f32_e32 v31, v40, v31
	v_dual_add_f32 v35, v49, v35 :: v_dual_add_f32 v37, v38, v36
	s_delay_alu instid0(VALU_DEP_3) | instskip(SKIP_3) | instid1(VALU_DEP_3)
	v_dual_add_f32 v29, v33, v29 :: v_dual_fma_f32 v28, v40, v30, -v28
	s_wait_dscnt 0x0
	v_dual_mul_f32 v33, v63, v45 :: v_dual_mul_f32 v38, v62, v45
	v_dual_fmac_f32 v31, v41, v30 :: v_dual_mul_f32 v30, v63, v47
	v_add_f32_e32 v24, v24, v28
	s_delay_alu instid0(VALU_DEP_3) | instskip(NEXT) | instid1(VALU_DEP_3)
	v_dual_fma_f32 v28, v62, v44, -v33 :: v_dual_fmac_f32 v38, v63, v44
	v_dual_mul_f32 v33, v62, v47 :: v_dual_fma_f32 v30, v62, v46, -v30
	s_delay_alu instid0(VALU_DEP_2) | instskip(NEXT) | instid1(VALU_DEP_3)
	v_dual_add_f32 v26, v26, v31 :: v_dual_add_f32 v36, v16, v28
	v_dual_add_f32 v38, v34, v38 :: v_dual_mul_f32 v16, v43, v45
	s_delay_alu instid0(VALU_DEP_3) | instskip(NEXT) | instid1(VALU_DEP_4)
	v_fmac_f32_e32 v33, v63, v46
	v_dual_add_f32 v32, v32, v30 :: v_dual_mul_f32 v28, v43, v47
	v_dual_mul_f32 v30, v42, v45 :: v_dual_mul_f32 v31, v42, v47
	s_delay_alu instid0(VALU_DEP_3) | instskip(NEXT) | instid1(VALU_DEP_2)
	v_dual_add_f32 v34, v35, v33 :: v_dual_fma_f32 v16, v42, v44, -v16
	v_dual_fma_f32 v33, v42, v46, -v28 :: v_dual_fmac_f32 v30, v43, v44
	s_delay_alu instid0(VALU_DEP_3) | instskip(NEXT) | instid1(VALU_DEP_2)
	v_fmac_f32_e32 v31, v43, v46
	v_dual_add_f32 v28, v37, v16 :: v_dual_add_f32 v24, v24, v33
	s_delay_alu instid0(VALU_DEP_2)
	v_dual_add_f32 v30, v29, v30 :: v_dual_add_f32 v26, v26, v31
	s_barrier_signal -1
	s_barrier_wait -1
	s_cbranch_vccz .LBB515_17
.LBB515_9:                              ;   Parent Loop BB515_6 Depth=1
                                        ; =>  This Inner Loop Header: Depth=2
	v_dual_mov_b32 v40, 0 :: v_dual_mov_b32 v41, 0
	s_and_saveexec_b32 s40, s0
	s_cbranch_execz .LBB515_13
; %bb.10:                               ;   in Loop: Header=BB515_9 Depth=2
	v_dual_mov_b32 v41, 0 :: v_dual_add_nc_u32 v16, s30, v2
	v_mov_b32_e32 v40, 0
	s_mov_b32 s41, exec_lo
	s_delay_alu instid0(VALU_DEP_2)
	v_cmpx_gt_u64_e64 s[8:9], v[16:17]
	s_cbranch_execz .LBB515_12
; %bb.11:                               ;   in Loop: Header=BB515_9 Depth=2
	v_mul_u64_e32 v[40:41], s[14:15], v[16:17]
	s_delay_alu instid0(VALU_DEP_1)
	v_lshl_add_u64 v[40:41], v[40:41], 3, v[20:21]
	flat_load_b64 v[40:41], v[40:41]
.LBB515_12:                             ;   in Loop: Header=BB515_9 Depth=2
	s_wait_xcnt 0x0
	s_or_b32 exec_lo, exec_lo, s41
.LBB515_13:                             ;   in Loop: Header=BB515_9 Depth=2
	s_delay_alu instid0(SALU_CYCLE_1)
	s_or_b32 exec_lo, exec_lo, s40
	v_add_nc_u32_e32 v16, s30, v0
	s_wait_loadcnt_dscnt 0x0
	ds_store_b64 v1, v[40:41]
	v_cmp_le_u64_e32 vcc_lo, s[8:9], v[16:17]
	s_or_b32 s40, vcc_lo, s39
	s_delay_alu instid0(SALU_CYCLE_1) | instskip(NEXT) | instid1(SALU_CYCLE_1)
	s_and_saveexec_b32 s41, s40
	s_xor_b32 s40, exec_lo, s41
; %bb.14:                               ;   in Loop: Header=BB515_9 Depth=2
	ds_store_b32 v3, v17
; %bb.15:                               ;   in Loop: Header=BB515_9 Depth=2
	s_or_saveexec_b32 s40, s40
	v_mov_b32_e32 v29, 0
	s_xor_b32 exec_lo, exec_lo, s40
	s_cbranch_execz .LBB515_8
; %bb.16:                               ;   in Loop: Header=BB515_9 Depth=2
	v_mul_u64_e32 v[40:41], s[20:21], v[16:17]
	s_delay_alu instid0(VALU_DEP_1)
	v_lshl_add_u64 v[40:41], v[40:41], 3, v[22:23]
	flat_load_b64 v[40:41], v[40:41]
	s_wait_loadcnt_dscnt 0x0
	v_xor_b32_e32 v29, 0x80000000, v41
	ds_store_b32 v3, v40
	s_branch .LBB515_8
.LBB515_17:                             ;   in Loop: Header=BB515_6 Depth=1
	s_wait_loadcnt 0x0
	v_add_nc_u64_e32 v[18:19], s[28:29], v[18:19]
	s_delay_alu instid0(VALU_DEP_1)
	v_lshl_add_u64 v[20:21], v[10:11], 3, v[18:19]
	s_wait_xcnt 0x0
	s_and_saveexec_b32 s30, s35
	s_cbranch_execz .LBB515_22
; %bb.18:                               ;   in Loop: Header=BB515_6 Depth=1
	v_mov_b64_e32 v[22:23], s[4:5]
	v_mov_b64_e32 v[40:41], s[24:25]
	s_and_b32 vcc_lo, exec_lo, s34
	s_mov_b32 s31, -1
	s_delay_alu instid0(VALU_DEP_2) | instskip(NEXT) | instid1(VALU_DEP_1)
	v_pk_mul_f32 v[22:23], v[38:39], v[22:23] op_sel_hi:[0,1]
	v_pk_fma_f32 v[38:39], v[36:37], v[40:41], v[22:23] op_sel_hi:[0,1,1]
	v_pk_fma_f32 v[22:23], v[36:37], v[40:41], v[22:23] neg_lo:[0,0,1] neg_hi:[0,0,1]
	v_lshl_add_u64 v[36:37], v[8:9], 3, v[20:21]
	s_delay_alu instid0(VALU_DEP_3)
	v_mov_b32_e32 v23, v39
	s_cbranch_vccz .LBB515_20
; %bb.19:                               ;   in Loop: Header=BB515_6 Depth=1
	flat_load_b64 v[38:39], v[36:37]
	v_mov_b64_e32 v[40:41], s[6:7]
	v_mov_b64_e32 v[42:43], s[2:3]
	s_mov_b32 s31, 0
	s_wait_loadcnt_dscnt 0x0
	s_delay_alu instid0(VALU_DEP_2) | instskip(NEXT) | instid1(VALU_DEP_1)
	v_pk_mul_f32 v[40:41], v[38:39], v[40:41]
	v_pk_fma_f32 v[44:45], v[38:39], v[42:43], v[40:41] op_sel:[0,0,1] op_sel_hi:[1,1,0]
	v_pk_fma_f32 v[38:39], v[38:39], v[42:43], v[40:41] op_sel:[0,0,1] op_sel_hi:[1,1,0] neg_lo:[0,0,1] neg_hi:[0,0,1]
	s_delay_alu instid0(VALU_DEP_2) | instskip(NEXT) | instid1(VALU_DEP_1)
	v_mov_b32_e32 v39, v45
	v_pk_add_f32 v[38:39], v[22:23], v[38:39]
	flat_store_b64 v[36:37], v[38:39]
.LBB515_20:                             ;   in Loop: Header=BB515_6 Depth=1
	s_and_not1_b32 vcc_lo, exec_lo, s31
	s_cbranch_vccnz .LBB515_22
; %bb.21:                               ;   in Loop: Header=BB515_6 Depth=1
	flat_store_b64 v[36:37], v[22:23]
.LBB515_22:                             ;   in Loop: Header=BB515_6 Depth=1
	s_wait_xcnt 0x0
	s_or_b32 exec_lo, exec_lo, s30
	s_and_saveexec_b32 s30, s36
	s_cbranch_execz .LBB515_27
; %bb.23:                               ;   in Loop: Header=BB515_6 Depth=1
	v_mov_b64_e32 v[22:23], s[4:5]
	v_mov_b64_e32 v[36:37], s[24:25]
	v_lshl_add_u64 v[20:21], v[14:15], 3, v[20:21]
	s_and_not1_b32 vcc_lo, exec_lo, s34
	s_mov_b32 s31, -1
	s_delay_alu instid0(VALU_DEP_3) | instskip(NEXT) | instid1(VALU_DEP_1)
	v_pk_mul_f32 v[22:23], v[34:35], v[22:23] op_sel_hi:[0,1]
	v_pk_fma_f32 v[34:35], v[32:33], v[36:37], v[22:23] op_sel_hi:[0,1,1]
	v_pk_fma_f32 v[22:23], v[32:33], v[36:37], v[22:23] neg_lo:[0,0,1] neg_hi:[0,0,1]
	s_delay_alu instid0(VALU_DEP_2)
	v_mov_b32_e32 v23, v35
	s_cbranch_vccnz .LBB515_25
; %bb.24:                               ;   in Loop: Header=BB515_6 Depth=1
	flat_load_b64 v[32:33], v[20:21]
	v_mov_b64_e32 v[34:35], s[6:7]
	v_mov_b64_e32 v[36:37], s[2:3]
	s_mov_b32 s31, 0
	s_wait_loadcnt_dscnt 0x0
	s_delay_alu instid0(VALU_DEP_2) | instskip(NEXT) | instid1(VALU_DEP_1)
	v_pk_mul_f32 v[34:35], v[32:33], v[34:35]
	v_pk_fma_f32 v[38:39], v[32:33], v[36:37], v[34:35] op_sel:[0,0,1] op_sel_hi:[1,1,0]
	v_pk_fma_f32 v[32:33], v[32:33], v[36:37], v[34:35] op_sel:[0,0,1] op_sel_hi:[1,1,0] neg_lo:[0,0,1] neg_hi:[0,0,1]
	s_delay_alu instid0(VALU_DEP_2) | instskip(NEXT) | instid1(VALU_DEP_1)
	v_mov_b32_e32 v33, v39
	v_pk_add_f32 v[32:33], v[22:23], v[32:33]
	flat_store_b64 v[20:21], v[32:33]
.LBB515_25:                             ;   in Loop: Header=BB515_6 Depth=1
	s_and_not1_b32 vcc_lo, exec_lo, s31
	s_cbranch_vccnz .LBB515_27
; %bb.26:                               ;   in Loop: Header=BB515_6 Depth=1
	flat_store_b64 v[20:21], v[22:23]
.LBB515_27:                             ;   in Loop: Header=BB515_6 Depth=1
	s_wait_xcnt 0x0
	s_or_b32 exec_lo, exec_lo, s30
	v_lshl_add_u64 v[18:19], v[12:13], 3, v[18:19]
	s_and_saveexec_b32 s30, s1
	s_cbranch_execz .LBB515_32
; %bb.28:                               ;   in Loop: Header=BB515_6 Depth=1
	v_mov_b64_e32 v[20:21], s[4:5]
	v_mov_b64_e32 v[22:23], s[24:25]
	s_and_not1_b32 vcc_lo, exec_lo, s34
	s_mov_b32 s31, -1
	s_delay_alu instid0(VALU_DEP_2) | instskip(NEXT) | instid1(VALU_DEP_1)
	v_pk_mul_f32 v[20:21], v[30:31], v[20:21] op_sel_hi:[0,1]
	v_pk_fma_f32 v[30:31], v[28:29], v[22:23], v[20:21] op_sel_hi:[0,1,1]
	v_pk_fma_f32 v[20:21], v[28:29], v[22:23], v[20:21] neg_lo:[0,0,1] neg_hi:[0,0,1]
	v_lshl_add_u64 v[22:23], v[8:9], 3, v[18:19]
	s_delay_alu instid0(VALU_DEP_3)
	v_mov_b32_e32 v21, v31
	s_cbranch_vccnz .LBB515_30
; %bb.29:                               ;   in Loop: Header=BB515_6 Depth=1
	flat_load_b64 v[28:29], v[22:23]
	v_mov_b64_e32 v[30:31], s[6:7]
	v_mov_b64_e32 v[32:33], s[2:3]
	s_mov_b32 s31, 0
	s_wait_loadcnt_dscnt 0x0
	s_delay_alu instid0(VALU_DEP_2) | instskip(NEXT) | instid1(VALU_DEP_1)
	v_pk_mul_f32 v[30:31], v[28:29], v[30:31]
	v_pk_fma_f32 v[34:35], v[28:29], v[32:33], v[30:31] op_sel:[0,0,1] op_sel_hi:[1,1,0]
	v_pk_fma_f32 v[28:29], v[28:29], v[32:33], v[30:31] op_sel:[0,0,1] op_sel_hi:[1,1,0] neg_lo:[0,0,1] neg_hi:[0,0,1]
	s_delay_alu instid0(VALU_DEP_2) | instskip(NEXT) | instid1(VALU_DEP_1)
	v_mov_b32_e32 v29, v35
	v_pk_add_f32 v[28:29], v[20:21], v[28:29]
	flat_store_b64 v[22:23], v[28:29]
.LBB515_30:                             ;   in Loop: Header=BB515_6 Depth=1
	s_and_not1_b32 vcc_lo, exec_lo, s31
	s_cbranch_vccnz .LBB515_32
; %bb.31:                               ;   in Loop: Header=BB515_6 Depth=1
	flat_store_b64 v[22:23], v[20:21]
.LBB515_32:                             ;   in Loop: Header=BB515_6 Depth=1
	s_wait_xcnt 0x0
	s_or_b32 exec_lo, exec_lo, s30
	s_and_saveexec_b32 s30, s37
	s_cbranch_execz .LBB515_5
; %bb.33:                               ;   in Loop: Header=BB515_6 Depth=1
	v_mov_b64_e32 v[20:21], s[4:5]
	v_mov_b64_e32 v[22:23], s[24:25]
	v_lshl_add_u64 v[18:19], v[14:15], 3, v[18:19]
	s_and_not1_b32 vcc_lo, exec_lo, s34
	s_mov_b32 s31, -1
	s_delay_alu instid0(VALU_DEP_3) | instskip(NEXT) | instid1(VALU_DEP_1)
	v_pk_mul_f32 v[20:21], v[26:27], v[20:21] op_sel_hi:[0,1]
	v_pk_fma_f32 v[28:29], v[24:25], v[22:23], v[20:21] op_sel_hi:[0,1,1]
	v_pk_fma_f32 v[20:21], v[24:25], v[22:23], v[20:21] neg_lo:[0,0,1] neg_hi:[0,0,1]
	s_delay_alu instid0(VALU_DEP_2)
	v_mov_b32_e32 v21, v29
	s_cbranch_vccnz .LBB515_35
; %bb.34:                               ;   in Loop: Header=BB515_6 Depth=1
	flat_load_b64 v[22:23], v[18:19]
	v_mov_b64_e32 v[28:29], s[6:7]
	v_mov_b64_e32 v[30:31], s[2:3]
	s_mov_b32 s31, 0
	s_wait_loadcnt_dscnt 0x0
	s_delay_alu instid0(VALU_DEP_2) | instskip(NEXT) | instid1(VALU_DEP_1)
	v_pk_mul_f32 v[28:29], v[22:23], v[28:29]
	v_pk_fma_f32 v[32:33], v[22:23], v[30:31], v[28:29] op_sel:[0,0,1] op_sel_hi:[1,1,0]
	v_pk_fma_f32 v[22:23], v[22:23], v[30:31], v[28:29] op_sel:[0,0,1] op_sel_hi:[1,1,0] neg_lo:[0,0,1] neg_hi:[0,0,1]
	s_delay_alu instid0(VALU_DEP_2) | instskip(NEXT) | instid1(VALU_DEP_1)
	v_mov_b32_e32 v23, v33
	v_pk_add_f32 v[22:23], v[20:21], v[22:23]
	flat_store_b64 v[18:19], v[22:23]
.LBB515_35:                             ;   in Loop: Header=BB515_6 Depth=1
	s_and_not1_b32 vcc_lo, exec_lo, s31
	s_cbranch_vccnz .LBB515_5
; %bb.36:                               ;   in Loop: Header=BB515_6 Depth=1
	flat_store_b64 v[18:19], v[20:21]
	s_branch .LBB515_5
.LBB515_37:
	s_sendmsg sendmsg(MSG_DEALLOC_VGPRS)
	s_endpgm
	.section	.rodata,"a",@progbits
	.p2align	6, 0x0
	.amdhsa_kernel _ZL29rocblas_internal_gemmt_kernelIlLi16ELi32ELi8ELc78ELc67ELc76ELb0ELb1E19rocblas_complex_numIfEPKS1_PKS3_PKPS1_EviT_T9_T10_S9_lSB_S9_lSA_T11_S9_li
		.amdhsa_group_segment_fixed_size 4096
		.amdhsa_private_segment_fixed_size 0
		.amdhsa_kernarg_size 108
		.amdhsa_user_sgpr_count 2
		.amdhsa_user_sgpr_dispatch_ptr 0
		.amdhsa_user_sgpr_queue_ptr 0
		.amdhsa_user_sgpr_kernarg_segment_ptr 1
		.amdhsa_user_sgpr_dispatch_id 0
		.amdhsa_user_sgpr_kernarg_preload_length 0
		.amdhsa_user_sgpr_kernarg_preload_offset 0
		.amdhsa_user_sgpr_private_segment_size 0
		.amdhsa_wavefront_size32 1
		.amdhsa_uses_dynamic_stack 0
		.amdhsa_enable_private_segment 0
		.amdhsa_system_sgpr_workgroup_id_x 1
		.amdhsa_system_sgpr_workgroup_id_y 1
		.amdhsa_system_sgpr_workgroup_id_z 1
		.amdhsa_system_sgpr_workgroup_info 0
		.amdhsa_system_vgpr_workitem_id 1
		.amdhsa_next_free_vgpr 72
		.amdhsa_next_free_sgpr 42
		.amdhsa_named_barrier_count 0
		.amdhsa_reserve_vcc 1
		.amdhsa_float_round_mode_32 0
		.amdhsa_float_round_mode_16_64 0
		.amdhsa_float_denorm_mode_32 3
		.amdhsa_float_denorm_mode_16_64 3
		.amdhsa_fp16_overflow 0
		.amdhsa_memory_ordered 1
		.amdhsa_forward_progress 1
		.amdhsa_inst_pref_size 26
		.amdhsa_round_robin_scheduling 0
		.amdhsa_exception_fp_ieee_invalid_op 0
		.amdhsa_exception_fp_denorm_src 0
		.amdhsa_exception_fp_ieee_div_zero 0
		.amdhsa_exception_fp_ieee_overflow 0
		.amdhsa_exception_fp_ieee_underflow 0
		.amdhsa_exception_fp_ieee_inexact 0
		.amdhsa_exception_int_div_zero 0
	.end_amdhsa_kernel
	.section	.text._ZL29rocblas_internal_gemmt_kernelIlLi16ELi32ELi8ELc78ELc67ELc76ELb0ELb1E19rocblas_complex_numIfEPKS1_PKS3_PKPS1_EviT_T9_T10_S9_lSB_S9_lSA_T11_S9_li,"axG",@progbits,_ZL29rocblas_internal_gemmt_kernelIlLi16ELi32ELi8ELc78ELc67ELc76ELb0ELb1E19rocblas_complex_numIfEPKS1_PKS3_PKPS1_EviT_T9_T10_S9_lSB_S9_lSA_T11_S9_li,comdat
.Lfunc_end515:
	.size	_ZL29rocblas_internal_gemmt_kernelIlLi16ELi32ELi8ELc78ELc67ELc76ELb0ELb1E19rocblas_complex_numIfEPKS1_PKS3_PKPS1_EviT_T9_T10_S9_lSB_S9_lSA_T11_S9_li, .Lfunc_end515-_ZL29rocblas_internal_gemmt_kernelIlLi16ELi32ELi8ELc78ELc67ELc76ELb0ELb1E19rocblas_complex_numIfEPKS1_PKS3_PKPS1_EviT_T9_T10_S9_lSB_S9_lSA_T11_S9_li
                                        ; -- End function
	.set _ZL29rocblas_internal_gemmt_kernelIlLi16ELi32ELi8ELc78ELc67ELc76ELb0ELb1E19rocblas_complex_numIfEPKS1_PKS3_PKPS1_EviT_T9_T10_S9_lSB_S9_lSA_T11_S9_li.num_vgpr, 72
	.set _ZL29rocblas_internal_gemmt_kernelIlLi16ELi32ELi8ELc78ELc67ELc76ELb0ELb1E19rocblas_complex_numIfEPKS1_PKS3_PKPS1_EviT_T9_T10_S9_lSB_S9_lSA_T11_S9_li.num_agpr, 0
	.set _ZL29rocblas_internal_gemmt_kernelIlLi16ELi32ELi8ELc78ELc67ELc76ELb0ELb1E19rocblas_complex_numIfEPKS1_PKS3_PKPS1_EviT_T9_T10_S9_lSB_S9_lSA_T11_S9_li.numbered_sgpr, 42
	.set _ZL29rocblas_internal_gemmt_kernelIlLi16ELi32ELi8ELc78ELc67ELc76ELb0ELb1E19rocblas_complex_numIfEPKS1_PKS3_PKPS1_EviT_T9_T10_S9_lSB_S9_lSA_T11_S9_li.num_named_barrier, 0
	.set _ZL29rocblas_internal_gemmt_kernelIlLi16ELi32ELi8ELc78ELc67ELc76ELb0ELb1E19rocblas_complex_numIfEPKS1_PKS3_PKPS1_EviT_T9_T10_S9_lSB_S9_lSA_T11_S9_li.private_seg_size, 0
	.set _ZL29rocblas_internal_gemmt_kernelIlLi16ELi32ELi8ELc78ELc67ELc76ELb0ELb1E19rocblas_complex_numIfEPKS1_PKS3_PKPS1_EviT_T9_T10_S9_lSB_S9_lSA_T11_S9_li.uses_vcc, 1
	.set _ZL29rocblas_internal_gemmt_kernelIlLi16ELi32ELi8ELc78ELc67ELc76ELb0ELb1E19rocblas_complex_numIfEPKS1_PKS3_PKPS1_EviT_T9_T10_S9_lSB_S9_lSA_T11_S9_li.uses_flat_scratch, 0
	.set _ZL29rocblas_internal_gemmt_kernelIlLi16ELi32ELi8ELc78ELc67ELc76ELb0ELb1E19rocblas_complex_numIfEPKS1_PKS3_PKPS1_EviT_T9_T10_S9_lSB_S9_lSA_T11_S9_li.has_dyn_sized_stack, 0
	.set _ZL29rocblas_internal_gemmt_kernelIlLi16ELi32ELi8ELc78ELc67ELc76ELb0ELb1E19rocblas_complex_numIfEPKS1_PKS3_PKPS1_EviT_T9_T10_S9_lSB_S9_lSA_T11_S9_li.has_recursion, 0
	.set _ZL29rocblas_internal_gemmt_kernelIlLi16ELi32ELi8ELc78ELc67ELc76ELb0ELb1E19rocblas_complex_numIfEPKS1_PKS3_PKPS1_EviT_T9_T10_S9_lSB_S9_lSA_T11_S9_li.has_indirect_call, 0
	.section	.AMDGPU.csdata,"",@progbits
; Kernel info:
; codeLenInByte = 3264
; TotalNumSgprs: 44
; NumVgprs: 72
; ScratchSize: 0
; MemoryBound: 0
; FloatMode: 240
; IeeeMode: 1
; LDSByteSize: 4096 bytes/workgroup (compile time only)
; SGPRBlocks: 0
; VGPRBlocks: 4
; NumSGPRsForWavesPerEU: 44
; NumVGPRsForWavesPerEU: 72
; NamedBarCnt: 0
; Occupancy: 12
; WaveLimiterHint : 1
; COMPUTE_PGM_RSRC2:SCRATCH_EN: 0
; COMPUTE_PGM_RSRC2:USER_SGPR: 2
; COMPUTE_PGM_RSRC2:TRAP_HANDLER: 0
; COMPUTE_PGM_RSRC2:TGID_X_EN: 1
; COMPUTE_PGM_RSRC2:TGID_Y_EN: 1
; COMPUTE_PGM_RSRC2:TGID_Z_EN: 1
; COMPUTE_PGM_RSRC2:TIDIG_COMP_CNT: 1
	.section	.text._ZL29rocblas_internal_gemmt_kernelIlLi16ELi32ELi8ELc84ELc78ELc76ELb0ELb0E19rocblas_complex_numIfEPKS1_PKS3_PKPS1_EviT_T9_T10_S9_lSB_S9_lSA_T11_S9_li,"axG",@progbits,_ZL29rocblas_internal_gemmt_kernelIlLi16ELi32ELi8ELc84ELc78ELc76ELb0ELb0E19rocblas_complex_numIfEPKS1_PKS3_PKPS1_EviT_T9_T10_S9_lSB_S9_lSA_T11_S9_li,comdat
	.globl	_ZL29rocblas_internal_gemmt_kernelIlLi16ELi32ELi8ELc84ELc78ELc76ELb0ELb0E19rocblas_complex_numIfEPKS1_PKS3_PKPS1_EviT_T9_T10_S9_lSB_S9_lSA_T11_S9_li ; -- Begin function _ZL29rocblas_internal_gemmt_kernelIlLi16ELi32ELi8ELc84ELc78ELc76ELb0ELb0E19rocblas_complex_numIfEPKS1_PKS3_PKPS1_EviT_T9_T10_S9_lSB_S9_lSA_T11_S9_li
	.p2align	8
	.type	_ZL29rocblas_internal_gemmt_kernelIlLi16ELi32ELi8ELc84ELc78ELc76ELb0ELb0E19rocblas_complex_numIfEPKS1_PKS3_PKPS1_EviT_T9_T10_S9_lSB_S9_lSA_T11_S9_li,@function
_ZL29rocblas_internal_gemmt_kernelIlLi16ELi32ELi8ELc84ELc78ELc76ELb0ELb0E19rocblas_complex_numIfEPKS1_PKS3_PKPS1_EviT_T9_T10_S9_lSB_S9_lSA_T11_S9_li: ; @_ZL29rocblas_internal_gemmt_kernelIlLi16ELi32ELi8ELc84ELc78ELc76ELb0ELb0E19rocblas_complex_numIfEPKS1_PKS3_PKPS1_EviT_T9_T10_S9_lSB_S9_lSA_T11_S9_li
; %bb.0:
	s_load_b256 s[24:31], s[0:1], 0x48
	s_wait_kmcnt 0x0
	s_load_b64 s[6:7], s[24:25], 0x0
	s_load_b512 s[8:23], s[0:1], 0x8
	s_wait_kmcnt 0x0
	s_cmp_neq_f32 s6, 1.0
	s_load_b64 s[24:25], s[10:11], 0x0
	s_cselect_b32 s3, -1, 0
	s_and_b32 s4, s7, 0x7fffffff
	s_delay_alu instid0(SALU_CYCLE_1) | instskip(SKIP_3) | instid1(SALU_CYCLE_1)
	s_cmp_eq_u32 s4, 0
	s_cselect_b32 s2, -1, 0
	s_cmp_lg_u32 s4, 0
	s_cselect_b32 s4, -1, 0
	s_or_b32 s3, s3, s4
	s_delay_alu instid0(SALU_CYCLE_1)
	s_and_b32 vcc_lo, exec_lo, s3
	s_cbranch_vccnz .LBB516_2
; %bb.1:
	s_cmp_lg_u64 s[8:9], 0
	s_cselect_b32 s3, -1, 0
	s_wait_kmcnt 0x0
	s_cmp_neq_f32 s24, 0
	s_cselect_b32 s4, -1, 0
	s_cmp_neq_f32 s25, 0
	s_cselect_b32 s5, -1, 0
	s_delay_alu instid0(SALU_CYCLE_1) | instskip(NEXT) | instid1(SALU_CYCLE_1)
	s_or_b32 s4, s4, s5
	s_and_b32 s3, s3, s4
.LBB516_2:
	s_delay_alu instid0(SALU_CYCLE_1)
	s_and_not1_b32 vcc_lo, exec_lo, s3
	s_cbranch_vccnz .LBB516_35
; %bb.3:
	s_load_b32 s33, s[0:1], 0x68
	s_bfe_u32 s3, ttmp6, 0x40014
	s_lshr_b32 s4, ttmp7, 16
	s_add_co_i32 s3, s3, 1
	s_wait_xcnt 0x0
	s_bfe_u32 s10, ttmp6, 0x40008
	s_mul_i32 s5, s4, s3
	s_getreg_b32 s3, hwreg(HW_REG_IB_STS2, 6, 4)
	s_add_co_i32 s10, s10, s5
	s_cmp_eq_u32 s3, 0
	s_mov_b32 s11, 0
	s_cselect_b32 s10, s4, s10
	s_wait_kmcnt 0x0
	s_cmp_ge_u32 s10, s33
	s_cbranch_scc1 .LBB516_35
; %bb.4:
	s_bfe_u32 s4, ttmp6, 0x4000c
	s_bfe_u32 s34, ttmp6, 0x40010
	s_add_co_i32 s4, s4, 1
	s_and_b32 s35, ttmp7, 0xffff
	s_add_co_i32 s34, s34, 1
	v_and_b32_e32 v9, 0x3ff, v0
	v_bfe_u32 v15, v0, 10, 10
	s_and_b32 s5, ttmp6, 15
	s_mul_i32 s4, ttmp9, s4
	s_mul_i32 s34, s35, s34
	s_bfe_u32 s36, ttmp6, 0x40004
	s_add_co_i32 s5, s5, s4
	s_add_co_i32 s36, s36, s34
	s_cmp_eq_u32 s3, 0
	v_lshl_add_u32 v1, v15, 4, v9
	s_load_b32 s4, s[0:1], 0x0
	s_wait_xcnt 0x0
	s_cselect_b32 s0, ttmp9, s5
	s_cselect_b32 s1, s35, s36
	s_lshl_b32 s3, s0, 5
	s_lshl_b32 s0, s1, 5
	v_dual_lshrrev_b32 v3, 3, v1 :: v_dual_bitop2_b32 v5, 31, v1 bitop3:0x40
	v_dual_lshrrev_b32 v2, 5, v1 :: v_dual_bitop2_b32 v0, 7, v0 bitop3:0x40
	v_add_nc_u32_e32 v16, s0, v15
	s_cmp_neq_f32 s24, 0
	s_delay_alu instid0(VALU_DEP_3) | instskip(NEXT) | instid1(VALU_DEP_3)
	v_dual_add_nc_u32 v6, s0, v3 :: v_dual_bitop2_b32 v4, s3, v5 bitop3:0x54
	v_lshlrev_b32_e32 v8, 3, v0
	s_delay_alu instid0(VALU_DEP_3)
	v_add_nc_u32_e32 v18, 16, v16
	s_cselect_b32 s1, -1, 0
	s_cmp_neq_f32 s25, 0
	v_dual_lshlrev_b32 v1, 3, v5 :: v_dual_ashrrev_i32 v5, 31, v4
	v_dual_ashrrev_i32 v7, 31, v6 :: v_dual_ashrrev_i32 v17, 31, v16
	v_ashrrev_i32_e32 v19, 31, v18
	s_cselect_b32 s5, -1, 0
	s_wait_kmcnt 0x0
	v_cmp_gt_i32_e64 s0, s4, v4
	s_or_b32 s37, s1, s5
	v_mul_u64_e32 v[4:5], s[14:15], v[4:5]
	v_cmp_gt_i32_e64 s1, s4, v6
	v_mul_u64_e32 v[6:7], s[20:21], v[6:7]
	v_mul_u64_e32 v[10:11], s[28:29], v[16:17]
	;; [unrolled: 1-line block ×3, first 2 shown]
	v_lshl_or_b32 v3, v3, 6, v8
	v_dual_add_nc_u32 v8, s3, v9 :: v_dual_lshlrev_b32 v25, 3, v9
	s_cmp_neq_f32 s6, 0
	v_cmp_gt_i64_e64 s38, s[8:9], 0
	v_lshl_or_b32 v1, v2, 8, v1
	s_delay_alu instid0(VALU_DEP_3)
	v_dual_add_nc_u32 v14, 16, v8 :: v_dual_ashrrev_i32 v9, 31, v8
	s_cselect_b32 s3, -1, 0
	s_xor_b32 s5, s2, -1
	v_cmp_le_i32_e32 vcc_lo, v16, v8
	v_cmp_gt_i32_e64 s2, s4, v8
	s_or_b32 s28, s3, s5
	v_cmp_le_i32_e64 s3, v16, v14
	v_cmp_gt_i32_e64 s4, s4, v14
	v_cmp_le_i32_e64 s5, v18, v14
	s_and_b32 s29, vcc_lo, s2
	v_cmp_le_i32_e32 vcc_lo, v18, v8
	v_add_nc_u32_e32 v3, 0x800, v3
	v_lshl_add_u32 v27, v15, 6, 0x800
	v_dual_ashrrev_i32 v15, 31, v14 :: v_dual_mov_b32 v17, 0
	s_and_b32 s34, s3, s4
	s_and_b32 s35, vcc_lo, s2
	s_and_b32 s36, s5, s4
	s_mov_b32 s2, s6
	s_mov_b32 s3, s6
	;; [unrolled: 1-line block ×5, first 2 shown]
	s_and_b32 s37, s37, s38
	s_lshl_b64 s[14:15], s[22:23], 3
	s_lshl_b64 s[16:17], s[16:17], 3
	;; [unrolled: 1-line block ×3, first 2 shown]
	s_branch .LBB516_6
.LBB516_5:                              ;   in Loop: Header=BB516_6 Depth=1
	s_wait_xcnt 0x0
	s_or_b32 exec_lo, exec_lo, s22
	s_add_co_i32 s10, s10, 0x10000
	s_delay_alu instid0(SALU_CYCLE_1)
	s_cmp_lt_u32 s10, s33
	s_cbranch_scc0 .LBB516_35
.LBB516_6:                              ; =>This Loop Header: Depth=1
                                        ;     Child Loop BB516_9 Depth 2
	v_dual_mov_b32 v16, s10 :: v_dual_mov_b32 v36, v17
	v_dual_mov_b32 v38, v17 :: v_dual_mov_b32 v32, v17
	;; [unrolled: 1-line block ×3, first 2 shown]
	global_load_b64 v[18:19], v16, s[26:27] scale_offset
	v_dual_mov_b32 v30, v17 :: v_dual_mov_b32 v24, v17
	v_mov_b32_e32 v26, v17
	s_and_not1_b32 vcc_lo, exec_lo, s37
	s_cbranch_vccnz .LBB516_15
; %bb.7:                                ;   in Loop: Header=BB516_6 Depth=1
	s_lshl_b64 s[22:23], s[10:11], 3
	v_dual_mov_b32 v26, 0 :: v_dual_mov_b32 v24, 0
	s_add_nc_u64 s[30:31], s[12:13], s[22:23]
	s_add_nc_u64 s[22:23], s[18:19], s[22:23]
	s_clause 0x1
	global_load_b64 v[20:21], v17, s[30:31]
	global_load_b64 v[22:23], v17, s[22:23]
	v_dual_mov_b32 v30, 0 :: v_dual_mov_b32 v28, 0
	v_dual_mov_b32 v34, 0 :: v_dual_mov_b32 v32, 0
	;; [unrolled: 1-line block ×3, first 2 shown]
	s_wait_xcnt 0x0
	s_mov_b64 s[22:23], 0
	s_wait_loadcnt 0x1
	v_add_nc_u64_e32 v[20:21], s[16:17], v[20:21]
	s_wait_loadcnt 0x0
	v_add_nc_u64_e32 v[22:23], s[14:15], v[22:23]
	s_delay_alu instid0(VALU_DEP_2) | instskip(NEXT) | instid1(VALU_DEP_2)
	v_lshl_add_u64 v[20:21], v[4:5], 3, v[20:21]
	v_lshl_add_u64 v[22:23], v[6:7], 3, v[22:23]
	s_branch .LBB516_9
.LBB516_8:                              ;   in Loop: Header=BB516_9 Depth=2
	s_wait_xcnt 0x0
	s_or_b32 exec_lo, exec_lo, s30
	s_wait_loadcnt_dscnt 0x0
	ds_store_b64 v3, v[42:43]
	s_wait_dscnt 0x0
	s_barrier_signal -1
	s_barrier_wait -1
	ds_load_b128 v[40:43], v27
	ds_load_2addr_b64 v[44:47], v25 offset1:16
	ds_load_b128 v[48:51], v27 offset:1024
	ds_load_b128 v[52:55], v27 offset:16
	;; [unrolled: 1-line block ×4, first 2 shown]
	ds_load_2addr_b64 v[64:67], v25 offset0:32 offset1:48
	ds_load_b128 v[68:71], v27 offset:1040
	s_add_nc_u64 s[22:23], s[22:23], 8
	s_delay_alu instid0(SALU_CYCLE_1)
	v_cmp_gt_i64_e64 s30, s[8:9], s[22:23]
	s_and_b32 vcc_lo, exec_lo, s30
	s_wait_dscnt 0x6
	v_dual_mul_f32 v16, v41, v45 :: v_dual_mul_f32 v29, v40, v45
	v_dual_mul_f32 v31, v41, v47 :: v_dual_mul_f32 v33, v40, v47
	s_wait_dscnt 0x5
	v_dual_mul_f32 v35, v49, v45 :: v_dual_mul_f32 v37, v48, v45
	v_dual_mul_f32 v39, v49, v47 :: v_dual_mul_f32 v45, v48, v47
	v_dual_fma_f32 v16, v40, v44, -v16 :: v_dual_fmac_f32 v29, v41, v44
	v_dual_fma_f32 v31, v40, v46, -v31 :: v_dual_fmac_f32 v33, v41, v46
	s_delay_alu instid0(VALU_DEP_4) | instskip(NEXT) | instid1(VALU_DEP_3)
	v_dual_fma_f32 v35, v48, v44, -v35 :: v_dual_fmac_f32 v37, v49, v44
	v_dual_add_f32 v16, v36, v16 :: v_dual_add_f32 v36, v38, v29
	v_fma_f32 v29, v48, v46, -v39
	s_delay_alu instid0(VALU_DEP_4) | instskip(NEXT) | instid1(VALU_DEP_4)
	v_dual_add_f32 v32, v32, v31 :: v_dual_add_f32 v33, v34, v33
	v_dual_add_f32 v34, v28, v35 :: v_dual_add_f32 v35, v30, v37
	s_wait_dscnt 0x1
	v_dual_mul_f32 v37, v43, v65 :: v_dual_fmac_f32 v45, v49, v46
	v_add_f32_e32 v24, v24, v29
	ds_load_2addr_b64 v[28:31], v25 offset0:64 offset1:80
	v_dual_mul_f32 v38, v42, v65 :: v_dual_fma_f32 v37, v42, v64, -v37
	v_dual_mul_f32 v39, v43, v67 :: v_dual_add_f32 v26, v26, v45
	s_delay_alu instid0(VALU_DEP_2) | instskip(NEXT) | instid1(VALU_DEP_2)
	v_dual_mul_f32 v40, v42, v67 :: v_dual_fmac_f32 v38, v43, v64
	v_dual_add_f32 v16, v16, v37 :: v_dual_fma_f32 v37, v42, v66, -v39
	v_mul_f32_e32 v39, v51, v65
	s_delay_alu instid0(VALU_DEP_3) | instskip(NEXT) | instid1(VALU_DEP_4)
	v_fmac_f32_e32 v40, v43, v66
	v_dual_add_f32 v36, v36, v38 :: v_dual_mul_f32 v38, v50, v65
	s_delay_alu instid0(VALU_DEP_3) | instskip(NEXT) | instid1(VALU_DEP_3)
	v_dual_add_f32 v37, v32, v37 :: v_dual_fma_f32 v32, v50, v64, -v39
	v_dual_mul_f32 v39, v51, v67 :: v_dual_add_f32 v40, v33, v40
	s_delay_alu instid0(VALU_DEP_3) | instskip(SKIP_1) | instid1(VALU_DEP_3)
	v_dual_fmac_f32 v38, v51, v64 :: v_dual_mul_f32 v41, v50, v67
	s_wait_dscnt 0x0
	v_dual_add_f32 v42, v34, v32 :: v_dual_mul_f32 v33, v53, v29
	s_delay_alu instid0(VALU_DEP_3) | instskip(NEXT) | instid1(VALU_DEP_3)
	v_fma_f32 v32, v50, v66, -v39
	v_dual_add_f32 v38, v35, v38 :: v_dual_mul_f32 v39, v52, v29
	v_fmac_f32_e32 v41, v51, v66
	s_delay_alu instid0(VALU_DEP_4) | instskip(NEXT) | instid1(VALU_DEP_4)
	v_fma_f32 v43, v52, v28, -v33
	v_dual_add_f32 v24, v24, v32 :: v_dual_mul_f32 v44, v53, v31
	ds_load_2addr_b64 v[32:35], v25 offset0:96 offset1:112
	v_dual_fmac_f32 v39, v53, v28 :: v_dual_add_f32 v26, v26, v41
	v_add_f32_e32 v16, v16, v43
	v_dual_mul_f32 v41, v52, v31 :: v_dual_fma_f32 v43, v52, v30, -v44
	s_delay_alu instid0(VALU_DEP_3) | instskip(NEXT) | instid1(VALU_DEP_2)
	v_dual_add_f32 v36, v36, v39 :: v_dual_mul_f32 v39, v69, v29
	v_dual_mul_f32 v29, v68, v29 :: v_dual_fmac_f32 v41, v53, v30
	s_delay_alu instid0(VALU_DEP_3) | instskip(NEXT) | instid1(VALU_DEP_3)
	v_add_f32_e32 v37, v37, v43
	v_dual_mul_f32 v43, v69, v31 :: v_dual_fma_f32 v39, v68, v28, -v39
	s_delay_alu instid0(VALU_DEP_3) | instskip(NEXT) | instid1(VALU_DEP_4)
	v_dual_fmac_f32 v29, v69, v28 :: v_dual_mul_f32 v44, v68, v31
	v_add_f32_e32 v40, v40, v41
	s_delay_alu instid0(VALU_DEP_3) | instskip(NEXT) | instid1(VALU_DEP_3)
	v_dual_fma_f32 v28, v68, v30, -v43 :: v_dual_add_f32 v41, v42, v39
	v_dual_add_f32 v42, v38, v29 :: v_dual_fmac_f32 v44, v69, v30
	s_wait_dscnt 0x0
	s_delay_alu instid0(VALU_DEP_2) | instskip(SKIP_2) | instid1(VALU_DEP_1)
	v_dual_mul_f32 v38, v55, v33 :: v_dual_add_f32 v24, v24, v28
	ds_load_2addr_b64 v[28:31], v25 offset0:128 offset1:144
	v_dual_mul_f32 v39, v54, v33 :: v_dual_mul_f32 v43, v55, v35
	v_dual_fma_f32 v38, v54, v32, -v38 :: v_dual_fmac_f32 v39, v55, v32
	s_delay_alu instid0(VALU_DEP_1) | instskip(NEXT) | instid1(VALU_DEP_3)
	v_dual_add_f32 v26, v26, v44 :: v_dual_add_f32 v16, v16, v38
	v_dual_mul_f32 v44, v54, v35 :: v_dual_fma_f32 v43, v54, v34, -v43
	s_delay_alu instid0(VALU_DEP_3) | instskip(NEXT) | instid1(VALU_DEP_2)
	v_dual_mul_f32 v38, v71, v33 :: v_dual_add_f32 v45, v36, v39
	v_dual_mul_f32 v33, v70, v33 :: v_dual_fmac_f32 v44, v55, v34
	s_delay_alu instid0(VALU_DEP_2)
	v_dual_add_f32 v46, v37, v43 :: v_dual_fma_f32 v43, v70, v32, -v38
	v_mul_f32_e32 v47, v71, v35
	ds_load_b128 v[36:39], v27 offset:1056
	v_add_f32_e32 v44, v40, v44
	v_dual_fmac_f32 v33, v71, v32 :: v_dual_mul_f32 v40, v70, v35
	v_dual_fma_f32 v32, v70, v34, -v47 :: v_dual_add_f32 v47, v41, v43
	s_wait_dscnt 0x1
	v_mul_f32_e32 v35, v57, v29
	s_delay_alu instid0(VALU_DEP_3) | instskip(NEXT) | instid1(VALU_DEP_3)
	v_dual_add_f32 v48, v42, v33 :: v_dual_fmac_f32 v40, v71, v34
	v_add_f32_e32 v24, v24, v32
	s_delay_alu instid0(VALU_DEP_3) | instskip(NEXT) | instid1(VALU_DEP_3)
	v_dual_mul_f32 v49, v56, v29 :: v_dual_fma_f32 v41, v56, v28, -v35
	v_dual_mul_f32 v42, v57, v31 :: v_dual_add_f32 v26, v26, v40
	ds_load_2addr_b64 v[32:35], v25 offset0:160 offset1:176
	v_dual_fmac_f32 v49, v57, v28 :: v_dual_add_f32 v16, v16, v41
	v_dual_fma_f32 v50, v56, v30, -v42 :: v_dual_mul_f32 v51, v56, v31
	ds_load_b128 v[40:43], v27 offset:1072
	s_wait_dscnt 0x2
	v_dual_mul_f32 v52, v37, v29 :: v_dual_mul_f32 v29, v36, v29
	v_dual_add_f32 v45, v45, v49 :: v_dual_add_f32 v46, v46, v50
	s_delay_alu instid0(VALU_DEP_2) | instskip(NEXT) | instid1(VALU_DEP_3)
	v_dual_fmac_f32 v51, v57, v30 :: v_dual_fma_f32 v49, v36, v28, -v52
	v_dual_mul_f32 v50, v37, v31 :: v_dual_fmac_f32 v29, v37, v28
	s_delay_alu instid0(VALU_DEP_2) | instskip(NEXT) | instid1(VALU_DEP_2)
	v_dual_add_f32 v44, v44, v51 :: v_dual_add_f32 v47, v47, v49
	v_dual_mul_f32 v51, v36, v31 :: v_dual_fma_f32 v28, v36, v30, -v50
	s_delay_alu instid0(VALU_DEP_3) | instskip(SKIP_2) | instid1(VALU_DEP_3)
	v_add_f32_e32 v36, v48, v29
	s_wait_dscnt 0x1
	v_dual_mul_f32 v48, v59, v33 :: v_dual_mul_f32 v49, v59, v35
	v_dual_fmac_f32 v51, v37, v30 :: v_dual_add_f32 v24, v24, v28
	ds_load_2addr_b64 v[28:31], v25 offset0:192 offset1:208
	v_dual_mul_f32 v37, v58, v33 :: v_dual_fma_f32 v48, v58, v32, -v48
	s_delay_alu instid0(VALU_DEP_1) | instskip(NEXT) | instid1(VALU_DEP_2)
	v_dual_mul_f32 v50, v58, v35 :: v_dual_fmac_f32 v37, v59, v32
	v_dual_add_f32 v26, v26, v51 :: v_dual_add_f32 v16, v16, v48
	s_delay_alu instid0(VALU_DEP_2) | instskip(NEXT) | instid1(VALU_DEP_3)
	v_dual_fma_f32 v48, v58, v34, -v49 :: v_dual_fmac_f32 v50, v59, v34
	v_add_f32_e32 v37, v45, v37
	v_dual_mul_f32 v45, v39, v33 :: v_dual_mul_f32 v33, v38, v33
	s_delay_alu instid0(VALU_DEP_3) | instskip(NEXT) | instid1(VALU_DEP_2)
	v_dual_add_f32 v48, v46, v48 :: v_dual_mul_f32 v46, v39, v35
	v_dual_add_f32 v49, v44, v50 :: v_dual_fma_f32 v45, v38, v32, -v45
	s_delay_alu instid0(VALU_DEP_3) | instskip(SKIP_1) | instid1(VALU_DEP_3)
	v_dual_fmac_f32 v33, v39, v32 :: v_dual_mul_f32 v32, v38, v35
	s_wait_dscnt 0x0
	v_dual_fma_f32 v35, v38, v34, -v46 :: v_dual_mul_f32 v44, v61, v29
	s_delay_alu instid0(VALU_DEP_3) | instskip(NEXT) | instid1(VALU_DEP_3)
	v_add_f32_e32 v38, v47, v45
	v_dual_fmac_f32 v32, v39, v34 :: v_dual_mul_f32 v34, v60, v29
	s_delay_alu instid0(VALU_DEP_3) | instskip(NEXT) | instid1(VALU_DEP_4)
	v_add_f32_e32 v24, v24, v35
	v_fma_f32 v35, v60, v28, -v44
	ds_load_2addr_b64 v[44:47], v25 offset0:224 offset1:240
	v_dual_add_f32 v33, v36, v33 :: v_dual_add_f32 v26, v26, v32
	v_dual_mul_f32 v32, v61, v31 :: v_dual_fmac_f32 v34, v61, v28
	v_dual_add_f32 v16, v16, v35 :: v_dual_mul_f32 v36, v41, v29
	s_delay_alu instid0(VALU_DEP_2) | instskip(NEXT) | instid1(VALU_DEP_3)
	v_dual_mul_f32 v35, v60, v31 :: v_dual_fma_f32 v32, v60, v30, -v32
	v_dual_mul_f32 v29, v40, v29 :: v_dual_add_f32 v34, v37, v34
	s_delay_alu instid0(VALU_DEP_2) | instskip(NEXT) | instid1(VALU_DEP_3)
	v_dual_fma_f32 v36, v40, v28, -v36 :: v_dual_fmac_f32 v35, v61, v30
	v_add_f32_e32 v32, v48, v32
	s_delay_alu instid0(VALU_DEP_3) | instskip(SKIP_1) | instid1(VALU_DEP_4)
	v_dual_fmac_f32 v29, v41, v28 :: v_dual_mul_f32 v28, v41, v31
	v_mul_f32_e32 v31, v40, v31
	v_dual_add_f32 v35, v49, v35 :: v_dual_add_f32 v37, v38, v36
	s_delay_alu instid0(VALU_DEP_3) | instskip(SKIP_3) | instid1(VALU_DEP_3)
	v_dual_add_f32 v29, v33, v29 :: v_dual_fma_f32 v28, v40, v30, -v28
	s_wait_dscnt 0x0
	v_dual_mul_f32 v33, v63, v45 :: v_dual_mul_f32 v38, v62, v45
	v_dual_fmac_f32 v31, v41, v30 :: v_dual_mul_f32 v30, v63, v47
	v_add_f32_e32 v24, v24, v28
	s_delay_alu instid0(VALU_DEP_3) | instskip(NEXT) | instid1(VALU_DEP_3)
	v_dual_fma_f32 v28, v62, v44, -v33 :: v_dual_fmac_f32 v38, v63, v44
	v_dual_mul_f32 v33, v62, v47 :: v_dual_fma_f32 v30, v62, v46, -v30
	s_delay_alu instid0(VALU_DEP_2) | instskip(NEXT) | instid1(VALU_DEP_3)
	v_dual_add_f32 v26, v26, v31 :: v_dual_add_f32 v36, v16, v28
	v_dual_add_f32 v38, v34, v38 :: v_dual_mul_f32 v16, v43, v45
	s_delay_alu instid0(VALU_DEP_3) | instskip(NEXT) | instid1(VALU_DEP_4)
	v_fmac_f32_e32 v33, v63, v46
	v_dual_add_f32 v32, v32, v30 :: v_dual_mul_f32 v28, v43, v47
	v_dual_mul_f32 v30, v42, v45 :: v_dual_mul_f32 v31, v42, v47
	s_delay_alu instid0(VALU_DEP_3) | instskip(NEXT) | instid1(VALU_DEP_2)
	v_dual_add_f32 v34, v35, v33 :: v_dual_fma_f32 v16, v42, v44, -v16
	v_dual_fma_f32 v33, v42, v46, -v28 :: v_dual_fmac_f32 v30, v43, v44
	s_delay_alu instid0(VALU_DEP_3) | instskip(NEXT) | instid1(VALU_DEP_2)
	v_fmac_f32_e32 v31, v43, v46
	v_dual_add_f32 v28, v37, v16 :: v_dual_add_f32 v24, v24, v33
	s_delay_alu instid0(VALU_DEP_2)
	v_dual_add_f32 v30, v29, v30 :: v_dual_add_f32 v26, v26, v31
	s_barrier_signal -1
	s_barrier_wait -1
	s_cbranch_vccz .LBB516_15
.LBB516_9:                              ;   Parent Loop BB516_6 Depth=1
                                        ; =>  This Inner Loop Header: Depth=2
	v_dual_mov_b32 v40, 0 :: v_dual_mov_b32 v41, 0
	s_and_saveexec_b32 s30, s0
	s_cbranch_execz .LBB516_13
; %bb.10:                               ;   in Loop: Header=BB516_9 Depth=2
	v_dual_mov_b32 v41, 0 :: v_dual_add_nc_u32 v16, s22, v2
	v_mov_b32_e32 v40, 0
	s_mov_b32 s31, exec_lo
	s_delay_alu instid0(VALU_DEP_2)
	v_cmpx_gt_u64_e64 s[8:9], v[16:17]
	s_cbranch_execz .LBB516_12
; %bb.11:                               ;   in Loop: Header=BB516_9 Depth=2
	v_lshl_add_u64 v[40:41], v[16:17], 3, v[20:21]
	flat_load_b64 v[40:41], v[40:41]
.LBB516_12:                             ;   in Loop: Header=BB516_9 Depth=2
	s_wait_xcnt 0x0
	s_or_b32 exec_lo, exec_lo, s31
.LBB516_13:                             ;   in Loop: Header=BB516_9 Depth=2
	s_delay_alu instid0(SALU_CYCLE_1)
	s_or_b32 exec_lo, exec_lo, s30
	v_dual_add_nc_u32 v16, s22, v0 :: v_dual_mov_b32 v42, 0
	v_mov_b32_e32 v43, 0
	s_wait_loadcnt_dscnt 0x0
	ds_store_b64 v1, v[40:41]
	v_cmp_gt_u64_e32 vcc_lo, s[8:9], v[16:17]
	s_and_b32 s31, vcc_lo, s1
	s_delay_alu instid0(SALU_CYCLE_1)
	s_and_saveexec_b32 s30, s31
	s_cbranch_execz .LBB516_8
; %bb.14:                               ;   in Loop: Header=BB516_9 Depth=2
	v_lshl_add_u64 v[40:41], v[16:17], 3, v[22:23]
	flat_load_b64 v[42:43], v[40:41]
	s_branch .LBB516_8
.LBB516_15:                             ;   in Loop: Header=BB516_6 Depth=1
	s_wait_loadcnt 0x0
	v_add_nc_u64_e32 v[18:19], s[20:21], v[18:19]
	s_delay_alu instid0(VALU_DEP_1)
	v_lshl_add_u64 v[20:21], v[10:11], 3, v[18:19]
	s_wait_xcnt 0x0
	s_and_saveexec_b32 s22, s29
	s_cbranch_execz .LBB516_20
; %bb.16:                               ;   in Loop: Header=BB516_6 Depth=1
	v_mov_b64_e32 v[22:23], s[4:5]
	v_mov_b64_e32 v[40:41], s[24:25]
	s_and_b32 vcc_lo, exec_lo, s28
	s_mov_b32 s23, -1
	s_delay_alu instid0(VALU_DEP_2) | instskip(NEXT) | instid1(VALU_DEP_1)
	v_pk_mul_f32 v[22:23], v[38:39], v[22:23] op_sel_hi:[0,1]
	v_pk_fma_f32 v[38:39], v[36:37], v[40:41], v[22:23] op_sel_hi:[0,1,1]
	v_pk_fma_f32 v[22:23], v[36:37], v[40:41], v[22:23] neg_lo:[0,0,1] neg_hi:[0,0,1]
	v_lshl_add_u64 v[36:37], v[8:9], 3, v[20:21]
	s_delay_alu instid0(VALU_DEP_3)
	v_mov_b32_e32 v23, v39
	s_cbranch_vccz .LBB516_18
; %bb.17:                               ;   in Loop: Header=BB516_6 Depth=1
	flat_load_b64 v[38:39], v[36:37]
	v_mov_b64_e32 v[40:41], s[6:7]
	v_mov_b64_e32 v[42:43], s[2:3]
	s_mov_b32 s23, 0
	s_wait_loadcnt_dscnt 0x0
	s_delay_alu instid0(VALU_DEP_2) | instskip(NEXT) | instid1(VALU_DEP_1)
	v_pk_mul_f32 v[40:41], v[38:39], v[40:41]
	v_pk_fma_f32 v[44:45], v[38:39], v[42:43], v[40:41] op_sel:[0,0,1] op_sel_hi:[1,1,0]
	v_pk_fma_f32 v[38:39], v[38:39], v[42:43], v[40:41] op_sel:[0,0,1] op_sel_hi:[1,1,0] neg_lo:[0,0,1] neg_hi:[0,0,1]
	s_delay_alu instid0(VALU_DEP_2) | instskip(NEXT) | instid1(VALU_DEP_1)
	v_mov_b32_e32 v39, v45
	v_pk_add_f32 v[38:39], v[22:23], v[38:39]
	flat_store_b64 v[36:37], v[38:39]
.LBB516_18:                             ;   in Loop: Header=BB516_6 Depth=1
	s_and_not1_b32 vcc_lo, exec_lo, s23
	s_cbranch_vccnz .LBB516_20
; %bb.19:                               ;   in Loop: Header=BB516_6 Depth=1
	flat_store_b64 v[36:37], v[22:23]
.LBB516_20:                             ;   in Loop: Header=BB516_6 Depth=1
	s_wait_xcnt 0x0
	s_or_b32 exec_lo, exec_lo, s22
	s_and_saveexec_b32 s22, s34
	s_cbranch_execz .LBB516_25
; %bb.21:                               ;   in Loop: Header=BB516_6 Depth=1
	v_mov_b64_e32 v[22:23], s[4:5]
	v_mov_b64_e32 v[36:37], s[24:25]
	v_lshl_add_u64 v[20:21], v[14:15], 3, v[20:21]
	s_and_not1_b32 vcc_lo, exec_lo, s28
	s_mov_b32 s23, -1
	s_delay_alu instid0(VALU_DEP_3) | instskip(NEXT) | instid1(VALU_DEP_1)
	v_pk_mul_f32 v[22:23], v[34:35], v[22:23] op_sel_hi:[0,1]
	v_pk_fma_f32 v[34:35], v[32:33], v[36:37], v[22:23] op_sel_hi:[0,1,1]
	v_pk_fma_f32 v[22:23], v[32:33], v[36:37], v[22:23] neg_lo:[0,0,1] neg_hi:[0,0,1]
	s_delay_alu instid0(VALU_DEP_2)
	v_mov_b32_e32 v23, v35
	s_cbranch_vccnz .LBB516_23
; %bb.22:                               ;   in Loop: Header=BB516_6 Depth=1
	flat_load_b64 v[32:33], v[20:21]
	v_mov_b64_e32 v[34:35], s[6:7]
	v_mov_b64_e32 v[36:37], s[2:3]
	s_mov_b32 s23, 0
	s_wait_loadcnt_dscnt 0x0
	s_delay_alu instid0(VALU_DEP_2) | instskip(NEXT) | instid1(VALU_DEP_1)
	v_pk_mul_f32 v[34:35], v[32:33], v[34:35]
	v_pk_fma_f32 v[38:39], v[32:33], v[36:37], v[34:35] op_sel:[0,0,1] op_sel_hi:[1,1,0]
	v_pk_fma_f32 v[32:33], v[32:33], v[36:37], v[34:35] op_sel:[0,0,1] op_sel_hi:[1,1,0] neg_lo:[0,0,1] neg_hi:[0,0,1]
	s_delay_alu instid0(VALU_DEP_2) | instskip(NEXT) | instid1(VALU_DEP_1)
	v_mov_b32_e32 v33, v39
	v_pk_add_f32 v[32:33], v[22:23], v[32:33]
	flat_store_b64 v[20:21], v[32:33]
.LBB516_23:                             ;   in Loop: Header=BB516_6 Depth=1
	s_and_not1_b32 vcc_lo, exec_lo, s23
	s_cbranch_vccnz .LBB516_25
; %bb.24:                               ;   in Loop: Header=BB516_6 Depth=1
	flat_store_b64 v[20:21], v[22:23]
.LBB516_25:                             ;   in Loop: Header=BB516_6 Depth=1
	s_wait_xcnt 0x0
	s_or_b32 exec_lo, exec_lo, s22
	v_lshl_add_u64 v[18:19], v[12:13], 3, v[18:19]
	s_and_saveexec_b32 s22, s35
	s_cbranch_execz .LBB516_30
; %bb.26:                               ;   in Loop: Header=BB516_6 Depth=1
	v_mov_b64_e32 v[20:21], s[4:5]
	v_mov_b64_e32 v[22:23], s[24:25]
	s_and_not1_b32 vcc_lo, exec_lo, s28
	s_mov_b32 s23, -1
	s_delay_alu instid0(VALU_DEP_2) | instskip(NEXT) | instid1(VALU_DEP_1)
	v_pk_mul_f32 v[20:21], v[30:31], v[20:21] op_sel_hi:[0,1]
	v_pk_fma_f32 v[30:31], v[28:29], v[22:23], v[20:21] op_sel_hi:[0,1,1]
	v_pk_fma_f32 v[20:21], v[28:29], v[22:23], v[20:21] neg_lo:[0,0,1] neg_hi:[0,0,1]
	v_lshl_add_u64 v[22:23], v[8:9], 3, v[18:19]
	s_delay_alu instid0(VALU_DEP_3)
	v_mov_b32_e32 v21, v31
	s_cbranch_vccnz .LBB516_28
; %bb.27:                               ;   in Loop: Header=BB516_6 Depth=1
	flat_load_b64 v[28:29], v[22:23]
	v_mov_b64_e32 v[30:31], s[6:7]
	v_mov_b64_e32 v[32:33], s[2:3]
	s_mov_b32 s23, 0
	s_wait_loadcnt_dscnt 0x0
	s_delay_alu instid0(VALU_DEP_2) | instskip(NEXT) | instid1(VALU_DEP_1)
	v_pk_mul_f32 v[30:31], v[28:29], v[30:31]
	v_pk_fma_f32 v[34:35], v[28:29], v[32:33], v[30:31] op_sel:[0,0,1] op_sel_hi:[1,1,0]
	v_pk_fma_f32 v[28:29], v[28:29], v[32:33], v[30:31] op_sel:[0,0,1] op_sel_hi:[1,1,0] neg_lo:[0,0,1] neg_hi:[0,0,1]
	s_delay_alu instid0(VALU_DEP_2) | instskip(NEXT) | instid1(VALU_DEP_1)
	v_mov_b32_e32 v29, v35
	v_pk_add_f32 v[28:29], v[20:21], v[28:29]
	flat_store_b64 v[22:23], v[28:29]
.LBB516_28:                             ;   in Loop: Header=BB516_6 Depth=1
	s_and_not1_b32 vcc_lo, exec_lo, s23
	s_cbranch_vccnz .LBB516_30
; %bb.29:                               ;   in Loop: Header=BB516_6 Depth=1
	flat_store_b64 v[22:23], v[20:21]
.LBB516_30:                             ;   in Loop: Header=BB516_6 Depth=1
	s_wait_xcnt 0x0
	s_or_b32 exec_lo, exec_lo, s22
	s_and_saveexec_b32 s22, s36
	s_cbranch_execz .LBB516_5
; %bb.31:                               ;   in Loop: Header=BB516_6 Depth=1
	v_mov_b64_e32 v[20:21], s[4:5]
	v_mov_b64_e32 v[22:23], s[24:25]
	v_lshl_add_u64 v[18:19], v[14:15], 3, v[18:19]
	s_and_not1_b32 vcc_lo, exec_lo, s28
	s_mov_b32 s23, -1
	s_delay_alu instid0(VALU_DEP_3) | instskip(NEXT) | instid1(VALU_DEP_1)
	v_pk_mul_f32 v[20:21], v[26:27], v[20:21] op_sel_hi:[0,1]
	v_pk_fma_f32 v[28:29], v[24:25], v[22:23], v[20:21] op_sel_hi:[0,1,1]
	v_pk_fma_f32 v[20:21], v[24:25], v[22:23], v[20:21] neg_lo:[0,0,1] neg_hi:[0,0,1]
	s_delay_alu instid0(VALU_DEP_2)
	v_mov_b32_e32 v21, v29
	s_cbranch_vccnz .LBB516_33
; %bb.32:                               ;   in Loop: Header=BB516_6 Depth=1
	flat_load_b64 v[22:23], v[18:19]
	v_mov_b64_e32 v[28:29], s[6:7]
	v_mov_b64_e32 v[30:31], s[2:3]
	s_mov_b32 s23, 0
	s_wait_loadcnt_dscnt 0x0
	s_delay_alu instid0(VALU_DEP_2) | instskip(NEXT) | instid1(VALU_DEP_1)
	v_pk_mul_f32 v[28:29], v[22:23], v[28:29]
	v_pk_fma_f32 v[32:33], v[22:23], v[30:31], v[28:29] op_sel:[0,0,1] op_sel_hi:[1,1,0]
	v_pk_fma_f32 v[22:23], v[22:23], v[30:31], v[28:29] op_sel:[0,0,1] op_sel_hi:[1,1,0] neg_lo:[0,0,1] neg_hi:[0,0,1]
	s_delay_alu instid0(VALU_DEP_2) | instskip(NEXT) | instid1(VALU_DEP_1)
	v_mov_b32_e32 v23, v33
	v_pk_add_f32 v[22:23], v[20:21], v[22:23]
	flat_store_b64 v[18:19], v[22:23]
.LBB516_33:                             ;   in Loop: Header=BB516_6 Depth=1
	s_and_not1_b32 vcc_lo, exec_lo, s23
	s_cbranch_vccnz .LBB516_5
; %bb.34:                               ;   in Loop: Header=BB516_6 Depth=1
	flat_store_b64 v[18:19], v[20:21]
	s_branch .LBB516_5
.LBB516_35:
	s_sendmsg sendmsg(MSG_DEALLOC_VGPRS)
	s_endpgm
	.section	.rodata,"a",@progbits
	.p2align	6, 0x0
	.amdhsa_kernel _ZL29rocblas_internal_gemmt_kernelIlLi16ELi32ELi8ELc84ELc78ELc76ELb0ELb0E19rocblas_complex_numIfEPKS1_PKS3_PKPS1_EviT_T9_T10_S9_lSB_S9_lSA_T11_S9_li
		.amdhsa_group_segment_fixed_size 4096
		.amdhsa_private_segment_fixed_size 0
		.amdhsa_kernarg_size 108
		.amdhsa_user_sgpr_count 2
		.amdhsa_user_sgpr_dispatch_ptr 0
		.amdhsa_user_sgpr_queue_ptr 0
		.amdhsa_user_sgpr_kernarg_segment_ptr 1
		.amdhsa_user_sgpr_dispatch_id 0
		.amdhsa_user_sgpr_kernarg_preload_length 0
		.amdhsa_user_sgpr_kernarg_preload_offset 0
		.amdhsa_user_sgpr_private_segment_size 0
		.amdhsa_wavefront_size32 1
		.amdhsa_uses_dynamic_stack 0
		.amdhsa_enable_private_segment 0
		.amdhsa_system_sgpr_workgroup_id_x 1
		.amdhsa_system_sgpr_workgroup_id_y 1
		.amdhsa_system_sgpr_workgroup_id_z 1
		.amdhsa_system_sgpr_workgroup_info 0
		.amdhsa_system_vgpr_workitem_id 1
		.amdhsa_next_free_vgpr 72
		.amdhsa_next_free_sgpr 39
		.amdhsa_named_barrier_count 0
		.amdhsa_reserve_vcc 1
		.amdhsa_float_round_mode_32 0
		.amdhsa_float_round_mode_16_64 0
		.amdhsa_float_denorm_mode_32 3
		.amdhsa_float_denorm_mode_16_64 3
		.amdhsa_fp16_overflow 0
		.amdhsa_memory_ordered 1
		.amdhsa_forward_progress 1
		.amdhsa_inst_pref_size 26
		.amdhsa_round_robin_scheduling 0
		.amdhsa_exception_fp_ieee_invalid_op 0
		.amdhsa_exception_fp_denorm_src 0
		.amdhsa_exception_fp_ieee_div_zero 0
		.amdhsa_exception_fp_ieee_overflow 0
		.amdhsa_exception_fp_ieee_underflow 0
		.amdhsa_exception_fp_ieee_inexact 0
		.amdhsa_exception_int_div_zero 0
	.end_amdhsa_kernel
	.section	.text._ZL29rocblas_internal_gemmt_kernelIlLi16ELi32ELi8ELc84ELc78ELc76ELb0ELb0E19rocblas_complex_numIfEPKS1_PKS3_PKPS1_EviT_T9_T10_S9_lSB_S9_lSA_T11_S9_li,"axG",@progbits,_ZL29rocblas_internal_gemmt_kernelIlLi16ELi32ELi8ELc84ELc78ELc76ELb0ELb0E19rocblas_complex_numIfEPKS1_PKS3_PKPS1_EviT_T9_T10_S9_lSB_S9_lSA_T11_S9_li,comdat
.Lfunc_end516:
	.size	_ZL29rocblas_internal_gemmt_kernelIlLi16ELi32ELi8ELc84ELc78ELc76ELb0ELb0E19rocblas_complex_numIfEPKS1_PKS3_PKPS1_EviT_T9_T10_S9_lSB_S9_lSA_T11_S9_li, .Lfunc_end516-_ZL29rocblas_internal_gemmt_kernelIlLi16ELi32ELi8ELc84ELc78ELc76ELb0ELb0E19rocblas_complex_numIfEPKS1_PKS3_PKPS1_EviT_T9_T10_S9_lSB_S9_lSA_T11_S9_li
                                        ; -- End function
	.set _ZL29rocblas_internal_gemmt_kernelIlLi16ELi32ELi8ELc84ELc78ELc76ELb0ELb0E19rocblas_complex_numIfEPKS1_PKS3_PKPS1_EviT_T9_T10_S9_lSB_S9_lSA_T11_S9_li.num_vgpr, 72
	.set _ZL29rocblas_internal_gemmt_kernelIlLi16ELi32ELi8ELc84ELc78ELc76ELb0ELb0E19rocblas_complex_numIfEPKS1_PKS3_PKPS1_EviT_T9_T10_S9_lSB_S9_lSA_T11_S9_li.num_agpr, 0
	.set _ZL29rocblas_internal_gemmt_kernelIlLi16ELi32ELi8ELc84ELc78ELc76ELb0ELb0E19rocblas_complex_numIfEPKS1_PKS3_PKPS1_EviT_T9_T10_S9_lSB_S9_lSA_T11_S9_li.numbered_sgpr, 39
	.set _ZL29rocblas_internal_gemmt_kernelIlLi16ELi32ELi8ELc84ELc78ELc76ELb0ELb0E19rocblas_complex_numIfEPKS1_PKS3_PKPS1_EviT_T9_T10_S9_lSB_S9_lSA_T11_S9_li.num_named_barrier, 0
	.set _ZL29rocblas_internal_gemmt_kernelIlLi16ELi32ELi8ELc84ELc78ELc76ELb0ELb0E19rocblas_complex_numIfEPKS1_PKS3_PKPS1_EviT_T9_T10_S9_lSB_S9_lSA_T11_S9_li.private_seg_size, 0
	.set _ZL29rocblas_internal_gemmt_kernelIlLi16ELi32ELi8ELc84ELc78ELc76ELb0ELb0E19rocblas_complex_numIfEPKS1_PKS3_PKPS1_EviT_T9_T10_S9_lSB_S9_lSA_T11_S9_li.uses_vcc, 1
	.set _ZL29rocblas_internal_gemmt_kernelIlLi16ELi32ELi8ELc84ELc78ELc76ELb0ELb0E19rocblas_complex_numIfEPKS1_PKS3_PKPS1_EviT_T9_T10_S9_lSB_S9_lSA_T11_S9_li.uses_flat_scratch, 0
	.set _ZL29rocblas_internal_gemmt_kernelIlLi16ELi32ELi8ELc84ELc78ELc76ELb0ELb0E19rocblas_complex_numIfEPKS1_PKS3_PKPS1_EviT_T9_T10_S9_lSB_S9_lSA_T11_S9_li.has_dyn_sized_stack, 0
	.set _ZL29rocblas_internal_gemmt_kernelIlLi16ELi32ELi8ELc84ELc78ELc76ELb0ELb0E19rocblas_complex_numIfEPKS1_PKS3_PKPS1_EviT_T9_T10_S9_lSB_S9_lSA_T11_S9_li.has_recursion, 0
	.set _ZL29rocblas_internal_gemmt_kernelIlLi16ELi32ELi8ELc84ELc78ELc76ELb0ELb0E19rocblas_complex_numIfEPKS1_PKS3_PKPS1_EviT_T9_T10_S9_lSB_S9_lSA_T11_S9_li.has_indirect_call, 0
	.section	.AMDGPU.csdata,"",@progbits
; Kernel info:
; codeLenInByte = 3216
; TotalNumSgprs: 41
; NumVgprs: 72
; ScratchSize: 0
; MemoryBound: 0
; FloatMode: 240
; IeeeMode: 1
; LDSByteSize: 4096 bytes/workgroup (compile time only)
; SGPRBlocks: 0
; VGPRBlocks: 4
; NumSGPRsForWavesPerEU: 41
; NumVGPRsForWavesPerEU: 72
; NamedBarCnt: 0
; Occupancy: 12
; WaveLimiterHint : 1
; COMPUTE_PGM_RSRC2:SCRATCH_EN: 0
; COMPUTE_PGM_RSRC2:USER_SGPR: 2
; COMPUTE_PGM_RSRC2:TRAP_HANDLER: 0
; COMPUTE_PGM_RSRC2:TGID_X_EN: 1
; COMPUTE_PGM_RSRC2:TGID_Y_EN: 1
; COMPUTE_PGM_RSRC2:TGID_Z_EN: 1
; COMPUTE_PGM_RSRC2:TIDIG_COMP_CNT: 1
	.section	.text._ZL29rocblas_internal_gemmt_kernelIlLi16ELi32ELi8ELc84ELc84ELc76ELb0ELb0E19rocblas_complex_numIfEPKS1_PKS3_PKPS1_EviT_T9_T10_S9_lSB_S9_lSA_T11_S9_li,"axG",@progbits,_ZL29rocblas_internal_gemmt_kernelIlLi16ELi32ELi8ELc84ELc84ELc76ELb0ELb0E19rocblas_complex_numIfEPKS1_PKS3_PKPS1_EviT_T9_T10_S9_lSB_S9_lSA_T11_S9_li,comdat
	.globl	_ZL29rocblas_internal_gemmt_kernelIlLi16ELi32ELi8ELc84ELc84ELc76ELb0ELb0E19rocblas_complex_numIfEPKS1_PKS3_PKPS1_EviT_T9_T10_S9_lSB_S9_lSA_T11_S9_li ; -- Begin function _ZL29rocblas_internal_gemmt_kernelIlLi16ELi32ELi8ELc84ELc84ELc76ELb0ELb0E19rocblas_complex_numIfEPKS1_PKS3_PKPS1_EviT_T9_T10_S9_lSB_S9_lSA_T11_S9_li
	.p2align	8
	.type	_ZL29rocblas_internal_gemmt_kernelIlLi16ELi32ELi8ELc84ELc84ELc76ELb0ELb0E19rocblas_complex_numIfEPKS1_PKS3_PKPS1_EviT_T9_T10_S9_lSB_S9_lSA_T11_S9_li,@function
_ZL29rocblas_internal_gemmt_kernelIlLi16ELi32ELi8ELc84ELc84ELc76ELb0ELb0E19rocblas_complex_numIfEPKS1_PKS3_PKPS1_EviT_T9_T10_S9_lSB_S9_lSA_T11_S9_li: ; @_ZL29rocblas_internal_gemmt_kernelIlLi16ELi32ELi8ELc84ELc84ELc76ELb0ELb0E19rocblas_complex_numIfEPKS1_PKS3_PKPS1_EviT_T9_T10_S9_lSB_S9_lSA_T11_S9_li
; %bb.0:
	s_load_b256 s[24:31], s[0:1], 0x48
	s_wait_kmcnt 0x0
	s_load_b64 s[6:7], s[24:25], 0x0
	s_load_b512 s[8:23], s[0:1], 0x8
	s_wait_kmcnt 0x0
	s_cmp_neq_f32 s6, 1.0
	s_load_b64 s[24:25], s[10:11], 0x0
	s_cselect_b32 s3, -1, 0
	s_and_b32 s4, s7, 0x7fffffff
	s_delay_alu instid0(SALU_CYCLE_1) | instskip(SKIP_3) | instid1(SALU_CYCLE_1)
	s_cmp_eq_u32 s4, 0
	s_cselect_b32 s2, -1, 0
	s_cmp_lg_u32 s4, 0
	s_cselect_b32 s4, -1, 0
	s_or_b32 s3, s3, s4
	s_delay_alu instid0(SALU_CYCLE_1)
	s_and_b32 vcc_lo, exec_lo, s3
	s_cbranch_vccnz .LBB517_2
; %bb.1:
	s_cmp_lg_u64 s[8:9], 0
	s_cselect_b32 s3, -1, 0
	s_wait_kmcnt 0x0
	s_cmp_neq_f32 s24, 0
	s_cselect_b32 s4, -1, 0
	s_cmp_neq_f32 s25, 0
	s_cselect_b32 s5, -1, 0
	s_delay_alu instid0(SALU_CYCLE_1) | instskip(NEXT) | instid1(SALU_CYCLE_1)
	s_or_b32 s4, s4, s5
	s_and_b32 s3, s3, s4
.LBB517_2:
	s_delay_alu instid0(SALU_CYCLE_1)
	s_and_not1_b32 vcc_lo, exec_lo, s3
	s_cbranch_vccnz .LBB517_35
; %bb.3:
	s_load_b32 s33, s[0:1], 0x68
	s_bfe_u32 s3, ttmp6, 0x40014
	s_lshr_b32 s4, ttmp7, 16
	s_add_co_i32 s3, s3, 1
	s_wait_xcnt 0x0
	s_bfe_u32 s10, ttmp6, 0x40008
	s_mul_i32 s5, s4, s3
	s_getreg_b32 s3, hwreg(HW_REG_IB_STS2, 6, 4)
	s_add_co_i32 s10, s10, s5
	s_cmp_eq_u32 s3, 0
	s_mov_b32 s11, 0
	s_cselect_b32 s10, s4, s10
	s_wait_kmcnt 0x0
	s_cmp_ge_u32 s10, s33
	s_cbranch_scc1 .LBB517_35
; %bb.4:
	v_and_b32_e32 v9, 0x3ff, v0
	v_bfe_u32 v15, v0, 10, 10
	s_bfe_u32 s4, ttmp6, 0x4000c
	s_bfe_u32 s34, ttmp6, 0x40010
	s_add_co_i32 s4, s4, 1
	s_and_b32 s35, ttmp7, 0xffff
	s_add_co_i32 s34, s34, 1
	v_lshl_add_u32 v1, v15, 4, v9
	s_and_b32 s5, ttmp6, 15
	s_mul_i32 s4, ttmp9, s4
	s_mul_i32 s34, s35, s34
	s_bfe_u32 s36, ttmp6, 0x40004
	s_add_co_i32 s5, s5, s4
	s_add_co_i32 s36, s36, s34
	s_cmp_eq_u32 s3, 0
	s_load_b32 s4, s[0:1], 0x0
	v_dual_lshrrev_b32 v3, 3, v1 :: v_dual_bitop2_b32 v5, 31, v1 bitop3:0x40
	s_wait_xcnt 0x0
	s_cselect_b32 s0, ttmp9, s5
	s_cselect_b32 s1, s35, s36
	s_lshl_b32 s3, s0, 5
	s_lshl_b32 s0, s1, 5
	v_dual_lshrrev_b32 v2, 5, v1 :: v_dual_bitop2_b32 v0, 7, v0 bitop3:0x40
	v_dual_lshlrev_b32 v1, 3, v5 :: v_dual_add_nc_u32 v16, s0, v15
	v_dual_add_nc_u32 v4, s0, v3 :: v_dual_bitop2_b32 v6, s3, v5 bitop3:0x54
	s_delay_alu instid0(VALU_DEP_3) | instskip(NEXT) | instid1(VALU_DEP_3)
	v_dual_lshlrev_b32 v5, 3, v0 :: v_dual_add_nc_u32 v8, s3, v9
	v_dual_add_nc_u32 v18, 16, v16 :: v_dual_ashrrev_i32 v17, 31, v16
	s_delay_alu instid0(VALU_DEP_3) | instskip(SKIP_1) | instid1(VALU_DEP_2)
	v_ashrrev_i32_e32 v7, 31, v6
	s_cmp_neq_f32 s24, 0
	v_dual_add_nc_u32 v14, 16, v8 :: v_dual_ashrrev_i32 v19, 31, v18
	s_wait_kmcnt 0x0
	v_cmp_gt_i32_e64 s0, s4, v6
	v_mul_u64_e32 v[6:7], s[14:15], v[6:7]
	v_mul_u64_e32 v[10:11], s[28:29], v[16:17]
	s_cselect_b32 s1, -1, 0
	v_mul_u64_e32 v[12:13], s[28:29], v[18:19]
	s_cmp_neq_f32 s25, 0
	v_cmp_le_i32_e32 vcc_lo, v16, v8
	v_lshl_or_b32 v3, v3, 6, v5
	v_cmp_gt_i64_e64 s40, s[8:9], 0
	s_cselect_b32 s5, -1, 0
	v_dual_ashrrev_i32 v5, 31, v4 :: v_dual_lshlrev_b32 v25, 3, v9
	s_or_b32 s39, s1, s5
	s_cmp_neq_f32 s6, 0
	v_cmp_gt_i32_e64 s1, s4, v4
	v_ashrrev_i32_e32 v9, 31, v8
	v_lshl_or_b32 v1, v2, 8, v1
	s_cselect_b32 s3, -1, 0
	s_xor_b32 s5, s2, -1
	v_cmp_gt_i32_e64 s2, s4, v8
	s_or_b32 s34, s3, s5
	v_cmp_le_i32_e64 s3, v16, v14
	v_cmp_gt_i32_e64 s4, s4, v14
	v_cmp_le_i32_e64 s5, v18, v14
	s_and_b32 s35, vcc_lo, s2
	v_cmp_le_i32_e32 vcc_lo, v18, v8
	v_add_nc_u32_e32 v3, 0x800, v3
	v_lshl_add_u32 v27, v15, 6, 0x800
	v_dual_ashrrev_i32 v15, 31, v14 :: v_dual_mov_b32 v17, 0
	s_and_b32 s36, s3, s4
	s_and_b32 s37, vcc_lo, s2
	s_and_b32 s38, s5, s4
	s_mov_b32 s2, s6
	s_mov_b32 s3, s6
	;; [unrolled: 1-line block ×5, first 2 shown]
	s_and_b32 s39, s39, s40
	s_lshl_b64 s[14:15], s[22:23], 3
	s_lshl_b64 s[16:17], s[16:17], 3
	;; [unrolled: 1-line block ×3, first 2 shown]
	s_branch .LBB517_6
.LBB517_5:                              ;   in Loop: Header=BB517_6 Depth=1
	s_wait_xcnt 0x0
	s_or_b32 exec_lo, exec_lo, s28
	s_add_co_i32 s10, s10, 0x10000
	s_delay_alu instid0(SALU_CYCLE_1)
	s_cmp_lt_u32 s10, s33
	s_cbranch_scc0 .LBB517_35
.LBB517_6:                              ; =>This Loop Header: Depth=1
                                        ;     Child Loop BB517_9 Depth 2
	v_dual_mov_b32 v16, s10 :: v_dual_mov_b32 v36, v17
	v_dual_mov_b32 v38, v17 :: v_dual_mov_b32 v32, v17
	v_dual_mov_b32 v34, v17 :: v_dual_mov_b32 v28, v17
	global_load_b64 v[18:19], v16, s[26:27] scale_offset
	v_dual_mov_b32 v30, v17 :: v_dual_mov_b32 v24, v17
	v_mov_b32_e32 v26, v17
	s_and_not1_b32 vcc_lo, exec_lo, s39
	s_cbranch_vccnz .LBB517_15
; %bb.7:                                ;   in Loop: Header=BB517_6 Depth=1
	s_lshl_b64 s[28:29], s[10:11], 3
	v_dual_mov_b32 v26, 0 :: v_dual_mov_b32 v24, 0
	s_add_nc_u64 s[30:31], s[12:13], s[28:29]
	s_add_nc_u64 s[28:29], s[18:19], s[28:29]
	s_clause 0x1
	global_load_b64 v[20:21], v17, s[30:31]
	global_load_b64 v[22:23], v17, s[28:29]
	v_dual_mov_b32 v30, 0 :: v_dual_mov_b32 v28, 0
	v_dual_mov_b32 v34, 0 :: v_dual_mov_b32 v32, 0
	;; [unrolled: 1-line block ×3, first 2 shown]
	s_wait_xcnt 0x0
	s_mov_b64 s[28:29], 0
	s_wait_loadcnt 0x1
	v_add_nc_u64_e32 v[20:21], s[16:17], v[20:21]
	s_wait_loadcnt 0x0
	v_add_nc_u64_e32 v[22:23], s[14:15], v[22:23]
	s_delay_alu instid0(VALU_DEP_2) | instskip(NEXT) | instid1(VALU_DEP_2)
	v_lshl_add_u64 v[20:21], v[6:7], 3, v[20:21]
	v_lshl_add_u64 v[22:23], v[4:5], 3, v[22:23]
	s_branch .LBB517_9
.LBB517_8:                              ;   in Loop: Header=BB517_9 Depth=2
	s_wait_xcnt 0x0
	s_or_b32 exec_lo, exec_lo, s30
	s_wait_loadcnt_dscnt 0x0
	ds_store_b64 v3, v[42:43]
	s_wait_dscnt 0x0
	s_barrier_signal -1
	s_barrier_wait -1
	ds_load_b128 v[40:43], v27
	ds_load_2addr_b64 v[44:47], v25 offset1:16
	ds_load_b128 v[48:51], v27 offset:1024
	ds_load_b128 v[52:55], v27 offset:16
	;; [unrolled: 1-line block ×4, first 2 shown]
	ds_load_2addr_b64 v[64:67], v25 offset0:32 offset1:48
	ds_load_b128 v[68:71], v27 offset:1040
	s_add_nc_u64 s[28:29], s[28:29], 8
	s_delay_alu instid0(SALU_CYCLE_1)
	v_cmp_gt_i64_e64 s30, s[8:9], s[28:29]
	s_and_b32 vcc_lo, exec_lo, s30
	s_wait_dscnt 0x6
	v_dual_mul_f32 v16, v41, v45 :: v_dual_mul_f32 v29, v40, v45
	v_dual_mul_f32 v31, v41, v47 :: v_dual_mul_f32 v33, v40, v47
	s_wait_dscnt 0x5
	v_dual_mul_f32 v35, v49, v45 :: v_dual_mul_f32 v37, v48, v45
	v_dual_mul_f32 v39, v49, v47 :: v_dual_mul_f32 v45, v48, v47
	v_dual_fma_f32 v16, v40, v44, -v16 :: v_dual_fmac_f32 v29, v41, v44
	v_dual_fma_f32 v31, v40, v46, -v31 :: v_dual_fmac_f32 v33, v41, v46
	s_delay_alu instid0(VALU_DEP_4) | instskip(NEXT) | instid1(VALU_DEP_3)
	v_dual_fma_f32 v35, v48, v44, -v35 :: v_dual_fmac_f32 v37, v49, v44
	v_dual_add_f32 v16, v36, v16 :: v_dual_add_f32 v36, v38, v29
	v_fma_f32 v29, v48, v46, -v39
	s_delay_alu instid0(VALU_DEP_4) | instskip(NEXT) | instid1(VALU_DEP_4)
	v_dual_add_f32 v32, v32, v31 :: v_dual_add_f32 v33, v34, v33
	v_dual_add_f32 v34, v28, v35 :: v_dual_add_f32 v35, v30, v37
	s_wait_dscnt 0x1
	v_dual_mul_f32 v37, v43, v65 :: v_dual_fmac_f32 v45, v49, v46
	v_add_f32_e32 v24, v24, v29
	ds_load_2addr_b64 v[28:31], v25 offset0:64 offset1:80
	v_dual_mul_f32 v38, v42, v65 :: v_dual_fma_f32 v37, v42, v64, -v37
	v_dual_mul_f32 v39, v43, v67 :: v_dual_add_f32 v26, v26, v45
	s_delay_alu instid0(VALU_DEP_2) | instskip(NEXT) | instid1(VALU_DEP_2)
	v_dual_mul_f32 v40, v42, v67 :: v_dual_fmac_f32 v38, v43, v64
	v_dual_add_f32 v16, v16, v37 :: v_dual_fma_f32 v37, v42, v66, -v39
	v_mul_f32_e32 v39, v51, v65
	s_delay_alu instid0(VALU_DEP_3) | instskip(NEXT) | instid1(VALU_DEP_4)
	v_fmac_f32_e32 v40, v43, v66
	v_dual_add_f32 v36, v36, v38 :: v_dual_mul_f32 v38, v50, v65
	s_delay_alu instid0(VALU_DEP_3) | instskip(NEXT) | instid1(VALU_DEP_3)
	v_dual_add_f32 v37, v32, v37 :: v_dual_fma_f32 v32, v50, v64, -v39
	v_dual_mul_f32 v39, v51, v67 :: v_dual_add_f32 v40, v33, v40
	s_delay_alu instid0(VALU_DEP_3) | instskip(SKIP_1) | instid1(VALU_DEP_3)
	v_dual_fmac_f32 v38, v51, v64 :: v_dual_mul_f32 v41, v50, v67
	s_wait_dscnt 0x0
	v_dual_add_f32 v42, v34, v32 :: v_dual_mul_f32 v33, v53, v29
	s_delay_alu instid0(VALU_DEP_3) | instskip(NEXT) | instid1(VALU_DEP_3)
	v_fma_f32 v32, v50, v66, -v39
	v_dual_add_f32 v38, v35, v38 :: v_dual_mul_f32 v39, v52, v29
	v_fmac_f32_e32 v41, v51, v66
	s_delay_alu instid0(VALU_DEP_4) | instskip(NEXT) | instid1(VALU_DEP_4)
	v_fma_f32 v43, v52, v28, -v33
	v_dual_add_f32 v24, v24, v32 :: v_dual_mul_f32 v44, v53, v31
	ds_load_2addr_b64 v[32:35], v25 offset0:96 offset1:112
	v_dual_fmac_f32 v39, v53, v28 :: v_dual_add_f32 v26, v26, v41
	v_add_f32_e32 v16, v16, v43
	v_dual_mul_f32 v41, v52, v31 :: v_dual_fma_f32 v43, v52, v30, -v44
	s_delay_alu instid0(VALU_DEP_3) | instskip(NEXT) | instid1(VALU_DEP_2)
	v_dual_add_f32 v36, v36, v39 :: v_dual_mul_f32 v39, v69, v29
	v_dual_mul_f32 v29, v68, v29 :: v_dual_fmac_f32 v41, v53, v30
	s_delay_alu instid0(VALU_DEP_3) | instskip(NEXT) | instid1(VALU_DEP_3)
	v_add_f32_e32 v37, v37, v43
	v_dual_mul_f32 v43, v69, v31 :: v_dual_fma_f32 v39, v68, v28, -v39
	s_delay_alu instid0(VALU_DEP_3) | instskip(NEXT) | instid1(VALU_DEP_4)
	v_dual_fmac_f32 v29, v69, v28 :: v_dual_mul_f32 v44, v68, v31
	v_add_f32_e32 v40, v40, v41
	s_delay_alu instid0(VALU_DEP_3) | instskip(NEXT) | instid1(VALU_DEP_3)
	v_dual_fma_f32 v28, v68, v30, -v43 :: v_dual_add_f32 v41, v42, v39
	v_dual_add_f32 v42, v38, v29 :: v_dual_fmac_f32 v44, v69, v30
	s_wait_dscnt 0x0
	s_delay_alu instid0(VALU_DEP_2) | instskip(SKIP_2) | instid1(VALU_DEP_1)
	v_dual_mul_f32 v38, v55, v33 :: v_dual_add_f32 v24, v24, v28
	ds_load_2addr_b64 v[28:31], v25 offset0:128 offset1:144
	v_dual_mul_f32 v39, v54, v33 :: v_dual_mul_f32 v43, v55, v35
	v_dual_fma_f32 v38, v54, v32, -v38 :: v_dual_fmac_f32 v39, v55, v32
	s_delay_alu instid0(VALU_DEP_1) | instskip(NEXT) | instid1(VALU_DEP_3)
	v_dual_add_f32 v26, v26, v44 :: v_dual_add_f32 v16, v16, v38
	v_dual_mul_f32 v44, v54, v35 :: v_dual_fma_f32 v43, v54, v34, -v43
	s_delay_alu instid0(VALU_DEP_3) | instskip(NEXT) | instid1(VALU_DEP_2)
	v_dual_mul_f32 v38, v71, v33 :: v_dual_add_f32 v45, v36, v39
	v_dual_mul_f32 v33, v70, v33 :: v_dual_fmac_f32 v44, v55, v34
	s_delay_alu instid0(VALU_DEP_2)
	v_dual_add_f32 v46, v37, v43 :: v_dual_fma_f32 v43, v70, v32, -v38
	v_mul_f32_e32 v47, v71, v35
	ds_load_b128 v[36:39], v27 offset:1056
	v_add_f32_e32 v44, v40, v44
	v_dual_fmac_f32 v33, v71, v32 :: v_dual_mul_f32 v40, v70, v35
	v_dual_fma_f32 v32, v70, v34, -v47 :: v_dual_add_f32 v47, v41, v43
	s_wait_dscnt 0x1
	v_mul_f32_e32 v35, v57, v29
	s_delay_alu instid0(VALU_DEP_3) | instskip(NEXT) | instid1(VALU_DEP_3)
	v_dual_add_f32 v48, v42, v33 :: v_dual_fmac_f32 v40, v71, v34
	v_add_f32_e32 v24, v24, v32
	s_delay_alu instid0(VALU_DEP_3) | instskip(NEXT) | instid1(VALU_DEP_3)
	v_dual_mul_f32 v49, v56, v29 :: v_dual_fma_f32 v41, v56, v28, -v35
	v_dual_mul_f32 v42, v57, v31 :: v_dual_add_f32 v26, v26, v40
	ds_load_2addr_b64 v[32:35], v25 offset0:160 offset1:176
	v_dual_fmac_f32 v49, v57, v28 :: v_dual_add_f32 v16, v16, v41
	v_dual_fma_f32 v50, v56, v30, -v42 :: v_dual_mul_f32 v51, v56, v31
	ds_load_b128 v[40:43], v27 offset:1072
	s_wait_dscnt 0x2
	v_dual_mul_f32 v52, v37, v29 :: v_dual_mul_f32 v29, v36, v29
	v_dual_add_f32 v45, v45, v49 :: v_dual_add_f32 v46, v46, v50
	s_delay_alu instid0(VALU_DEP_2) | instskip(NEXT) | instid1(VALU_DEP_3)
	v_dual_fmac_f32 v51, v57, v30 :: v_dual_fma_f32 v49, v36, v28, -v52
	v_dual_mul_f32 v50, v37, v31 :: v_dual_fmac_f32 v29, v37, v28
	s_delay_alu instid0(VALU_DEP_2) | instskip(NEXT) | instid1(VALU_DEP_2)
	v_dual_add_f32 v44, v44, v51 :: v_dual_add_f32 v47, v47, v49
	v_dual_mul_f32 v51, v36, v31 :: v_dual_fma_f32 v28, v36, v30, -v50
	s_delay_alu instid0(VALU_DEP_3) | instskip(SKIP_2) | instid1(VALU_DEP_3)
	v_add_f32_e32 v36, v48, v29
	s_wait_dscnt 0x1
	v_dual_mul_f32 v48, v59, v33 :: v_dual_mul_f32 v49, v59, v35
	v_dual_fmac_f32 v51, v37, v30 :: v_dual_add_f32 v24, v24, v28
	ds_load_2addr_b64 v[28:31], v25 offset0:192 offset1:208
	v_dual_mul_f32 v37, v58, v33 :: v_dual_fma_f32 v48, v58, v32, -v48
	s_delay_alu instid0(VALU_DEP_1) | instskip(NEXT) | instid1(VALU_DEP_2)
	v_dual_mul_f32 v50, v58, v35 :: v_dual_fmac_f32 v37, v59, v32
	v_dual_add_f32 v26, v26, v51 :: v_dual_add_f32 v16, v16, v48
	s_delay_alu instid0(VALU_DEP_2) | instskip(NEXT) | instid1(VALU_DEP_3)
	v_dual_fma_f32 v48, v58, v34, -v49 :: v_dual_fmac_f32 v50, v59, v34
	v_add_f32_e32 v37, v45, v37
	v_dual_mul_f32 v45, v39, v33 :: v_dual_mul_f32 v33, v38, v33
	s_delay_alu instid0(VALU_DEP_3) | instskip(NEXT) | instid1(VALU_DEP_2)
	v_dual_add_f32 v48, v46, v48 :: v_dual_mul_f32 v46, v39, v35
	v_dual_add_f32 v49, v44, v50 :: v_dual_fma_f32 v45, v38, v32, -v45
	s_delay_alu instid0(VALU_DEP_3) | instskip(SKIP_1) | instid1(VALU_DEP_3)
	v_dual_fmac_f32 v33, v39, v32 :: v_dual_mul_f32 v32, v38, v35
	s_wait_dscnt 0x0
	v_dual_fma_f32 v35, v38, v34, -v46 :: v_dual_mul_f32 v44, v61, v29
	s_delay_alu instid0(VALU_DEP_3) | instskip(NEXT) | instid1(VALU_DEP_3)
	v_add_f32_e32 v38, v47, v45
	v_dual_fmac_f32 v32, v39, v34 :: v_dual_mul_f32 v34, v60, v29
	s_delay_alu instid0(VALU_DEP_3) | instskip(NEXT) | instid1(VALU_DEP_4)
	v_add_f32_e32 v24, v24, v35
	v_fma_f32 v35, v60, v28, -v44
	ds_load_2addr_b64 v[44:47], v25 offset0:224 offset1:240
	v_dual_add_f32 v33, v36, v33 :: v_dual_add_f32 v26, v26, v32
	v_dual_mul_f32 v32, v61, v31 :: v_dual_fmac_f32 v34, v61, v28
	v_dual_add_f32 v16, v16, v35 :: v_dual_mul_f32 v36, v41, v29
	s_delay_alu instid0(VALU_DEP_2) | instskip(NEXT) | instid1(VALU_DEP_3)
	v_dual_mul_f32 v35, v60, v31 :: v_dual_fma_f32 v32, v60, v30, -v32
	v_dual_mul_f32 v29, v40, v29 :: v_dual_add_f32 v34, v37, v34
	s_delay_alu instid0(VALU_DEP_2) | instskip(NEXT) | instid1(VALU_DEP_3)
	v_dual_fma_f32 v36, v40, v28, -v36 :: v_dual_fmac_f32 v35, v61, v30
	v_add_f32_e32 v32, v48, v32
	s_delay_alu instid0(VALU_DEP_3) | instskip(SKIP_1) | instid1(VALU_DEP_4)
	v_dual_fmac_f32 v29, v41, v28 :: v_dual_mul_f32 v28, v41, v31
	v_mul_f32_e32 v31, v40, v31
	v_dual_add_f32 v35, v49, v35 :: v_dual_add_f32 v37, v38, v36
	s_delay_alu instid0(VALU_DEP_3) | instskip(SKIP_3) | instid1(VALU_DEP_3)
	v_dual_add_f32 v29, v33, v29 :: v_dual_fma_f32 v28, v40, v30, -v28
	s_wait_dscnt 0x0
	v_dual_mul_f32 v33, v63, v45 :: v_dual_mul_f32 v38, v62, v45
	v_dual_fmac_f32 v31, v41, v30 :: v_dual_mul_f32 v30, v63, v47
	v_add_f32_e32 v24, v24, v28
	s_delay_alu instid0(VALU_DEP_3) | instskip(NEXT) | instid1(VALU_DEP_3)
	v_dual_fma_f32 v28, v62, v44, -v33 :: v_dual_fmac_f32 v38, v63, v44
	v_dual_mul_f32 v33, v62, v47 :: v_dual_fma_f32 v30, v62, v46, -v30
	s_delay_alu instid0(VALU_DEP_2) | instskip(NEXT) | instid1(VALU_DEP_3)
	v_dual_add_f32 v26, v26, v31 :: v_dual_add_f32 v36, v16, v28
	v_dual_add_f32 v38, v34, v38 :: v_dual_mul_f32 v16, v43, v45
	s_delay_alu instid0(VALU_DEP_3) | instskip(NEXT) | instid1(VALU_DEP_4)
	v_fmac_f32_e32 v33, v63, v46
	v_dual_add_f32 v32, v32, v30 :: v_dual_mul_f32 v28, v43, v47
	v_dual_mul_f32 v30, v42, v45 :: v_dual_mul_f32 v31, v42, v47
	s_delay_alu instid0(VALU_DEP_3) | instskip(NEXT) | instid1(VALU_DEP_2)
	v_dual_add_f32 v34, v35, v33 :: v_dual_fma_f32 v16, v42, v44, -v16
	v_dual_fma_f32 v33, v42, v46, -v28 :: v_dual_fmac_f32 v30, v43, v44
	s_delay_alu instid0(VALU_DEP_3) | instskip(NEXT) | instid1(VALU_DEP_2)
	v_fmac_f32_e32 v31, v43, v46
	v_dual_add_f32 v28, v37, v16 :: v_dual_add_f32 v24, v24, v33
	s_delay_alu instid0(VALU_DEP_2)
	v_dual_add_f32 v30, v29, v30 :: v_dual_add_f32 v26, v26, v31
	s_barrier_signal -1
	s_barrier_wait -1
	s_cbranch_vccz .LBB517_15
.LBB517_9:                              ;   Parent Loop BB517_6 Depth=1
                                        ; =>  This Inner Loop Header: Depth=2
	v_dual_mov_b32 v40, 0 :: v_dual_mov_b32 v41, 0
	s_and_saveexec_b32 s30, s0
	s_cbranch_execz .LBB517_13
; %bb.10:                               ;   in Loop: Header=BB517_9 Depth=2
	v_dual_mov_b32 v41, 0 :: v_dual_add_nc_u32 v16, s28, v2
	v_mov_b32_e32 v40, 0
	s_mov_b32 s31, exec_lo
	s_delay_alu instid0(VALU_DEP_2)
	v_cmpx_gt_u64_e64 s[8:9], v[16:17]
	s_cbranch_execz .LBB517_12
; %bb.11:                               ;   in Loop: Header=BB517_9 Depth=2
	v_lshl_add_u64 v[40:41], v[16:17], 3, v[20:21]
	flat_load_b64 v[40:41], v[40:41]
.LBB517_12:                             ;   in Loop: Header=BB517_9 Depth=2
	s_wait_xcnt 0x0
	s_or_b32 exec_lo, exec_lo, s31
.LBB517_13:                             ;   in Loop: Header=BB517_9 Depth=2
	s_delay_alu instid0(SALU_CYCLE_1)
	s_or_b32 exec_lo, exec_lo, s30
	v_dual_add_nc_u32 v16, s28, v0 :: v_dual_mov_b32 v42, 0
	v_mov_b32_e32 v43, 0
	s_wait_loadcnt_dscnt 0x0
	ds_store_b64 v1, v[40:41]
	v_cmp_gt_u64_e32 vcc_lo, s[8:9], v[16:17]
	s_and_b32 s31, vcc_lo, s1
	s_delay_alu instid0(SALU_CYCLE_1)
	s_and_saveexec_b32 s30, s31
	s_cbranch_execz .LBB517_8
; %bb.14:                               ;   in Loop: Header=BB517_9 Depth=2
	v_mul_u64_e32 v[40:41], s[20:21], v[16:17]
	s_delay_alu instid0(VALU_DEP_1)
	v_lshl_add_u64 v[40:41], v[40:41], 3, v[22:23]
	flat_load_b64 v[42:43], v[40:41]
	s_branch .LBB517_8
.LBB517_15:                             ;   in Loop: Header=BB517_6 Depth=1
	s_wait_loadcnt 0x0
	v_add_nc_u64_e32 v[18:19], s[22:23], v[18:19]
	s_delay_alu instid0(VALU_DEP_1)
	v_lshl_add_u64 v[20:21], v[10:11], 3, v[18:19]
	s_wait_xcnt 0x0
	s_and_saveexec_b32 s28, s35
	s_cbranch_execz .LBB517_20
; %bb.16:                               ;   in Loop: Header=BB517_6 Depth=1
	v_mov_b64_e32 v[22:23], s[4:5]
	v_mov_b64_e32 v[40:41], s[24:25]
	s_and_b32 vcc_lo, exec_lo, s34
	s_mov_b32 s29, -1
	s_delay_alu instid0(VALU_DEP_2) | instskip(NEXT) | instid1(VALU_DEP_1)
	v_pk_mul_f32 v[22:23], v[38:39], v[22:23] op_sel_hi:[0,1]
	v_pk_fma_f32 v[38:39], v[36:37], v[40:41], v[22:23] op_sel_hi:[0,1,1]
	v_pk_fma_f32 v[22:23], v[36:37], v[40:41], v[22:23] neg_lo:[0,0,1] neg_hi:[0,0,1]
	v_lshl_add_u64 v[36:37], v[8:9], 3, v[20:21]
	s_delay_alu instid0(VALU_DEP_3)
	v_mov_b32_e32 v23, v39
	s_cbranch_vccz .LBB517_18
; %bb.17:                               ;   in Loop: Header=BB517_6 Depth=1
	flat_load_b64 v[38:39], v[36:37]
	v_mov_b64_e32 v[40:41], s[6:7]
	v_mov_b64_e32 v[42:43], s[2:3]
	s_mov_b32 s29, 0
	s_wait_loadcnt_dscnt 0x0
	s_delay_alu instid0(VALU_DEP_2) | instskip(NEXT) | instid1(VALU_DEP_1)
	v_pk_mul_f32 v[40:41], v[38:39], v[40:41]
	v_pk_fma_f32 v[44:45], v[38:39], v[42:43], v[40:41] op_sel:[0,0,1] op_sel_hi:[1,1,0]
	v_pk_fma_f32 v[38:39], v[38:39], v[42:43], v[40:41] op_sel:[0,0,1] op_sel_hi:[1,1,0] neg_lo:[0,0,1] neg_hi:[0,0,1]
	s_delay_alu instid0(VALU_DEP_2) | instskip(NEXT) | instid1(VALU_DEP_1)
	v_mov_b32_e32 v39, v45
	v_pk_add_f32 v[38:39], v[22:23], v[38:39]
	flat_store_b64 v[36:37], v[38:39]
.LBB517_18:                             ;   in Loop: Header=BB517_6 Depth=1
	s_and_not1_b32 vcc_lo, exec_lo, s29
	s_cbranch_vccnz .LBB517_20
; %bb.19:                               ;   in Loop: Header=BB517_6 Depth=1
	flat_store_b64 v[36:37], v[22:23]
.LBB517_20:                             ;   in Loop: Header=BB517_6 Depth=1
	s_wait_xcnt 0x0
	s_or_b32 exec_lo, exec_lo, s28
	s_and_saveexec_b32 s28, s36
	s_cbranch_execz .LBB517_25
; %bb.21:                               ;   in Loop: Header=BB517_6 Depth=1
	v_mov_b64_e32 v[22:23], s[4:5]
	v_mov_b64_e32 v[36:37], s[24:25]
	v_lshl_add_u64 v[20:21], v[14:15], 3, v[20:21]
	s_and_not1_b32 vcc_lo, exec_lo, s34
	s_mov_b32 s29, -1
	s_delay_alu instid0(VALU_DEP_3) | instskip(NEXT) | instid1(VALU_DEP_1)
	v_pk_mul_f32 v[22:23], v[34:35], v[22:23] op_sel_hi:[0,1]
	v_pk_fma_f32 v[34:35], v[32:33], v[36:37], v[22:23] op_sel_hi:[0,1,1]
	v_pk_fma_f32 v[22:23], v[32:33], v[36:37], v[22:23] neg_lo:[0,0,1] neg_hi:[0,0,1]
	s_delay_alu instid0(VALU_DEP_2)
	v_mov_b32_e32 v23, v35
	s_cbranch_vccnz .LBB517_23
; %bb.22:                               ;   in Loop: Header=BB517_6 Depth=1
	flat_load_b64 v[32:33], v[20:21]
	v_mov_b64_e32 v[34:35], s[6:7]
	v_mov_b64_e32 v[36:37], s[2:3]
	s_mov_b32 s29, 0
	s_wait_loadcnt_dscnt 0x0
	s_delay_alu instid0(VALU_DEP_2) | instskip(NEXT) | instid1(VALU_DEP_1)
	v_pk_mul_f32 v[34:35], v[32:33], v[34:35]
	v_pk_fma_f32 v[38:39], v[32:33], v[36:37], v[34:35] op_sel:[0,0,1] op_sel_hi:[1,1,0]
	v_pk_fma_f32 v[32:33], v[32:33], v[36:37], v[34:35] op_sel:[0,0,1] op_sel_hi:[1,1,0] neg_lo:[0,0,1] neg_hi:[0,0,1]
	s_delay_alu instid0(VALU_DEP_2) | instskip(NEXT) | instid1(VALU_DEP_1)
	v_mov_b32_e32 v33, v39
	v_pk_add_f32 v[32:33], v[22:23], v[32:33]
	flat_store_b64 v[20:21], v[32:33]
.LBB517_23:                             ;   in Loop: Header=BB517_6 Depth=1
	s_and_not1_b32 vcc_lo, exec_lo, s29
	s_cbranch_vccnz .LBB517_25
; %bb.24:                               ;   in Loop: Header=BB517_6 Depth=1
	flat_store_b64 v[20:21], v[22:23]
.LBB517_25:                             ;   in Loop: Header=BB517_6 Depth=1
	s_wait_xcnt 0x0
	s_or_b32 exec_lo, exec_lo, s28
	v_lshl_add_u64 v[18:19], v[12:13], 3, v[18:19]
	s_and_saveexec_b32 s28, s37
	s_cbranch_execz .LBB517_30
; %bb.26:                               ;   in Loop: Header=BB517_6 Depth=1
	v_mov_b64_e32 v[20:21], s[4:5]
	v_mov_b64_e32 v[22:23], s[24:25]
	s_and_not1_b32 vcc_lo, exec_lo, s34
	s_mov_b32 s29, -1
	s_delay_alu instid0(VALU_DEP_2) | instskip(NEXT) | instid1(VALU_DEP_1)
	v_pk_mul_f32 v[20:21], v[30:31], v[20:21] op_sel_hi:[0,1]
	v_pk_fma_f32 v[30:31], v[28:29], v[22:23], v[20:21] op_sel_hi:[0,1,1]
	v_pk_fma_f32 v[20:21], v[28:29], v[22:23], v[20:21] neg_lo:[0,0,1] neg_hi:[0,0,1]
	v_lshl_add_u64 v[22:23], v[8:9], 3, v[18:19]
	s_delay_alu instid0(VALU_DEP_3)
	v_mov_b32_e32 v21, v31
	s_cbranch_vccnz .LBB517_28
; %bb.27:                               ;   in Loop: Header=BB517_6 Depth=1
	flat_load_b64 v[28:29], v[22:23]
	v_mov_b64_e32 v[30:31], s[6:7]
	v_mov_b64_e32 v[32:33], s[2:3]
	s_mov_b32 s29, 0
	s_wait_loadcnt_dscnt 0x0
	s_delay_alu instid0(VALU_DEP_2) | instskip(NEXT) | instid1(VALU_DEP_1)
	v_pk_mul_f32 v[30:31], v[28:29], v[30:31]
	v_pk_fma_f32 v[34:35], v[28:29], v[32:33], v[30:31] op_sel:[0,0,1] op_sel_hi:[1,1,0]
	v_pk_fma_f32 v[28:29], v[28:29], v[32:33], v[30:31] op_sel:[0,0,1] op_sel_hi:[1,1,0] neg_lo:[0,0,1] neg_hi:[0,0,1]
	s_delay_alu instid0(VALU_DEP_2) | instskip(NEXT) | instid1(VALU_DEP_1)
	v_mov_b32_e32 v29, v35
	v_pk_add_f32 v[28:29], v[20:21], v[28:29]
	flat_store_b64 v[22:23], v[28:29]
.LBB517_28:                             ;   in Loop: Header=BB517_6 Depth=1
	s_and_not1_b32 vcc_lo, exec_lo, s29
	s_cbranch_vccnz .LBB517_30
; %bb.29:                               ;   in Loop: Header=BB517_6 Depth=1
	flat_store_b64 v[22:23], v[20:21]
.LBB517_30:                             ;   in Loop: Header=BB517_6 Depth=1
	s_wait_xcnt 0x0
	s_or_b32 exec_lo, exec_lo, s28
	s_and_saveexec_b32 s28, s38
	s_cbranch_execz .LBB517_5
; %bb.31:                               ;   in Loop: Header=BB517_6 Depth=1
	v_mov_b64_e32 v[20:21], s[4:5]
	v_mov_b64_e32 v[22:23], s[24:25]
	v_lshl_add_u64 v[18:19], v[14:15], 3, v[18:19]
	s_and_not1_b32 vcc_lo, exec_lo, s34
	s_mov_b32 s29, -1
	s_delay_alu instid0(VALU_DEP_3) | instskip(NEXT) | instid1(VALU_DEP_1)
	v_pk_mul_f32 v[20:21], v[26:27], v[20:21] op_sel_hi:[0,1]
	v_pk_fma_f32 v[28:29], v[24:25], v[22:23], v[20:21] op_sel_hi:[0,1,1]
	v_pk_fma_f32 v[20:21], v[24:25], v[22:23], v[20:21] neg_lo:[0,0,1] neg_hi:[0,0,1]
	s_delay_alu instid0(VALU_DEP_2)
	v_mov_b32_e32 v21, v29
	s_cbranch_vccnz .LBB517_33
; %bb.32:                               ;   in Loop: Header=BB517_6 Depth=1
	flat_load_b64 v[22:23], v[18:19]
	v_mov_b64_e32 v[28:29], s[6:7]
	v_mov_b64_e32 v[30:31], s[2:3]
	s_mov_b32 s29, 0
	s_wait_loadcnt_dscnt 0x0
	s_delay_alu instid0(VALU_DEP_2) | instskip(NEXT) | instid1(VALU_DEP_1)
	v_pk_mul_f32 v[28:29], v[22:23], v[28:29]
	v_pk_fma_f32 v[32:33], v[22:23], v[30:31], v[28:29] op_sel:[0,0,1] op_sel_hi:[1,1,0]
	v_pk_fma_f32 v[22:23], v[22:23], v[30:31], v[28:29] op_sel:[0,0,1] op_sel_hi:[1,1,0] neg_lo:[0,0,1] neg_hi:[0,0,1]
	s_delay_alu instid0(VALU_DEP_2) | instskip(NEXT) | instid1(VALU_DEP_1)
	v_mov_b32_e32 v23, v33
	v_pk_add_f32 v[22:23], v[20:21], v[22:23]
	flat_store_b64 v[18:19], v[22:23]
.LBB517_33:                             ;   in Loop: Header=BB517_6 Depth=1
	s_and_not1_b32 vcc_lo, exec_lo, s29
	s_cbranch_vccnz .LBB517_5
; %bb.34:                               ;   in Loop: Header=BB517_6 Depth=1
	flat_store_b64 v[18:19], v[20:21]
	s_branch .LBB517_5
.LBB517_35:
	s_sendmsg sendmsg(MSG_DEALLOC_VGPRS)
	s_endpgm
	.section	.rodata,"a",@progbits
	.p2align	6, 0x0
	.amdhsa_kernel _ZL29rocblas_internal_gemmt_kernelIlLi16ELi32ELi8ELc84ELc84ELc76ELb0ELb0E19rocblas_complex_numIfEPKS1_PKS3_PKPS1_EviT_T9_T10_S9_lSB_S9_lSA_T11_S9_li
		.amdhsa_group_segment_fixed_size 4096
		.amdhsa_private_segment_fixed_size 0
		.amdhsa_kernarg_size 108
		.amdhsa_user_sgpr_count 2
		.amdhsa_user_sgpr_dispatch_ptr 0
		.amdhsa_user_sgpr_queue_ptr 0
		.amdhsa_user_sgpr_kernarg_segment_ptr 1
		.amdhsa_user_sgpr_dispatch_id 0
		.amdhsa_user_sgpr_kernarg_preload_length 0
		.amdhsa_user_sgpr_kernarg_preload_offset 0
		.amdhsa_user_sgpr_private_segment_size 0
		.amdhsa_wavefront_size32 1
		.amdhsa_uses_dynamic_stack 0
		.amdhsa_enable_private_segment 0
		.amdhsa_system_sgpr_workgroup_id_x 1
		.amdhsa_system_sgpr_workgroup_id_y 1
		.amdhsa_system_sgpr_workgroup_id_z 1
		.amdhsa_system_sgpr_workgroup_info 0
		.amdhsa_system_vgpr_workitem_id 1
		.amdhsa_next_free_vgpr 72
		.amdhsa_next_free_sgpr 41
		.amdhsa_named_barrier_count 0
		.amdhsa_reserve_vcc 1
		.amdhsa_float_round_mode_32 0
		.amdhsa_float_round_mode_16_64 0
		.amdhsa_float_denorm_mode_32 3
		.amdhsa_float_denorm_mode_16_64 3
		.amdhsa_fp16_overflow 0
		.amdhsa_memory_ordered 1
		.amdhsa_forward_progress 1
		.amdhsa_inst_pref_size 26
		.amdhsa_round_robin_scheduling 0
		.amdhsa_exception_fp_ieee_invalid_op 0
		.amdhsa_exception_fp_denorm_src 0
		.amdhsa_exception_fp_ieee_div_zero 0
		.amdhsa_exception_fp_ieee_overflow 0
		.amdhsa_exception_fp_ieee_underflow 0
		.amdhsa_exception_fp_ieee_inexact 0
		.amdhsa_exception_int_div_zero 0
	.end_amdhsa_kernel
	.section	.text._ZL29rocblas_internal_gemmt_kernelIlLi16ELi32ELi8ELc84ELc84ELc76ELb0ELb0E19rocblas_complex_numIfEPKS1_PKS3_PKPS1_EviT_T9_T10_S9_lSB_S9_lSA_T11_S9_li,"axG",@progbits,_ZL29rocblas_internal_gemmt_kernelIlLi16ELi32ELi8ELc84ELc84ELc76ELb0ELb0E19rocblas_complex_numIfEPKS1_PKS3_PKPS1_EviT_T9_T10_S9_lSB_S9_lSA_T11_S9_li,comdat
.Lfunc_end517:
	.size	_ZL29rocblas_internal_gemmt_kernelIlLi16ELi32ELi8ELc84ELc84ELc76ELb0ELb0E19rocblas_complex_numIfEPKS1_PKS3_PKPS1_EviT_T9_T10_S9_lSB_S9_lSA_T11_S9_li, .Lfunc_end517-_ZL29rocblas_internal_gemmt_kernelIlLi16ELi32ELi8ELc84ELc84ELc76ELb0ELb0E19rocblas_complex_numIfEPKS1_PKS3_PKPS1_EviT_T9_T10_S9_lSB_S9_lSA_T11_S9_li
                                        ; -- End function
	.set _ZL29rocblas_internal_gemmt_kernelIlLi16ELi32ELi8ELc84ELc84ELc76ELb0ELb0E19rocblas_complex_numIfEPKS1_PKS3_PKPS1_EviT_T9_T10_S9_lSB_S9_lSA_T11_S9_li.num_vgpr, 72
	.set _ZL29rocblas_internal_gemmt_kernelIlLi16ELi32ELi8ELc84ELc84ELc76ELb0ELb0E19rocblas_complex_numIfEPKS1_PKS3_PKPS1_EviT_T9_T10_S9_lSB_S9_lSA_T11_S9_li.num_agpr, 0
	.set _ZL29rocblas_internal_gemmt_kernelIlLi16ELi32ELi8ELc84ELc84ELc76ELb0ELb0E19rocblas_complex_numIfEPKS1_PKS3_PKPS1_EviT_T9_T10_S9_lSB_S9_lSA_T11_S9_li.numbered_sgpr, 41
	.set _ZL29rocblas_internal_gemmt_kernelIlLi16ELi32ELi8ELc84ELc84ELc76ELb0ELb0E19rocblas_complex_numIfEPKS1_PKS3_PKPS1_EviT_T9_T10_S9_lSB_S9_lSA_T11_S9_li.num_named_barrier, 0
	.set _ZL29rocblas_internal_gemmt_kernelIlLi16ELi32ELi8ELc84ELc84ELc76ELb0ELb0E19rocblas_complex_numIfEPKS1_PKS3_PKPS1_EviT_T9_T10_S9_lSB_S9_lSA_T11_S9_li.private_seg_size, 0
	.set _ZL29rocblas_internal_gemmt_kernelIlLi16ELi32ELi8ELc84ELc84ELc76ELb0ELb0E19rocblas_complex_numIfEPKS1_PKS3_PKPS1_EviT_T9_T10_S9_lSB_S9_lSA_T11_S9_li.uses_vcc, 1
	.set _ZL29rocblas_internal_gemmt_kernelIlLi16ELi32ELi8ELc84ELc84ELc76ELb0ELb0E19rocblas_complex_numIfEPKS1_PKS3_PKPS1_EviT_T9_T10_S9_lSB_S9_lSA_T11_S9_li.uses_flat_scratch, 0
	.set _ZL29rocblas_internal_gemmt_kernelIlLi16ELi32ELi8ELc84ELc84ELc76ELb0ELb0E19rocblas_complex_numIfEPKS1_PKS3_PKPS1_EviT_T9_T10_S9_lSB_S9_lSA_T11_S9_li.has_dyn_sized_stack, 0
	.set _ZL29rocblas_internal_gemmt_kernelIlLi16ELi32ELi8ELc84ELc84ELc76ELb0ELb0E19rocblas_complex_numIfEPKS1_PKS3_PKPS1_EviT_T9_T10_S9_lSB_S9_lSA_T11_S9_li.has_recursion, 0
	.set _ZL29rocblas_internal_gemmt_kernelIlLi16ELi32ELi8ELc84ELc84ELc76ELb0ELb0E19rocblas_complex_numIfEPKS1_PKS3_PKPS1_EviT_T9_T10_S9_lSB_S9_lSA_T11_S9_li.has_indirect_call, 0
	.section	.AMDGPU.csdata,"",@progbits
; Kernel info:
; codeLenInByte = 3220
; TotalNumSgprs: 43
; NumVgprs: 72
; ScratchSize: 0
; MemoryBound: 0
; FloatMode: 240
; IeeeMode: 1
; LDSByteSize: 4096 bytes/workgroup (compile time only)
; SGPRBlocks: 0
; VGPRBlocks: 4
; NumSGPRsForWavesPerEU: 43
; NumVGPRsForWavesPerEU: 72
; NamedBarCnt: 0
; Occupancy: 12
; WaveLimiterHint : 1
; COMPUTE_PGM_RSRC2:SCRATCH_EN: 0
; COMPUTE_PGM_RSRC2:USER_SGPR: 2
; COMPUTE_PGM_RSRC2:TRAP_HANDLER: 0
; COMPUTE_PGM_RSRC2:TGID_X_EN: 1
; COMPUTE_PGM_RSRC2:TGID_Y_EN: 1
; COMPUTE_PGM_RSRC2:TGID_Z_EN: 1
; COMPUTE_PGM_RSRC2:TIDIG_COMP_CNT: 1
	.section	.text._ZL29rocblas_internal_gemmt_kernelIlLi16ELi32ELi8ELc84ELc67ELc76ELb0ELb1E19rocblas_complex_numIfEPKS1_PKS3_PKPS1_EviT_T9_T10_S9_lSB_S9_lSA_T11_S9_li,"axG",@progbits,_ZL29rocblas_internal_gemmt_kernelIlLi16ELi32ELi8ELc84ELc67ELc76ELb0ELb1E19rocblas_complex_numIfEPKS1_PKS3_PKPS1_EviT_T9_T10_S9_lSB_S9_lSA_T11_S9_li,comdat
	.globl	_ZL29rocblas_internal_gemmt_kernelIlLi16ELi32ELi8ELc84ELc67ELc76ELb0ELb1E19rocblas_complex_numIfEPKS1_PKS3_PKPS1_EviT_T9_T10_S9_lSB_S9_lSA_T11_S9_li ; -- Begin function _ZL29rocblas_internal_gemmt_kernelIlLi16ELi32ELi8ELc84ELc67ELc76ELb0ELb1E19rocblas_complex_numIfEPKS1_PKS3_PKPS1_EviT_T9_T10_S9_lSB_S9_lSA_T11_S9_li
	.p2align	8
	.type	_ZL29rocblas_internal_gemmt_kernelIlLi16ELi32ELi8ELc84ELc67ELc76ELb0ELb1E19rocblas_complex_numIfEPKS1_PKS3_PKPS1_EviT_T9_T10_S9_lSB_S9_lSA_T11_S9_li,@function
_ZL29rocblas_internal_gemmt_kernelIlLi16ELi32ELi8ELc84ELc67ELc76ELb0ELb1E19rocblas_complex_numIfEPKS1_PKS3_PKPS1_EviT_T9_T10_S9_lSB_S9_lSA_T11_S9_li: ; @_ZL29rocblas_internal_gemmt_kernelIlLi16ELi32ELi8ELc84ELc67ELc76ELb0ELb1E19rocblas_complex_numIfEPKS1_PKS3_PKPS1_EviT_T9_T10_S9_lSB_S9_lSA_T11_S9_li
; %bb.0:
	s_load_b256 s[24:31], s[0:1], 0x48
	s_wait_kmcnt 0x0
	s_load_b64 s[6:7], s[24:25], 0x0
	s_load_b512 s[8:23], s[0:1], 0x8
	s_wait_kmcnt 0x0
	s_cmp_neq_f32 s6, 1.0
	s_load_b64 s[24:25], s[10:11], 0x0
	s_cselect_b32 s3, -1, 0
	s_and_b32 s4, s7, 0x7fffffff
	s_delay_alu instid0(SALU_CYCLE_1) | instskip(SKIP_3) | instid1(SALU_CYCLE_1)
	s_cmp_eq_u32 s4, 0
	s_cselect_b32 s2, -1, 0
	s_cmp_lg_u32 s4, 0
	s_cselect_b32 s4, -1, 0
	s_or_b32 s3, s3, s4
	s_delay_alu instid0(SALU_CYCLE_1)
	s_and_b32 vcc_lo, exec_lo, s3
	s_cbranch_vccnz .LBB518_2
; %bb.1:
	s_cmp_lg_u64 s[8:9], 0
	s_cselect_b32 s3, -1, 0
	s_wait_kmcnt 0x0
	s_cmp_neq_f32 s24, 0
	s_cselect_b32 s4, -1, 0
	s_cmp_neq_f32 s25, 0
	s_cselect_b32 s5, -1, 0
	s_delay_alu instid0(SALU_CYCLE_1) | instskip(NEXT) | instid1(SALU_CYCLE_1)
	s_or_b32 s4, s4, s5
	s_and_b32 s3, s3, s4
.LBB518_2:
	s_delay_alu instid0(SALU_CYCLE_1)
	s_and_not1_b32 vcc_lo, exec_lo, s3
	s_cbranch_vccnz .LBB518_37
; %bb.3:
	s_load_b32 s33, s[0:1], 0x68
	s_bfe_u32 s3, ttmp6, 0x40014
	s_lshr_b32 s4, ttmp7, 16
	s_add_co_i32 s3, s3, 1
	s_wait_xcnt 0x0
	s_bfe_u32 s10, ttmp6, 0x40008
	s_mul_i32 s5, s4, s3
	s_getreg_b32 s3, hwreg(HW_REG_IB_STS2, 6, 4)
	s_add_co_i32 s10, s10, s5
	s_cmp_eq_u32 s3, 0
	s_mov_b32 s11, 0
	s_cselect_b32 s10, s4, s10
	s_wait_kmcnt 0x0
	s_cmp_ge_u32 s10, s33
	s_cbranch_scc1 .LBB518_37
; %bb.4:
	v_and_b32_e32 v9, 0x3ff, v0
	v_bfe_u32 v15, v0, 10, 10
	s_bfe_u32 s4, ttmp6, 0x4000c
	s_bfe_u32 s34, ttmp6, 0x40010
	s_add_co_i32 s4, s4, 1
	s_and_b32 s35, ttmp7, 0xffff
	s_add_co_i32 s34, s34, 1
	v_lshl_add_u32 v1, v15, 4, v9
	s_and_b32 s5, ttmp6, 15
	s_mul_i32 s4, ttmp9, s4
	s_mul_i32 s34, s35, s34
	s_bfe_u32 s36, ttmp6, 0x40004
	s_add_co_i32 s5, s5, s4
	s_add_co_i32 s36, s36, s34
	s_cmp_eq_u32 s3, 0
	s_load_b32 s4, s[0:1], 0x0
	v_dual_lshrrev_b32 v3, 3, v1 :: v_dual_bitop2_b32 v5, 31, v1 bitop3:0x40
	s_wait_xcnt 0x0
	s_cselect_b32 s0, ttmp9, s5
	s_cselect_b32 s1, s35, s36
	s_lshl_b32 s3, s0, 5
	s_lshl_b32 s0, s1, 5
	s_delay_alu instid0(SALU_CYCLE_1) | instskip(SKIP_1) | instid1(VALU_DEP_2)
	v_dual_add_nc_u32 v4, s0, v3 :: v_dual_bitop2_b32 v6, s3, v5 bitop3:0x54
	v_dual_add_nc_u32 v16, s0, v15 :: v_dual_lshrrev_b32 v2, 5, v1
	v_dual_ashrrev_i32 v7, 31, v6 :: v_dual_bitop2_b32 v0, 7, v0 bitop3:0x40
	s_delay_alu instid0(VALU_DEP_2) | instskip(SKIP_1) | instid1(VALU_DEP_3)
	v_dual_lshlrev_b32 v5, 3, v5 :: v_dual_add_nc_u32 v18, 16, v16
	v_ashrrev_i32_e32 v17, 31, v16
	v_lshlrev_b32_e32 v1, 3, v0
	s_cmp_neq_f32 s24, 0
	v_dual_add_nc_u32 v8, s3, v9 :: v_dual_lshlrev_b32 v25, 3, v9
	v_ashrrev_i32_e32 v19, 31, v18
	s_wait_kmcnt 0x0
	v_cmp_gt_i32_e64 s0, s4, v6
	v_lshl_or_b32 v3, v3, 6, v1
	v_lshl_or_b32 v1, v2, 8, v5
	v_mul_u64_e32 v[6:7], s[14:15], v[6:7]
	v_ashrrev_i32_e32 v5, 31, v4
	v_mul_u64_e32 v[10:11], s[28:29], v[16:17]
	v_mul_u64_e32 v[12:13], s[28:29], v[18:19]
	s_cselect_b32 s1, -1, 0
	s_cmp_neq_f32 s25, 0
	v_dual_add_nc_u32 v14, 16, v8 :: v_dual_ashrrev_i32 v9, 31, v8
	v_cmp_gt_i64_e64 s39, s[8:9], 0
	s_cselect_b32 s5, -1, 0
	v_cmp_gt_i32_e32 vcc_lo, s4, v4
	s_or_b32 s38, s1, s5
	s_cmp_neq_f32 s6, 0
	v_cmp_le_i32_e64 s1, v16, v8
	v_add_nc_u32_e32 v3, 0x800, v3
	v_lshl_add_u32 v27, v15, 6, 0x800
	s_cselect_b32 s3, -1, 0
	s_xor_b32 s5, s2, -1
	v_cmp_gt_i32_e64 s2, s4, v8
	s_or_b32 s34, s3, s5
	v_cmp_le_i32_e64 s3, v16, v14
	v_cmp_gt_i32_e64 s4, s4, v14
	v_cmp_le_i32_e64 s5, v18, v14
	s_and_b32 s35, s1, s2
	v_cmp_le_i32_e64 s1, v18, v8
	v_dual_ashrrev_i32 v15, 31, v14 :: v_dual_mov_b32 v17, 0
	s_and_b32 s36, s3, s4
	s_and_b32 s37, s5, s4
	;; [unrolled: 1-line block ×3, first 2 shown]
	s_mov_b32 s2, s6
	s_mov_b32 s3, s6
	;; [unrolled: 1-line block ×5, first 2 shown]
	s_and_b32 s38, s38, s39
	s_lshl_b64 s[14:15], s[22:23], 3
	s_lshl_b64 s[16:17], s[16:17], 3
	s_xor_b32 s39, vcc_lo, -1
	s_lshl_b64 s[22:23], s[30:31], 3
	s_branch .LBB518_6
.LBB518_5:                              ;   in Loop: Header=BB518_6 Depth=1
	s_wait_xcnt 0x0
	s_or_b32 exec_lo, exec_lo, s28
	s_add_co_i32 s10, s10, 0x10000
	s_delay_alu instid0(SALU_CYCLE_1)
	s_cmp_lt_u32 s10, s33
	s_cbranch_scc0 .LBB518_37
.LBB518_6:                              ; =>This Loop Header: Depth=1
                                        ;     Child Loop BB518_9 Depth 2
	v_dual_mov_b32 v16, s10 :: v_dual_mov_b32 v36, v17
	v_dual_mov_b32 v38, v17 :: v_dual_mov_b32 v32, v17
	;; [unrolled: 1-line block ×3, first 2 shown]
	global_load_b64 v[18:19], v16, s[26:27] scale_offset
	v_dual_mov_b32 v30, v17 :: v_dual_mov_b32 v24, v17
	v_mov_b32_e32 v26, v17
	s_and_not1_b32 vcc_lo, exec_lo, s38
	s_cbranch_vccnz .LBB518_17
; %bb.7:                                ;   in Loop: Header=BB518_6 Depth=1
	s_lshl_b64 s[28:29], s[10:11], 3
	v_dual_mov_b32 v26, 0 :: v_dual_mov_b32 v24, 0
	s_add_nc_u64 s[30:31], s[12:13], s[28:29]
	s_add_nc_u64 s[28:29], s[18:19], s[28:29]
	s_clause 0x1
	global_load_b64 v[20:21], v17, s[30:31]
	global_load_b64 v[22:23], v17, s[28:29]
	v_dual_mov_b32 v30, 0 :: v_dual_mov_b32 v28, 0
	v_dual_mov_b32 v34, 0 :: v_dual_mov_b32 v32, 0
	v_dual_mov_b32 v38, 0 :: v_dual_mov_b32 v36, 0
	s_wait_xcnt 0x0
	s_mov_b64 s[28:29], 0
	s_wait_loadcnt 0x1
	v_add_nc_u64_e32 v[20:21], s[16:17], v[20:21]
	s_wait_loadcnt 0x0
	v_add_nc_u64_e32 v[22:23], s[14:15], v[22:23]
	s_delay_alu instid0(VALU_DEP_2) | instskip(NEXT) | instid1(VALU_DEP_2)
	v_lshl_add_u64 v[20:21], v[6:7], 3, v[20:21]
	v_lshl_add_u64 v[22:23], v[4:5], 3, v[22:23]
	s_branch .LBB518_9
.LBB518_8:                              ;   in Loop: Header=BB518_9 Depth=2
	s_wait_xcnt 0x0
	s_or_b32 exec_lo, exec_lo, s30
	ds_store_b32 v3, v29 offset:4
	s_wait_dscnt 0x0
	s_barrier_signal -1
	s_barrier_wait -1
	ds_load_b128 v[40:43], v27
	ds_load_2addr_b64 v[44:47], v25 offset1:16
	ds_load_b128 v[48:51], v27 offset:1024
	ds_load_b128 v[52:55], v27 offset:16
	;; [unrolled: 1-line block ×4, first 2 shown]
	ds_load_2addr_b64 v[64:67], v25 offset0:32 offset1:48
	ds_load_b128 v[68:71], v27 offset:1040
	s_add_nc_u64 s[28:29], s[28:29], 8
	s_delay_alu instid0(SALU_CYCLE_1)
	v_cmp_gt_i64_e64 s30, s[8:9], s[28:29]
	s_and_b32 vcc_lo, exec_lo, s30
	s_wait_dscnt 0x6
	v_dual_mul_f32 v16, v41, v45 :: v_dual_mul_f32 v29, v40, v45
	v_dual_mul_f32 v31, v41, v47 :: v_dual_mul_f32 v33, v40, v47
	s_wait_dscnt 0x5
	v_dual_mul_f32 v35, v49, v45 :: v_dual_mul_f32 v37, v48, v45
	v_dual_mul_f32 v39, v49, v47 :: v_dual_mul_f32 v45, v48, v47
	v_dual_fma_f32 v16, v40, v44, -v16 :: v_dual_fmac_f32 v29, v41, v44
	v_dual_fma_f32 v31, v40, v46, -v31 :: v_dual_fmac_f32 v33, v41, v46
	s_delay_alu instid0(VALU_DEP_4) | instskip(NEXT) | instid1(VALU_DEP_3)
	v_dual_fma_f32 v35, v48, v44, -v35 :: v_dual_fmac_f32 v37, v49, v44
	v_dual_add_f32 v16, v36, v16 :: v_dual_add_f32 v36, v38, v29
	v_fma_f32 v29, v48, v46, -v39
	s_delay_alu instid0(VALU_DEP_4) | instskip(NEXT) | instid1(VALU_DEP_4)
	v_dual_add_f32 v32, v32, v31 :: v_dual_add_f32 v33, v34, v33
	v_dual_add_f32 v34, v28, v35 :: v_dual_add_f32 v35, v30, v37
	s_wait_dscnt 0x1
	v_dual_mul_f32 v37, v43, v65 :: v_dual_fmac_f32 v45, v49, v46
	v_add_f32_e32 v24, v24, v29
	ds_load_2addr_b64 v[28:31], v25 offset0:64 offset1:80
	v_dual_mul_f32 v38, v42, v65 :: v_dual_fma_f32 v37, v42, v64, -v37
	v_dual_mul_f32 v39, v43, v67 :: v_dual_add_f32 v26, v26, v45
	s_delay_alu instid0(VALU_DEP_2) | instskip(NEXT) | instid1(VALU_DEP_2)
	v_dual_mul_f32 v40, v42, v67 :: v_dual_fmac_f32 v38, v43, v64
	v_dual_add_f32 v16, v16, v37 :: v_dual_fma_f32 v37, v42, v66, -v39
	v_mul_f32_e32 v39, v51, v65
	s_delay_alu instid0(VALU_DEP_3) | instskip(NEXT) | instid1(VALU_DEP_4)
	v_fmac_f32_e32 v40, v43, v66
	v_dual_add_f32 v36, v36, v38 :: v_dual_mul_f32 v38, v50, v65
	s_delay_alu instid0(VALU_DEP_3) | instskip(NEXT) | instid1(VALU_DEP_3)
	v_dual_add_f32 v37, v32, v37 :: v_dual_fma_f32 v32, v50, v64, -v39
	v_dual_mul_f32 v39, v51, v67 :: v_dual_add_f32 v40, v33, v40
	s_delay_alu instid0(VALU_DEP_3) | instskip(SKIP_1) | instid1(VALU_DEP_3)
	v_dual_fmac_f32 v38, v51, v64 :: v_dual_mul_f32 v41, v50, v67
	s_wait_dscnt 0x0
	v_dual_add_f32 v42, v34, v32 :: v_dual_mul_f32 v33, v53, v29
	s_delay_alu instid0(VALU_DEP_3) | instskip(NEXT) | instid1(VALU_DEP_3)
	v_fma_f32 v32, v50, v66, -v39
	v_dual_add_f32 v38, v35, v38 :: v_dual_mul_f32 v39, v52, v29
	v_fmac_f32_e32 v41, v51, v66
	s_delay_alu instid0(VALU_DEP_4) | instskip(NEXT) | instid1(VALU_DEP_4)
	v_fma_f32 v43, v52, v28, -v33
	v_dual_add_f32 v24, v24, v32 :: v_dual_mul_f32 v44, v53, v31
	ds_load_2addr_b64 v[32:35], v25 offset0:96 offset1:112
	v_dual_fmac_f32 v39, v53, v28 :: v_dual_add_f32 v26, v26, v41
	v_add_f32_e32 v16, v16, v43
	v_dual_mul_f32 v41, v52, v31 :: v_dual_fma_f32 v43, v52, v30, -v44
	s_delay_alu instid0(VALU_DEP_3) | instskip(NEXT) | instid1(VALU_DEP_2)
	v_dual_add_f32 v36, v36, v39 :: v_dual_mul_f32 v39, v69, v29
	v_dual_mul_f32 v29, v68, v29 :: v_dual_fmac_f32 v41, v53, v30
	s_delay_alu instid0(VALU_DEP_3) | instskip(NEXT) | instid1(VALU_DEP_3)
	v_add_f32_e32 v37, v37, v43
	v_dual_mul_f32 v43, v69, v31 :: v_dual_fma_f32 v39, v68, v28, -v39
	s_delay_alu instid0(VALU_DEP_3) | instskip(NEXT) | instid1(VALU_DEP_4)
	v_dual_fmac_f32 v29, v69, v28 :: v_dual_mul_f32 v44, v68, v31
	v_add_f32_e32 v40, v40, v41
	s_delay_alu instid0(VALU_DEP_3) | instskip(NEXT) | instid1(VALU_DEP_3)
	v_dual_fma_f32 v28, v68, v30, -v43 :: v_dual_add_f32 v41, v42, v39
	v_dual_add_f32 v42, v38, v29 :: v_dual_fmac_f32 v44, v69, v30
	s_wait_dscnt 0x0
	s_delay_alu instid0(VALU_DEP_2) | instskip(SKIP_2) | instid1(VALU_DEP_1)
	v_dual_mul_f32 v38, v55, v33 :: v_dual_add_f32 v24, v24, v28
	ds_load_2addr_b64 v[28:31], v25 offset0:128 offset1:144
	v_dual_mul_f32 v39, v54, v33 :: v_dual_mul_f32 v43, v55, v35
	v_dual_fma_f32 v38, v54, v32, -v38 :: v_dual_fmac_f32 v39, v55, v32
	s_delay_alu instid0(VALU_DEP_1) | instskip(NEXT) | instid1(VALU_DEP_3)
	v_dual_add_f32 v26, v26, v44 :: v_dual_add_f32 v16, v16, v38
	v_dual_mul_f32 v44, v54, v35 :: v_dual_fma_f32 v43, v54, v34, -v43
	s_delay_alu instid0(VALU_DEP_3) | instskip(NEXT) | instid1(VALU_DEP_2)
	v_dual_mul_f32 v38, v71, v33 :: v_dual_add_f32 v45, v36, v39
	v_dual_mul_f32 v33, v70, v33 :: v_dual_fmac_f32 v44, v55, v34
	s_delay_alu instid0(VALU_DEP_2)
	v_dual_add_f32 v46, v37, v43 :: v_dual_fma_f32 v43, v70, v32, -v38
	v_mul_f32_e32 v47, v71, v35
	ds_load_b128 v[36:39], v27 offset:1056
	v_add_f32_e32 v44, v40, v44
	v_dual_fmac_f32 v33, v71, v32 :: v_dual_mul_f32 v40, v70, v35
	v_dual_fma_f32 v32, v70, v34, -v47 :: v_dual_add_f32 v47, v41, v43
	s_wait_dscnt 0x1
	v_mul_f32_e32 v35, v57, v29
	s_delay_alu instid0(VALU_DEP_3) | instskip(NEXT) | instid1(VALU_DEP_3)
	v_dual_add_f32 v48, v42, v33 :: v_dual_fmac_f32 v40, v71, v34
	v_add_f32_e32 v24, v24, v32
	s_delay_alu instid0(VALU_DEP_3) | instskip(NEXT) | instid1(VALU_DEP_3)
	v_dual_mul_f32 v49, v56, v29 :: v_dual_fma_f32 v41, v56, v28, -v35
	v_dual_mul_f32 v42, v57, v31 :: v_dual_add_f32 v26, v26, v40
	ds_load_2addr_b64 v[32:35], v25 offset0:160 offset1:176
	v_dual_fmac_f32 v49, v57, v28 :: v_dual_add_f32 v16, v16, v41
	v_dual_fma_f32 v50, v56, v30, -v42 :: v_dual_mul_f32 v51, v56, v31
	ds_load_b128 v[40:43], v27 offset:1072
	s_wait_dscnt 0x2
	v_dual_mul_f32 v52, v37, v29 :: v_dual_mul_f32 v29, v36, v29
	v_dual_add_f32 v45, v45, v49 :: v_dual_add_f32 v46, v46, v50
	s_delay_alu instid0(VALU_DEP_2) | instskip(NEXT) | instid1(VALU_DEP_3)
	v_dual_fmac_f32 v51, v57, v30 :: v_dual_fma_f32 v49, v36, v28, -v52
	v_dual_mul_f32 v50, v37, v31 :: v_dual_fmac_f32 v29, v37, v28
	s_delay_alu instid0(VALU_DEP_2) | instskip(NEXT) | instid1(VALU_DEP_2)
	v_dual_add_f32 v44, v44, v51 :: v_dual_add_f32 v47, v47, v49
	v_dual_mul_f32 v51, v36, v31 :: v_dual_fma_f32 v28, v36, v30, -v50
	s_delay_alu instid0(VALU_DEP_3) | instskip(SKIP_2) | instid1(VALU_DEP_3)
	v_add_f32_e32 v36, v48, v29
	s_wait_dscnt 0x1
	v_dual_mul_f32 v48, v59, v33 :: v_dual_mul_f32 v49, v59, v35
	v_dual_fmac_f32 v51, v37, v30 :: v_dual_add_f32 v24, v24, v28
	ds_load_2addr_b64 v[28:31], v25 offset0:192 offset1:208
	v_dual_mul_f32 v37, v58, v33 :: v_dual_fma_f32 v48, v58, v32, -v48
	s_delay_alu instid0(VALU_DEP_1) | instskip(NEXT) | instid1(VALU_DEP_2)
	v_dual_mul_f32 v50, v58, v35 :: v_dual_fmac_f32 v37, v59, v32
	v_dual_add_f32 v26, v26, v51 :: v_dual_add_f32 v16, v16, v48
	s_delay_alu instid0(VALU_DEP_2) | instskip(NEXT) | instid1(VALU_DEP_3)
	v_dual_fma_f32 v48, v58, v34, -v49 :: v_dual_fmac_f32 v50, v59, v34
	v_add_f32_e32 v37, v45, v37
	v_dual_mul_f32 v45, v39, v33 :: v_dual_mul_f32 v33, v38, v33
	s_delay_alu instid0(VALU_DEP_3) | instskip(NEXT) | instid1(VALU_DEP_2)
	v_dual_add_f32 v48, v46, v48 :: v_dual_mul_f32 v46, v39, v35
	v_dual_add_f32 v49, v44, v50 :: v_dual_fma_f32 v45, v38, v32, -v45
	s_delay_alu instid0(VALU_DEP_3) | instskip(SKIP_1) | instid1(VALU_DEP_3)
	v_dual_fmac_f32 v33, v39, v32 :: v_dual_mul_f32 v32, v38, v35
	s_wait_dscnt 0x0
	v_dual_fma_f32 v35, v38, v34, -v46 :: v_dual_mul_f32 v44, v61, v29
	s_delay_alu instid0(VALU_DEP_3) | instskip(NEXT) | instid1(VALU_DEP_3)
	v_add_f32_e32 v38, v47, v45
	v_dual_fmac_f32 v32, v39, v34 :: v_dual_mul_f32 v34, v60, v29
	s_delay_alu instid0(VALU_DEP_3) | instskip(NEXT) | instid1(VALU_DEP_4)
	v_add_f32_e32 v24, v24, v35
	v_fma_f32 v35, v60, v28, -v44
	ds_load_2addr_b64 v[44:47], v25 offset0:224 offset1:240
	v_dual_add_f32 v33, v36, v33 :: v_dual_add_f32 v26, v26, v32
	v_dual_mul_f32 v32, v61, v31 :: v_dual_fmac_f32 v34, v61, v28
	v_dual_add_f32 v16, v16, v35 :: v_dual_mul_f32 v36, v41, v29
	s_delay_alu instid0(VALU_DEP_2) | instskip(NEXT) | instid1(VALU_DEP_3)
	v_dual_mul_f32 v35, v60, v31 :: v_dual_fma_f32 v32, v60, v30, -v32
	v_dual_mul_f32 v29, v40, v29 :: v_dual_add_f32 v34, v37, v34
	s_delay_alu instid0(VALU_DEP_2) | instskip(NEXT) | instid1(VALU_DEP_3)
	v_dual_fma_f32 v36, v40, v28, -v36 :: v_dual_fmac_f32 v35, v61, v30
	v_add_f32_e32 v32, v48, v32
	s_delay_alu instid0(VALU_DEP_3) | instskip(SKIP_1) | instid1(VALU_DEP_4)
	v_dual_fmac_f32 v29, v41, v28 :: v_dual_mul_f32 v28, v41, v31
	v_mul_f32_e32 v31, v40, v31
	v_dual_add_f32 v35, v49, v35 :: v_dual_add_f32 v37, v38, v36
	s_delay_alu instid0(VALU_DEP_3) | instskip(SKIP_3) | instid1(VALU_DEP_3)
	v_dual_add_f32 v29, v33, v29 :: v_dual_fma_f32 v28, v40, v30, -v28
	s_wait_dscnt 0x0
	v_dual_mul_f32 v33, v63, v45 :: v_dual_mul_f32 v38, v62, v45
	v_dual_fmac_f32 v31, v41, v30 :: v_dual_mul_f32 v30, v63, v47
	v_add_f32_e32 v24, v24, v28
	s_delay_alu instid0(VALU_DEP_3) | instskip(NEXT) | instid1(VALU_DEP_3)
	v_dual_fma_f32 v28, v62, v44, -v33 :: v_dual_fmac_f32 v38, v63, v44
	v_dual_mul_f32 v33, v62, v47 :: v_dual_fma_f32 v30, v62, v46, -v30
	s_delay_alu instid0(VALU_DEP_2) | instskip(NEXT) | instid1(VALU_DEP_3)
	v_dual_add_f32 v26, v26, v31 :: v_dual_add_f32 v36, v16, v28
	v_dual_add_f32 v38, v34, v38 :: v_dual_mul_f32 v16, v43, v45
	s_delay_alu instid0(VALU_DEP_3) | instskip(NEXT) | instid1(VALU_DEP_4)
	v_fmac_f32_e32 v33, v63, v46
	v_dual_add_f32 v32, v32, v30 :: v_dual_mul_f32 v28, v43, v47
	v_dual_mul_f32 v30, v42, v45 :: v_dual_mul_f32 v31, v42, v47
	s_delay_alu instid0(VALU_DEP_3) | instskip(NEXT) | instid1(VALU_DEP_2)
	v_dual_add_f32 v34, v35, v33 :: v_dual_fma_f32 v16, v42, v44, -v16
	v_dual_fma_f32 v33, v42, v46, -v28 :: v_dual_fmac_f32 v30, v43, v44
	s_delay_alu instid0(VALU_DEP_3) | instskip(NEXT) | instid1(VALU_DEP_2)
	v_fmac_f32_e32 v31, v43, v46
	v_dual_add_f32 v28, v37, v16 :: v_dual_add_f32 v24, v24, v33
	s_delay_alu instid0(VALU_DEP_2)
	v_dual_add_f32 v30, v29, v30 :: v_dual_add_f32 v26, v26, v31
	s_barrier_signal -1
	s_barrier_wait -1
	s_cbranch_vccz .LBB518_17
.LBB518_9:                              ;   Parent Loop BB518_6 Depth=1
                                        ; =>  This Inner Loop Header: Depth=2
	v_dual_mov_b32 v40, 0 :: v_dual_mov_b32 v41, 0
	s_and_saveexec_b32 s30, s0
	s_cbranch_execz .LBB518_13
; %bb.10:                               ;   in Loop: Header=BB518_9 Depth=2
	v_dual_mov_b32 v41, 0 :: v_dual_add_nc_u32 v16, s28, v2
	v_mov_b32_e32 v40, 0
	s_mov_b32 s31, exec_lo
	s_delay_alu instid0(VALU_DEP_2)
	v_cmpx_gt_u64_e64 s[8:9], v[16:17]
	s_cbranch_execz .LBB518_12
; %bb.11:                               ;   in Loop: Header=BB518_9 Depth=2
	v_lshl_add_u64 v[40:41], v[16:17], 3, v[20:21]
	flat_load_b64 v[40:41], v[40:41]
.LBB518_12:                             ;   in Loop: Header=BB518_9 Depth=2
	s_wait_xcnt 0x0
	s_or_b32 exec_lo, exec_lo, s31
.LBB518_13:                             ;   in Loop: Header=BB518_9 Depth=2
	s_delay_alu instid0(SALU_CYCLE_1)
	s_or_b32 exec_lo, exec_lo, s30
	v_add_nc_u32_e32 v16, s28, v0
	s_wait_loadcnt_dscnt 0x0
	ds_store_b64 v1, v[40:41]
	v_cmp_le_u64_e32 vcc_lo, s[8:9], v[16:17]
	s_or_b32 s30, vcc_lo, s39
	s_delay_alu instid0(SALU_CYCLE_1) | instskip(NEXT) | instid1(SALU_CYCLE_1)
	s_and_saveexec_b32 s31, s30
	s_xor_b32 s30, exec_lo, s31
; %bb.14:                               ;   in Loop: Header=BB518_9 Depth=2
	ds_store_b32 v3, v17
; %bb.15:                               ;   in Loop: Header=BB518_9 Depth=2
	s_or_saveexec_b32 s30, s30
	v_mov_b32_e32 v29, 0
	s_xor_b32 exec_lo, exec_lo, s30
	s_cbranch_execz .LBB518_8
; %bb.16:                               ;   in Loop: Header=BB518_9 Depth=2
	v_mul_u64_e32 v[40:41], s[20:21], v[16:17]
	s_delay_alu instid0(VALU_DEP_1)
	v_lshl_add_u64 v[40:41], v[40:41], 3, v[22:23]
	flat_load_b64 v[40:41], v[40:41]
	s_wait_loadcnt_dscnt 0x0
	v_xor_b32_e32 v29, 0x80000000, v41
	ds_store_b32 v3, v40
	s_branch .LBB518_8
.LBB518_17:                             ;   in Loop: Header=BB518_6 Depth=1
	s_wait_loadcnt 0x0
	v_add_nc_u64_e32 v[18:19], s[22:23], v[18:19]
	s_delay_alu instid0(VALU_DEP_1)
	v_lshl_add_u64 v[20:21], v[10:11], 3, v[18:19]
	s_wait_xcnt 0x0
	s_and_saveexec_b32 s28, s35
	s_cbranch_execz .LBB518_22
; %bb.18:                               ;   in Loop: Header=BB518_6 Depth=1
	v_mov_b64_e32 v[22:23], s[4:5]
	v_mov_b64_e32 v[40:41], s[24:25]
	s_and_b32 vcc_lo, exec_lo, s34
	s_mov_b32 s29, -1
	s_delay_alu instid0(VALU_DEP_2) | instskip(NEXT) | instid1(VALU_DEP_1)
	v_pk_mul_f32 v[22:23], v[38:39], v[22:23] op_sel_hi:[0,1]
	v_pk_fma_f32 v[38:39], v[36:37], v[40:41], v[22:23] op_sel_hi:[0,1,1]
	v_pk_fma_f32 v[22:23], v[36:37], v[40:41], v[22:23] neg_lo:[0,0,1] neg_hi:[0,0,1]
	v_lshl_add_u64 v[36:37], v[8:9], 3, v[20:21]
	s_delay_alu instid0(VALU_DEP_3)
	v_mov_b32_e32 v23, v39
	s_cbranch_vccz .LBB518_20
; %bb.19:                               ;   in Loop: Header=BB518_6 Depth=1
	flat_load_b64 v[38:39], v[36:37]
	v_mov_b64_e32 v[40:41], s[6:7]
	v_mov_b64_e32 v[42:43], s[2:3]
	s_mov_b32 s29, 0
	s_wait_loadcnt_dscnt 0x0
	s_delay_alu instid0(VALU_DEP_2) | instskip(NEXT) | instid1(VALU_DEP_1)
	v_pk_mul_f32 v[40:41], v[38:39], v[40:41]
	v_pk_fma_f32 v[44:45], v[38:39], v[42:43], v[40:41] op_sel:[0,0,1] op_sel_hi:[1,1,0]
	v_pk_fma_f32 v[38:39], v[38:39], v[42:43], v[40:41] op_sel:[0,0,1] op_sel_hi:[1,1,0] neg_lo:[0,0,1] neg_hi:[0,0,1]
	s_delay_alu instid0(VALU_DEP_2) | instskip(NEXT) | instid1(VALU_DEP_1)
	v_mov_b32_e32 v39, v45
	v_pk_add_f32 v[38:39], v[22:23], v[38:39]
	flat_store_b64 v[36:37], v[38:39]
.LBB518_20:                             ;   in Loop: Header=BB518_6 Depth=1
	s_and_not1_b32 vcc_lo, exec_lo, s29
	s_cbranch_vccnz .LBB518_22
; %bb.21:                               ;   in Loop: Header=BB518_6 Depth=1
	flat_store_b64 v[36:37], v[22:23]
.LBB518_22:                             ;   in Loop: Header=BB518_6 Depth=1
	s_wait_xcnt 0x0
	s_or_b32 exec_lo, exec_lo, s28
	s_and_saveexec_b32 s28, s36
	s_cbranch_execz .LBB518_27
; %bb.23:                               ;   in Loop: Header=BB518_6 Depth=1
	v_mov_b64_e32 v[22:23], s[4:5]
	v_mov_b64_e32 v[36:37], s[24:25]
	v_lshl_add_u64 v[20:21], v[14:15], 3, v[20:21]
	s_and_not1_b32 vcc_lo, exec_lo, s34
	s_mov_b32 s29, -1
	s_delay_alu instid0(VALU_DEP_3) | instskip(NEXT) | instid1(VALU_DEP_1)
	v_pk_mul_f32 v[22:23], v[34:35], v[22:23] op_sel_hi:[0,1]
	v_pk_fma_f32 v[34:35], v[32:33], v[36:37], v[22:23] op_sel_hi:[0,1,1]
	v_pk_fma_f32 v[22:23], v[32:33], v[36:37], v[22:23] neg_lo:[0,0,1] neg_hi:[0,0,1]
	s_delay_alu instid0(VALU_DEP_2)
	v_mov_b32_e32 v23, v35
	s_cbranch_vccnz .LBB518_25
; %bb.24:                               ;   in Loop: Header=BB518_6 Depth=1
	flat_load_b64 v[32:33], v[20:21]
	v_mov_b64_e32 v[34:35], s[6:7]
	v_mov_b64_e32 v[36:37], s[2:3]
	s_mov_b32 s29, 0
	s_wait_loadcnt_dscnt 0x0
	s_delay_alu instid0(VALU_DEP_2) | instskip(NEXT) | instid1(VALU_DEP_1)
	v_pk_mul_f32 v[34:35], v[32:33], v[34:35]
	v_pk_fma_f32 v[38:39], v[32:33], v[36:37], v[34:35] op_sel:[0,0,1] op_sel_hi:[1,1,0]
	v_pk_fma_f32 v[32:33], v[32:33], v[36:37], v[34:35] op_sel:[0,0,1] op_sel_hi:[1,1,0] neg_lo:[0,0,1] neg_hi:[0,0,1]
	s_delay_alu instid0(VALU_DEP_2) | instskip(NEXT) | instid1(VALU_DEP_1)
	v_mov_b32_e32 v33, v39
	v_pk_add_f32 v[32:33], v[22:23], v[32:33]
	flat_store_b64 v[20:21], v[32:33]
.LBB518_25:                             ;   in Loop: Header=BB518_6 Depth=1
	s_and_not1_b32 vcc_lo, exec_lo, s29
	s_cbranch_vccnz .LBB518_27
; %bb.26:                               ;   in Loop: Header=BB518_6 Depth=1
	flat_store_b64 v[20:21], v[22:23]
.LBB518_27:                             ;   in Loop: Header=BB518_6 Depth=1
	s_wait_xcnt 0x0
	s_or_b32 exec_lo, exec_lo, s28
	v_lshl_add_u64 v[18:19], v[12:13], 3, v[18:19]
	s_and_saveexec_b32 s28, s1
	s_cbranch_execz .LBB518_32
; %bb.28:                               ;   in Loop: Header=BB518_6 Depth=1
	v_mov_b64_e32 v[20:21], s[4:5]
	v_mov_b64_e32 v[22:23], s[24:25]
	s_and_not1_b32 vcc_lo, exec_lo, s34
	s_mov_b32 s29, -1
	s_delay_alu instid0(VALU_DEP_2) | instskip(NEXT) | instid1(VALU_DEP_1)
	v_pk_mul_f32 v[20:21], v[30:31], v[20:21] op_sel_hi:[0,1]
	v_pk_fma_f32 v[30:31], v[28:29], v[22:23], v[20:21] op_sel_hi:[0,1,1]
	v_pk_fma_f32 v[20:21], v[28:29], v[22:23], v[20:21] neg_lo:[0,0,1] neg_hi:[0,0,1]
	v_lshl_add_u64 v[22:23], v[8:9], 3, v[18:19]
	s_delay_alu instid0(VALU_DEP_3)
	v_mov_b32_e32 v21, v31
	s_cbranch_vccnz .LBB518_30
; %bb.29:                               ;   in Loop: Header=BB518_6 Depth=1
	flat_load_b64 v[28:29], v[22:23]
	v_mov_b64_e32 v[30:31], s[6:7]
	v_mov_b64_e32 v[32:33], s[2:3]
	s_mov_b32 s29, 0
	s_wait_loadcnt_dscnt 0x0
	s_delay_alu instid0(VALU_DEP_2) | instskip(NEXT) | instid1(VALU_DEP_1)
	v_pk_mul_f32 v[30:31], v[28:29], v[30:31]
	v_pk_fma_f32 v[34:35], v[28:29], v[32:33], v[30:31] op_sel:[0,0,1] op_sel_hi:[1,1,0]
	v_pk_fma_f32 v[28:29], v[28:29], v[32:33], v[30:31] op_sel:[0,0,1] op_sel_hi:[1,1,0] neg_lo:[0,0,1] neg_hi:[0,0,1]
	s_delay_alu instid0(VALU_DEP_2) | instskip(NEXT) | instid1(VALU_DEP_1)
	v_mov_b32_e32 v29, v35
	v_pk_add_f32 v[28:29], v[20:21], v[28:29]
	flat_store_b64 v[22:23], v[28:29]
.LBB518_30:                             ;   in Loop: Header=BB518_6 Depth=1
	s_and_not1_b32 vcc_lo, exec_lo, s29
	s_cbranch_vccnz .LBB518_32
; %bb.31:                               ;   in Loop: Header=BB518_6 Depth=1
	flat_store_b64 v[22:23], v[20:21]
.LBB518_32:                             ;   in Loop: Header=BB518_6 Depth=1
	s_wait_xcnt 0x0
	s_or_b32 exec_lo, exec_lo, s28
	s_and_saveexec_b32 s28, s37
	s_cbranch_execz .LBB518_5
; %bb.33:                               ;   in Loop: Header=BB518_6 Depth=1
	v_mov_b64_e32 v[20:21], s[4:5]
	v_mov_b64_e32 v[22:23], s[24:25]
	v_lshl_add_u64 v[18:19], v[14:15], 3, v[18:19]
	s_and_not1_b32 vcc_lo, exec_lo, s34
	s_mov_b32 s29, -1
	s_delay_alu instid0(VALU_DEP_3) | instskip(NEXT) | instid1(VALU_DEP_1)
	v_pk_mul_f32 v[20:21], v[26:27], v[20:21] op_sel_hi:[0,1]
	v_pk_fma_f32 v[28:29], v[24:25], v[22:23], v[20:21] op_sel_hi:[0,1,1]
	v_pk_fma_f32 v[20:21], v[24:25], v[22:23], v[20:21] neg_lo:[0,0,1] neg_hi:[0,0,1]
	s_delay_alu instid0(VALU_DEP_2)
	v_mov_b32_e32 v21, v29
	s_cbranch_vccnz .LBB518_35
; %bb.34:                               ;   in Loop: Header=BB518_6 Depth=1
	flat_load_b64 v[22:23], v[18:19]
	v_mov_b64_e32 v[28:29], s[6:7]
	v_mov_b64_e32 v[30:31], s[2:3]
	s_mov_b32 s29, 0
	s_wait_loadcnt_dscnt 0x0
	s_delay_alu instid0(VALU_DEP_2) | instskip(NEXT) | instid1(VALU_DEP_1)
	v_pk_mul_f32 v[28:29], v[22:23], v[28:29]
	v_pk_fma_f32 v[32:33], v[22:23], v[30:31], v[28:29] op_sel:[0,0,1] op_sel_hi:[1,1,0]
	v_pk_fma_f32 v[22:23], v[22:23], v[30:31], v[28:29] op_sel:[0,0,1] op_sel_hi:[1,1,0] neg_lo:[0,0,1] neg_hi:[0,0,1]
	s_delay_alu instid0(VALU_DEP_2) | instskip(NEXT) | instid1(VALU_DEP_1)
	v_mov_b32_e32 v23, v33
	v_pk_add_f32 v[22:23], v[20:21], v[22:23]
	flat_store_b64 v[18:19], v[22:23]
.LBB518_35:                             ;   in Loop: Header=BB518_6 Depth=1
	s_and_not1_b32 vcc_lo, exec_lo, s29
	s_cbranch_vccnz .LBB518_5
; %bb.36:                               ;   in Loop: Header=BB518_6 Depth=1
	flat_store_b64 v[18:19], v[20:21]
	s_branch .LBB518_5
.LBB518_37:
	s_sendmsg sendmsg(MSG_DEALLOC_VGPRS)
	s_endpgm
	.section	.rodata,"a",@progbits
	.p2align	6, 0x0
	.amdhsa_kernel _ZL29rocblas_internal_gemmt_kernelIlLi16ELi32ELi8ELc84ELc67ELc76ELb0ELb1E19rocblas_complex_numIfEPKS1_PKS3_PKPS1_EviT_T9_T10_S9_lSB_S9_lSA_T11_S9_li
		.amdhsa_group_segment_fixed_size 4096
		.amdhsa_private_segment_fixed_size 0
		.amdhsa_kernarg_size 108
		.amdhsa_user_sgpr_count 2
		.amdhsa_user_sgpr_dispatch_ptr 0
		.amdhsa_user_sgpr_queue_ptr 0
		.amdhsa_user_sgpr_kernarg_segment_ptr 1
		.amdhsa_user_sgpr_dispatch_id 0
		.amdhsa_user_sgpr_kernarg_preload_length 0
		.amdhsa_user_sgpr_kernarg_preload_offset 0
		.amdhsa_user_sgpr_private_segment_size 0
		.amdhsa_wavefront_size32 1
		.amdhsa_uses_dynamic_stack 0
		.amdhsa_enable_private_segment 0
		.amdhsa_system_sgpr_workgroup_id_x 1
		.amdhsa_system_sgpr_workgroup_id_y 1
		.amdhsa_system_sgpr_workgroup_id_z 1
		.amdhsa_system_sgpr_workgroup_info 0
		.amdhsa_system_vgpr_workitem_id 1
		.amdhsa_next_free_vgpr 72
		.amdhsa_next_free_sgpr 40
		.amdhsa_named_barrier_count 0
		.amdhsa_reserve_vcc 1
		.amdhsa_float_round_mode_32 0
		.amdhsa_float_round_mode_16_64 0
		.amdhsa_float_denorm_mode_32 3
		.amdhsa_float_denorm_mode_16_64 3
		.amdhsa_fp16_overflow 0
		.amdhsa_memory_ordered 1
		.amdhsa_forward_progress 1
		.amdhsa_inst_pref_size 26
		.amdhsa_round_robin_scheduling 0
		.amdhsa_exception_fp_ieee_invalid_op 0
		.amdhsa_exception_fp_denorm_src 0
		.amdhsa_exception_fp_ieee_div_zero 0
		.amdhsa_exception_fp_ieee_overflow 0
		.amdhsa_exception_fp_ieee_underflow 0
		.amdhsa_exception_fp_ieee_inexact 0
		.amdhsa_exception_int_div_zero 0
	.end_amdhsa_kernel
	.section	.text._ZL29rocblas_internal_gemmt_kernelIlLi16ELi32ELi8ELc84ELc67ELc76ELb0ELb1E19rocblas_complex_numIfEPKS1_PKS3_PKPS1_EviT_T9_T10_S9_lSB_S9_lSA_T11_S9_li,"axG",@progbits,_ZL29rocblas_internal_gemmt_kernelIlLi16ELi32ELi8ELc84ELc67ELc76ELb0ELb1E19rocblas_complex_numIfEPKS1_PKS3_PKPS1_EviT_T9_T10_S9_lSB_S9_lSA_T11_S9_li,comdat
.Lfunc_end518:
	.size	_ZL29rocblas_internal_gemmt_kernelIlLi16ELi32ELi8ELc84ELc67ELc76ELb0ELb1E19rocblas_complex_numIfEPKS1_PKS3_PKPS1_EviT_T9_T10_S9_lSB_S9_lSA_T11_S9_li, .Lfunc_end518-_ZL29rocblas_internal_gemmt_kernelIlLi16ELi32ELi8ELc84ELc67ELc76ELb0ELb1E19rocblas_complex_numIfEPKS1_PKS3_PKPS1_EviT_T9_T10_S9_lSB_S9_lSA_T11_S9_li
                                        ; -- End function
	.set _ZL29rocblas_internal_gemmt_kernelIlLi16ELi32ELi8ELc84ELc67ELc76ELb0ELb1E19rocblas_complex_numIfEPKS1_PKS3_PKPS1_EviT_T9_T10_S9_lSB_S9_lSA_T11_S9_li.num_vgpr, 72
	.set _ZL29rocblas_internal_gemmt_kernelIlLi16ELi32ELi8ELc84ELc67ELc76ELb0ELb1E19rocblas_complex_numIfEPKS1_PKS3_PKPS1_EviT_T9_T10_S9_lSB_S9_lSA_T11_S9_li.num_agpr, 0
	.set _ZL29rocblas_internal_gemmt_kernelIlLi16ELi32ELi8ELc84ELc67ELc76ELb0ELb1E19rocblas_complex_numIfEPKS1_PKS3_PKPS1_EviT_T9_T10_S9_lSB_S9_lSA_T11_S9_li.numbered_sgpr, 40
	.set _ZL29rocblas_internal_gemmt_kernelIlLi16ELi32ELi8ELc84ELc67ELc76ELb0ELb1E19rocblas_complex_numIfEPKS1_PKS3_PKPS1_EviT_T9_T10_S9_lSB_S9_lSA_T11_S9_li.num_named_barrier, 0
	.set _ZL29rocblas_internal_gemmt_kernelIlLi16ELi32ELi8ELc84ELc67ELc76ELb0ELb1E19rocblas_complex_numIfEPKS1_PKS3_PKPS1_EviT_T9_T10_S9_lSB_S9_lSA_T11_S9_li.private_seg_size, 0
	.set _ZL29rocblas_internal_gemmt_kernelIlLi16ELi32ELi8ELc84ELc67ELc76ELb0ELb1E19rocblas_complex_numIfEPKS1_PKS3_PKPS1_EviT_T9_T10_S9_lSB_S9_lSA_T11_S9_li.uses_vcc, 1
	.set _ZL29rocblas_internal_gemmt_kernelIlLi16ELi32ELi8ELc84ELc67ELc76ELb0ELb1E19rocblas_complex_numIfEPKS1_PKS3_PKPS1_EviT_T9_T10_S9_lSB_S9_lSA_T11_S9_li.uses_flat_scratch, 0
	.set _ZL29rocblas_internal_gemmt_kernelIlLi16ELi32ELi8ELc84ELc67ELc76ELb0ELb1E19rocblas_complex_numIfEPKS1_PKS3_PKPS1_EviT_T9_T10_S9_lSB_S9_lSA_T11_S9_li.has_dyn_sized_stack, 0
	.set _ZL29rocblas_internal_gemmt_kernelIlLi16ELi32ELi8ELc84ELc67ELc76ELb0ELb1E19rocblas_complex_numIfEPKS1_PKS3_PKPS1_EviT_T9_T10_S9_lSB_S9_lSA_T11_S9_li.has_recursion, 0
	.set _ZL29rocblas_internal_gemmt_kernelIlLi16ELi32ELi8ELc84ELc67ELc76ELb0ELb1E19rocblas_complex_numIfEPKS1_PKS3_PKPS1_EviT_T9_T10_S9_lSB_S9_lSA_T11_S9_li.has_indirect_call, 0
	.section	.AMDGPU.csdata,"",@progbits
; Kernel info:
; codeLenInByte = 3252
; TotalNumSgprs: 42
; NumVgprs: 72
; ScratchSize: 0
; MemoryBound: 0
; FloatMode: 240
; IeeeMode: 1
; LDSByteSize: 4096 bytes/workgroup (compile time only)
; SGPRBlocks: 0
; VGPRBlocks: 4
; NumSGPRsForWavesPerEU: 42
; NumVGPRsForWavesPerEU: 72
; NamedBarCnt: 0
; Occupancy: 12
; WaveLimiterHint : 1
; COMPUTE_PGM_RSRC2:SCRATCH_EN: 0
; COMPUTE_PGM_RSRC2:USER_SGPR: 2
; COMPUTE_PGM_RSRC2:TRAP_HANDLER: 0
; COMPUTE_PGM_RSRC2:TGID_X_EN: 1
; COMPUTE_PGM_RSRC2:TGID_Y_EN: 1
; COMPUTE_PGM_RSRC2:TGID_Z_EN: 1
; COMPUTE_PGM_RSRC2:TIDIG_COMP_CNT: 1
	.section	.text._ZL29rocblas_internal_gemmt_kernelIlLi16ELi32ELi8ELc67ELc78ELc76ELb1ELb0E19rocblas_complex_numIfEPKS1_PKS3_PKPS1_EviT_T9_T10_S9_lSB_S9_lSA_T11_S9_li,"axG",@progbits,_ZL29rocblas_internal_gemmt_kernelIlLi16ELi32ELi8ELc67ELc78ELc76ELb1ELb0E19rocblas_complex_numIfEPKS1_PKS3_PKPS1_EviT_T9_T10_S9_lSB_S9_lSA_T11_S9_li,comdat
	.globl	_ZL29rocblas_internal_gemmt_kernelIlLi16ELi32ELi8ELc67ELc78ELc76ELb1ELb0E19rocblas_complex_numIfEPKS1_PKS3_PKPS1_EviT_T9_T10_S9_lSB_S9_lSA_T11_S9_li ; -- Begin function _ZL29rocblas_internal_gemmt_kernelIlLi16ELi32ELi8ELc67ELc78ELc76ELb1ELb0E19rocblas_complex_numIfEPKS1_PKS3_PKPS1_EviT_T9_T10_S9_lSB_S9_lSA_T11_S9_li
	.p2align	8
	.type	_ZL29rocblas_internal_gemmt_kernelIlLi16ELi32ELi8ELc67ELc78ELc76ELb1ELb0E19rocblas_complex_numIfEPKS1_PKS3_PKPS1_EviT_T9_T10_S9_lSB_S9_lSA_T11_S9_li,@function
_ZL29rocblas_internal_gemmt_kernelIlLi16ELi32ELi8ELc67ELc78ELc76ELb1ELb0E19rocblas_complex_numIfEPKS1_PKS3_PKPS1_EviT_T9_T10_S9_lSB_S9_lSA_T11_S9_li: ; @_ZL29rocblas_internal_gemmt_kernelIlLi16ELi32ELi8ELc67ELc78ELc76ELb1ELb0E19rocblas_complex_numIfEPKS1_PKS3_PKPS1_EviT_T9_T10_S9_lSB_S9_lSA_T11_S9_li
; %bb.0:
	s_load_b256 s[24:31], s[0:1], 0x48
	s_wait_kmcnt 0x0
	s_load_b64 s[6:7], s[24:25], 0x0
	s_load_b512 s[8:23], s[0:1], 0x8
	s_wait_kmcnt 0x0
	s_cmp_neq_f32 s6, 1.0
	s_load_b64 s[24:25], s[10:11], 0x0
	s_cselect_b32 s3, -1, 0
	s_and_b32 s4, s7, 0x7fffffff
	s_delay_alu instid0(SALU_CYCLE_1) | instskip(SKIP_3) | instid1(SALU_CYCLE_1)
	s_cmp_eq_u32 s4, 0
	s_cselect_b32 s2, -1, 0
	s_cmp_lg_u32 s4, 0
	s_cselect_b32 s4, -1, 0
	s_or_b32 s3, s3, s4
	s_delay_alu instid0(SALU_CYCLE_1)
	s_and_b32 vcc_lo, exec_lo, s3
	s_cbranch_vccnz .LBB519_2
; %bb.1:
	s_cmp_lg_u64 s[8:9], 0
	s_cselect_b32 s3, -1, 0
	s_wait_kmcnt 0x0
	s_cmp_neq_f32 s24, 0
	s_cselect_b32 s4, -1, 0
	s_cmp_neq_f32 s25, 0
	s_cselect_b32 s5, -1, 0
	s_delay_alu instid0(SALU_CYCLE_1) | instskip(NEXT) | instid1(SALU_CYCLE_1)
	s_or_b32 s4, s4, s5
	s_and_b32 s3, s3, s4
.LBB519_2:
	s_delay_alu instid0(SALU_CYCLE_1)
	s_and_not1_b32 vcc_lo, exec_lo, s3
	s_cbranch_vccnz .LBB519_38
; %bb.3:
	s_load_b32 s33, s[0:1], 0x68
	s_bfe_u32 s3, ttmp6, 0x40014
	s_lshr_b32 s4, ttmp7, 16
	s_add_co_i32 s3, s3, 1
	s_wait_xcnt 0x0
	s_bfe_u32 s10, ttmp6, 0x40008
	s_mul_i32 s5, s4, s3
	s_getreg_b32 s3, hwreg(HW_REG_IB_STS2, 6, 4)
	s_add_co_i32 s10, s10, s5
	s_cmp_eq_u32 s3, 0
	s_mov_b32 s11, 0
	s_cselect_b32 s10, s4, s10
	s_wait_kmcnt 0x0
	s_cmp_ge_u32 s10, s33
	s_cbranch_scc1 .LBB519_38
; %bb.4:
	s_load_b32 s4, s[0:1], 0x0
	s_wait_xcnt 0x0
	s_bfe_u32 s0, ttmp6, 0x4000c
	s_bfe_u32 s5, ttmp6, 0x40010
	s_add_co_i32 s0, s0, 1
	s_and_b32 s34, ttmp7, 0xffff
	s_add_co_i32 s5, s5, 1
	v_and_b32_e32 v9, 0x3ff, v0
	v_bfe_u32 v15, v0, 10, 10
	s_and_b32 s1, ttmp6, 15
	s_mul_i32 s0, ttmp9, s0
	s_mul_i32 s5, s34, s5
	s_bfe_u32 s35, ttmp6, 0x40004
	s_add_co_i32 s1, s1, s0
	s_add_co_i32 s35, s35, s5
	s_cmp_eq_u32 s3, 0
	v_lshl_add_u32 v1, v15, 4, v9
	s_cselect_b32 s0, ttmp9, s1
	s_cselect_b32 s1, s34, s35
	v_and_b32_e32 v0, 7, v0
	s_lshl_b32 s1, s1, 5
	v_dual_lshrrev_b32 v3, 3, v1 :: v_dual_bitop2_b32 v5, 31, v1 bitop3:0x40
	v_dual_lshrrev_b32 v2, 5, v1 :: v_dual_add_nc_u32 v16, s1, v15
	s_delay_alu instid0(VALU_DEP_3)
	v_lshlrev_b32_e32 v8, 3, v0
	s_lshl_b32 s3, s0, 5
	s_cmp_neq_f32 s24, 0
	v_dual_add_nc_u32 v6, s1, v3 :: v_dual_bitop2_b32 v4, s3, v5 bitop3:0x54
	v_add_nc_u32_e32 v18, 16, v16
	s_cselect_b32 s0, -1, 0
	s_cmp_neq_f32 s25, 0
	s_delay_alu instid0(VALU_DEP_2)
	v_dual_lshlrev_b32 v1, 3, v5 :: v_dual_ashrrev_i32 v5, 31, v4
	v_dual_ashrrev_i32 v7, 31, v6 :: v_dual_ashrrev_i32 v17, 31, v16
	v_ashrrev_i32_e32 v19, 31, v18
	s_cselect_b32 s5, -1, 0
	s_wait_kmcnt 0x0
	v_cmp_le_i32_e64 s34, s4, v4
	s_or_b32 s38, s0, s5
	v_cmp_gt_i32_e64 s0, s4, v4
	v_mul_u64_e32 v[4:5], s[14:15], v[4:5]
	v_cmp_gt_i32_e64 s1, s4, v6
	v_mul_u64_e32 v[6:7], s[20:21], v[6:7]
	v_mul_u64_e32 v[10:11], s[28:29], v[16:17]
	;; [unrolled: 1-line block ×3, first 2 shown]
	v_lshl_or_b32 v3, v3, 6, v8
	v_dual_add_nc_u32 v8, s3, v9 :: v_dual_lshlrev_b32 v27, 3, v9
	s_cmp_neq_f32 s6, 0
	v_cmp_gt_i64_e64 s39, s[8:9], 0
	v_lshl_or_b32 v1, v2, 8, v1
	s_delay_alu instid0(VALU_DEP_3)
	v_dual_add_nc_u32 v14, 16, v8 :: v_dual_ashrrev_i32 v9, 31, v8
	s_cselect_b32 s3, -1, 0
	s_xor_b32 s5, s2, -1
	v_cmp_le_i32_e32 vcc_lo, v16, v8
	v_cmp_gt_i32_e64 s2, s4, v8
	s_or_b32 s28, s3, s5
	v_cmp_le_i32_e64 s3, v16, v14
	v_cmp_gt_i32_e64 s4, s4, v14
	v_cmp_le_i32_e64 s5, v18, v14
	s_and_b32 s29, vcc_lo, s2
	v_cmp_le_i32_e32 vcc_lo, v18, v8
	v_add_nc_u32_e32 v3, 0x800, v3
	v_lshl_add_u32 v29, v15, 6, 0x800
	v_dual_ashrrev_i32 v15, 31, v14 :: v_dual_mov_b32 v17, 0
	s_and_b32 s35, s3, s4
	s_and_b32 s36, vcc_lo, s2
	s_and_b32 s37, s5, s4
	s_mov_b32 s2, s6
	s_mov_b32 s3, s6
	;; [unrolled: 1-line block ×5, first 2 shown]
	s_and_b32 s38, s38, s39
	s_lshl_b64 s[14:15], s[22:23], 3
	s_lshl_b64 s[16:17], s[16:17], 3
	;; [unrolled: 1-line block ×3, first 2 shown]
                                        ; implicit-def: $vgpr18_vgpr19
	s_branch .LBB519_6
.LBB519_5:                              ;   in Loop: Header=BB519_6 Depth=1
	s_wait_xcnt 0x0
	s_or_b32 exec_lo, exec_lo, s22
	s_add_co_i32 s10, s10, 0x10000
	s_delay_alu instid0(SALU_CYCLE_1)
	s_cmp_lt_u32 s10, s33
	s_cbranch_scc0 .LBB519_38
.LBB519_6:                              ; =>This Loop Header: Depth=1
                                        ;     Child Loop BB519_9 Depth 2
	v_mov_b32_e32 v16, s10
	s_and_not1_b32 vcc_lo, exec_lo, s38
	global_load_b64 v[20:21], v16, s[26:27] scale_offset
	s_cbranch_vccnz .LBB519_17
; %bb.7:                                ;   in Loop: Header=BB519_6 Depth=1
	s_lshl_b64 s[22:23], s[10:11], 3
	v_dual_mov_b32 v26, 0 :: v_dual_mov_b32 v28, 0
	s_add_nc_u64 s[30:31], s[12:13], s[22:23]
	s_add_nc_u64 s[22:23], s[18:19], s[22:23]
	s_clause 0x1
	global_load_b64 v[22:23], v17, s[30:31]
	global_load_b64 v[24:25], v17, s[22:23]
	v_dual_mov_b32 v32, 0 :: v_dual_mov_b32 v30, 0
	v_dual_mov_b32 v36, 0 :: v_dual_mov_b32 v34, 0
	;; [unrolled: 1-line block ×3, first 2 shown]
	s_wait_xcnt 0x0
	s_mov_b64 s[22:23], 0
	s_wait_loadcnt 0x1
	v_add_nc_u64_e32 v[22:23], s[16:17], v[22:23]
	s_wait_loadcnt 0x0
	v_add_nc_u64_e32 v[24:25], s[14:15], v[24:25]
	s_delay_alu instid0(VALU_DEP_2) | instskip(NEXT) | instid1(VALU_DEP_2)
	v_lshl_add_u64 v[22:23], v[4:5], 3, v[22:23]
	v_lshl_add_u64 v[24:25], v[6:7], 3, v[24:25]
	s_branch .LBB519_9
.LBB519_8:                              ;   in Loop: Header=BB519_9 Depth=2
	s_wait_xcnt 0x0
	s_or_b32 exec_lo, exec_lo, s30
	s_wait_loadcnt_dscnt 0x0
	ds_store_b64 v3, v[42:43]
	s_wait_dscnt 0x0
	s_barrier_signal -1
	s_barrier_wait -1
	ds_load_b128 v[42:45], v29
	ds_load_2addr_b64 v[46:49], v27 offset1:16
	ds_load_b128 v[50:53], v29 offset:1024
	ds_load_b128 v[54:57], v29 offset:16
	;; [unrolled: 1-line block ×4, first 2 shown]
	ds_load_2addr_b64 v[66:69], v27 offset0:32 offset1:48
	ds_load_b128 v[70:73], v29 offset:1040
	s_add_nc_u64 s[22:23], s[22:23], 8
	s_delay_alu instid0(SALU_CYCLE_1)
	v_cmp_gt_i64_e64 s30, s[8:9], s[22:23]
	s_and_b32 vcc_lo, exec_lo, s30
	s_wait_dscnt 0x6
	v_dual_mul_f32 v16, v43, v47 :: v_dual_mul_f32 v31, v42, v47
	v_dual_mul_f32 v33, v43, v49 :: v_dual_mul_f32 v35, v42, v49
	s_wait_dscnt 0x5
	v_dual_mul_f32 v37, v51, v47 :: v_dual_mul_f32 v39, v50, v47
	v_dual_mul_f32 v41, v51, v49 :: v_dual_mul_f32 v47, v50, v49
	v_dual_fma_f32 v16, v42, v46, -v16 :: v_dual_fmac_f32 v31, v43, v46
	v_dual_fma_f32 v33, v42, v48, -v33 :: v_dual_fmac_f32 v35, v43, v48
	s_delay_alu instid0(VALU_DEP_4) | instskip(NEXT) | instid1(VALU_DEP_3)
	v_dual_fma_f32 v37, v50, v46, -v37 :: v_dual_fmac_f32 v39, v51, v46
	v_dual_add_f32 v16, v38, v16 :: v_dual_add_f32 v38, v40, v31
	v_fma_f32 v31, v50, v48, -v41
	s_delay_alu instid0(VALU_DEP_4) | instskip(NEXT) | instid1(VALU_DEP_4)
	v_dual_add_f32 v34, v34, v33 :: v_dual_add_f32 v35, v36, v35
	v_dual_add_f32 v36, v30, v37 :: v_dual_add_f32 v37, v32, v39
	s_wait_dscnt 0x1
	v_dual_mul_f32 v39, v45, v67 :: v_dual_fmac_f32 v47, v51, v48
	v_add_f32_e32 v28, v28, v31
	ds_load_2addr_b64 v[30:33], v27 offset0:64 offset1:80
	v_dual_mul_f32 v40, v44, v67 :: v_dual_fma_f32 v39, v44, v66, -v39
	v_dual_mul_f32 v41, v45, v69 :: v_dual_add_f32 v26, v26, v47
	s_delay_alu instid0(VALU_DEP_2) | instskip(NEXT) | instid1(VALU_DEP_3)
	v_dual_mul_f32 v42, v44, v69 :: v_dual_fmac_f32 v40, v45, v66
	v_add_f32_e32 v16, v16, v39
	s_delay_alu instid0(VALU_DEP_3) | instskip(NEXT) | instid1(VALU_DEP_3)
	v_dual_fma_f32 v39, v44, v68, -v41 :: v_dual_mul_f32 v41, v53, v67
	v_fmac_f32_e32 v42, v45, v68
	s_delay_alu instid0(VALU_DEP_4) | instskip(NEXT) | instid1(VALU_DEP_3)
	v_dual_add_f32 v38, v38, v40 :: v_dual_mul_f32 v40, v52, v67
	v_dual_add_f32 v39, v34, v39 :: v_dual_fma_f32 v34, v52, v66, -v41
	s_delay_alu instid0(VALU_DEP_3) | instskip(NEXT) | instid1(VALU_DEP_3)
	v_dual_mul_f32 v41, v53, v69 :: v_dual_add_f32 v42, v35, v42
	v_dual_fmac_f32 v40, v53, v66 :: v_dual_mul_f32 v43, v52, v69
	s_wait_dscnt 0x0
	s_delay_alu instid0(VALU_DEP_3) | instskip(NEXT) | instid1(VALU_DEP_3)
	v_dual_add_f32 v44, v36, v34 :: v_dual_mul_f32 v35, v55, v31
	v_fma_f32 v34, v52, v68, -v41
	s_delay_alu instid0(VALU_DEP_3) | instskip(SKIP_1) | instid1(VALU_DEP_4)
	v_dual_add_f32 v40, v37, v40 :: v_dual_mul_f32 v41, v54, v31
	v_fmac_f32_e32 v43, v53, v68
	v_fma_f32 v45, v54, v30, -v35
	s_delay_alu instid0(VALU_DEP_4) | instskip(SKIP_4) | instid1(VALU_DEP_3)
	v_dual_add_f32 v28, v28, v34 :: v_dual_mul_f32 v46, v55, v33
	ds_load_2addr_b64 v[34:37], v27 offset0:96 offset1:112
	v_dual_fmac_f32 v41, v55, v30 :: v_dual_add_f32 v26, v26, v43
	v_add_f32_e32 v16, v16, v45
	v_dual_mul_f32 v43, v54, v33 :: v_dual_fma_f32 v45, v54, v32, -v46
	v_dual_add_f32 v38, v38, v41 :: v_dual_mul_f32 v41, v71, v31
	s_delay_alu instid0(VALU_DEP_2) | instskip(NEXT) | instid1(VALU_DEP_3)
	v_dual_mul_f32 v31, v70, v31 :: v_dual_fmac_f32 v43, v55, v32
	v_add_f32_e32 v39, v39, v45
	s_delay_alu instid0(VALU_DEP_3) | instskip(NEXT) | instid1(VALU_DEP_3)
	v_dual_mul_f32 v45, v71, v33 :: v_dual_fma_f32 v41, v70, v30, -v41
	v_dual_fmac_f32 v31, v71, v30 :: v_dual_mul_f32 v46, v70, v33
	s_delay_alu instid0(VALU_DEP_4) | instskip(NEXT) | instid1(VALU_DEP_3)
	v_add_f32_e32 v42, v42, v43
	v_dual_fma_f32 v30, v70, v32, -v45 :: v_dual_add_f32 v43, v44, v41
	s_delay_alu instid0(VALU_DEP_3) | instskip(SKIP_1) | instid1(VALU_DEP_2)
	v_dual_add_f32 v44, v40, v31 :: v_dual_fmac_f32 v46, v71, v32
	s_wait_dscnt 0x0
	v_dual_mul_f32 v40, v57, v35 :: v_dual_add_f32 v28, v28, v30
	ds_load_2addr_b64 v[30:33], v27 offset0:128 offset1:144
	v_dual_mul_f32 v41, v56, v35 :: v_dual_mul_f32 v45, v57, v37
	v_fma_f32 v40, v56, v34, -v40
	v_dual_add_f32 v26, v26, v46 :: v_dual_mul_f32 v46, v56, v37
	s_delay_alu instid0(VALU_DEP_3) | instskip(NEXT) | instid1(VALU_DEP_4)
	v_fmac_f32_e32 v41, v57, v34
	v_fma_f32 v45, v56, v36, -v45
	s_delay_alu instid0(VALU_DEP_4) | instskip(NEXT) | instid1(VALU_DEP_3)
	v_dual_add_f32 v16, v16, v40 :: v_dual_mul_f32 v40, v73, v35
	v_dual_fmac_f32 v46, v57, v36 :: v_dual_add_f32 v47, v38, v41
	s_delay_alu instid0(VALU_DEP_3) | instskip(NEXT) | instid1(VALU_DEP_3)
	v_dual_add_f32 v48, v39, v45 :: v_dual_mul_f32 v35, v72, v35
	v_dual_fma_f32 v45, v72, v34, -v40 :: v_dual_mul_f32 v49, v73, v37
	s_delay_alu instid0(VALU_DEP_3)
	v_add_f32_e32 v46, v42, v46
	ds_load_b128 v[38:41], v29 offset:1056
	v_dual_fmac_f32 v35, v73, v34 :: v_dual_mul_f32 v42, v72, v37
	v_dual_fma_f32 v34, v72, v36, -v49 :: v_dual_add_f32 v49, v43, v45
	s_wait_dscnt 0x1
	v_dual_mul_f32 v37, v59, v31 :: v_dual_mul_f32 v51, v58, v31
	s_delay_alu instid0(VALU_DEP_3) | instskip(NEXT) | instid1(VALU_DEP_3)
	v_dual_fmac_f32 v42, v73, v36 :: v_dual_add_f32 v50, v44, v35
	v_add_f32_e32 v28, v28, v34
	s_delay_alu instid0(VALU_DEP_3) | instskip(NEXT) | instid1(VALU_DEP_3)
	v_dual_fma_f32 v43, v58, v30, -v37 :: v_dual_mul_f32 v44, v59, v33
	v_add_f32_e32 v26, v26, v42
	ds_load_2addr_b64 v[34:37], v27 offset0:160 offset1:176
	v_dual_fmac_f32 v51, v59, v30 :: v_dual_add_f32 v16, v16, v43
	v_dual_fma_f32 v52, v58, v32, -v44 :: v_dual_mul_f32 v53, v58, v33
	ds_load_b128 v[42:45], v29 offset:1072
	v_add_f32_e32 v47, v47, v51
	s_wait_dscnt 0x2
	v_dual_mul_f32 v54, v39, v31 :: v_dual_mul_f32 v31, v38, v31
	v_fmac_f32_e32 v53, v59, v32
	v_dual_add_f32 v48, v48, v52 :: v_dual_mul_f32 v52, v39, v33
	s_delay_alu instid0(VALU_DEP_3) | instskip(NEXT) | instid1(VALU_DEP_3)
	v_dual_fma_f32 v51, v38, v30, -v54 :: v_dual_fmac_f32 v31, v39, v30
	v_add_f32_e32 v46, v46, v53
	s_delay_alu instid0(VALU_DEP_3) | instskip(NEXT) | instid1(VALU_DEP_3)
	v_dual_mul_f32 v53, v38, v33 :: v_dual_fma_f32 v30, v38, v32, -v52
	v_add_f32_e32 v49, v49, v51
	s_delay_alu instid0(VALU_DEP_2)
	v_dual_add_f32 v38, v50, v31 :: v_dual_fmac_f32 v53, v39, v32
	s_wait_dscnt 0x1
	v_dual_mul_f32 v50, v61, v35 :: v_dual_mul_f32 v39, v60, v35
	v_dual_add_f32 v28, v28, v30 :: v_dual_mul_f32 v51, v61, v37
	ds_load_2addr_b64 v[30:33], v27 offset0:192 offset1:208
	v_dual_fma_f32 v50, v60, v34, -v50 :: v_dual_fmac_f32 v39, v61, v34
	v_add_f32_e32 v26, v26, v53
	v_mul_f32_e32 v52, v60, v37
	s_delay_alu instid0(VALU_DEP_3) | instskip(NEXT) | instid1(VALU_DEP_4)
	v_add_f32_e32 v16, v16, v50
	v_dual_fma_f32 v50, v60, v36, -v51 :: v_dual_add_f32 v39, v47, v39
	s_delay_alu instid0(VALU_DEP_3) | instskip(SKIP_1) | instid1(VALU_DEP_3)
	v_fmac_f32_e32 v52, v61, v36
	v_dual_mul_f32 v47, v41, v35 :: v_dual_mul_f32 v35, v40, v35
	v_dual_add_f32 v50, v48, v50 :: v_dual_mul_f32 v48, v41, v37
	s_delay_alu instid0(VALU_DEP_2) | instskip(NEXT) | instid1(VALU_DEP_3)
	v_dual_add_f32 v51, v46, v52 :: v_dual_fma_f32 v47, v40, v34, -v47
	v_dual_fmac_f32 v35, v41, v34 :: v_dual_mul_f32 v34, v40, v37
	s_delay_alu instid0(VALU_DEP_2) | instskip(SKIP_1) | instid1(VALU_DEP_2)
	v_dual_fma_f32 v37, v40, v36, -v48 :: v_dual_add_f32 v40, v49, v47
	s_wait_dscnt 0x0
	v_dual_mul_f32 v46, v63, v31 :: v_dual_fmac_f32 v34, v41, v36
	s_delay_alu instid0(VALU_DEP_2) | instskip(NEXT) | instid1(VALU_DEP_2)
	v_dual_add_f32 v35, v38, v35 :: v_dual_add_f32 v28, v28, v37
	v_dual_mul_f32 v36, v62, v31 :: v_dual_fma_f32 v37, v62, v30, -v46
	ds_load_2addr_b64 v[46:49], v27 offset0:224 offset1:240
	v_dual_add_f32 v26, v26, v34 :: v_dual_mul_f32 v34, v63, v33
	v_dual_fmac_f32 v36, v63, v30 :: v_dual_add_f32 v16, v16, v37
	v_dual_mul_f32 v37, v62, v33 :: v_dual_mul_f32 v38, v43, v31
	s_delay_alu instid0(VALU_DEP_3) | instskip(NEXT) | instid1(VALU_DEP_3)
	v_fma_f32 v34, v62, v32, -v34
	v_dual_mul_f32 v31, v42, v31 :: v_dual_add_f32 v36, v39, v36
	s_delay_alu instid0(VALU_DEP_3) | instskip(NEXT) | instid1(VALU_DEP_3)
	v_dual_fmac_f32 v37, v63, v32 :: v_dual_fma_f32 v38, v42, v30, -v38
	v_add_f32_e32 v34, v50, v34
	s_delay_alu instid0(VALU_DEP_3) | instskip(SKIP_1) | instid1(VALU_DEP_4)
	v_dual_fmac_f32 v31, v43, v30 :: v_dual_mul_f32 v30, v43, v33
	v_mul_f32_e32 v33, v42, v33
	v_dual_add_f32 v37, v51, v37 :: v_dual_add_f32 v39, v40, v38
	s_delay_alu instid0(VALU_DEP_3) | instskip(SKIP_3) | instid1(VALU_DEP_3)
	v_dual_add_f32 v31, v35, v31 :: v_dual_fma_f32 v30, v42, v32, -v30
	s_wait_dscnt 0x0
	v_dual_mul_f32 v35, v65, v47 :: v_dual_mul_f32 v40, v64, v47
	v_dual_fmac_f32 v33, v43, v32 :: v_dual_mul_f32 v32, v65, v49
	v_add_f32_e32 v28, v28, v30
	s_delay_alu instid0(VALU_DEP_3) | instskip(NEXT) | instid1(VALU_DEP_3)
	v_dual_fma_f32 v30, v64, v46, -v35 :: v_dual_fmac_f32 v40, v65, v46
	v_dual_mul_f32 v35, v64, v49 :: v_dual_fma_f32 v32, v64, v48, -v32
	s_delay_alu instid0(VALU_DEP_2) | instskip(NEXT) | instid1(VALU_DEP_3)
	v_dual_add_f32 v26, v26, v33 :: v_dual_add_f32 v38, v16, v30
	v_dual_add_f32 v40, v36, v40 :: v_dual_mul_f32 v16, v45, v47
	s_delay_alu instid0(VALU_DEP_3) | instskip(NEXT) | instid1(VALU_DEP_4)
	v_fmac_f32_e32 v35, v65, v48
	v_dual_add_f32 v34, v34, v32 :: v_dual_mul_f32 v30, v45, v49
	v_dual_mul_f32 v32, v44, v47 :: v_dual_mul_f32 v33, v44, v49
	s_delay_alu instid0(VALU_DEP_3) | instskip(NEXT) | instid1(VALU_DEP_2)
	v_dual_add_f32 v36, v37, v35 :: v_dual_fma_f32 v16, v44, v46, -v16
	v_dual_fma_f32 v35, v44, v48, -v30 :: v_dual_fmac_f32 v32, v45, v46
	s_delay_alu instid0(VALU_DEP_3) | instskip(NEXT) | instid1(VALU_DEP_2)
	v_fmac_f32_e32 v33, v45, v48
	v_dual_add_f32 v30, v39, v16 :: v_dual_add_f32 v28, v28, v35
	s_delay_alu instid0(VALU_DEP_2)
	v_dual_add_f32 v32, v31, v32 :: v_dual_add_f32 v26, v26, v33
	s_barrier_signal -1
	s_barrier_wait -1
	s_cbranch_vccz .LBB519_18
.LBB519_9:                              ;   Parent Loop BB519_6 Depth=1
                                        ; =>  This Inner Loop Header: Depth=2
	s_mov_b32 s30, 0
	s_mov_b32 s39, s34
	s_and_saveexec_b32 s31, s0
; %bb.10:                               ;   in Loop: Header=BB519_9 Depth=2
	v_add_nc_u32_e32 v16, s22, v2
	s_and_not1_b32 s39, s34, exec_lo
	s_mov_b32 s30, exec_lo
	s_delay_alu instid0(VALU_DEP_1) | instskip(SKIP_2) | instid1(SALU_CYCLE_1)
	v_cmp_le_u64_e32 vcc_lo, s[8:9], v[16:17]
	v_mov_b64_e32 v[18:19], v[16:17]
	s_and_b32 s40, vcc_lo, exec_lo
	s_or_b32 s39, s39, s40
; %bb.11:                               ;   in Loop: Header=BB519_9 Depth=2
	s_or_b32 exec_lo, exec_lo, s31
	s_and_saveexec_b32 s31, s39
	s_delay_alu instid0(SALU_CYCLE_1)
	s_xor_b32 s31, exec_lo, s31
; %bb.12:                               ;   in Loop: Header=BB519_9 Depth=2
	s_and_not1_b32 s30, s30, exec_lo
	ds_store_b32 v1, v17
; %bb.13:                               ;   in Loop: Header=BB519_9 Depth=2
	s_or_b32 exec_lo, exec_lo, s31
	v_dual_mov_b32 v42, 0 :: v_dual_mov_b32 v31, 0
	s_and_saveexec_b32 s31, s30
	s_cbranch_execz .LBB519_15
; %bb.14:                               ;   in Loop: Header=BB519_9 Depth=2
	v_lshl_add_u64 v[44:45], v[18:19], 3, v[22:23]
	flat_load_b64 v[44:45], v[44:45]
	s_wait_loadcnt_dscnt 0x0
	v_xor_b32_e32 v31, 0x80000000, v45
	ds_store_b32 v1, v44
.LBB519_15:                             ;   in Loop: Header=BB519_9 Depth=2
	s_wait_xcnt 0x0
	s_or_b32 exec_lo, exec_lo, s31
	v_dual_mov_b32 v43, 0 :: v_dual_add_nc_u32 v16, s22, v0
	ds_store_b32 v1, v31 offset:4
	v_cmp_gt_u64_e32 vcc_lo, s[8:9], v[16:17]
	s_and_b32 s31, vcc_lo, s1
	s_delay_alu instid0(SALU_CYCLE_1)
	s_and_saveexec_b32 s30, s31
	s_cbranch_execz .LBB519_8
; %bb.16:                               ;   in Loop: Header=BB519_9 Depth=2
	v_lshl_add_u64 v[42:43], v[16:17], 3, v[24:25]
	flat_load_b64 v[42:43], v[42:43]
	s_branch .LBB519_8
.LBB519_17:                             ;   in Loop: Header=BB519_6 Depth=1
	v_dual_mov_b32 v38, v17 :: v_dual_mov_b32 v40, v17
	v_dual_mov_b32 v34, v17 :: v_dual_mov_b32 v36, v17
	;; [unrolled: 1-line block ×4, first 2 shown]
.LBB519_18:                             ;   in Loop: Header=BB519_6 Depth=1
	s_wait_loadcnt 0x0
	v_add_nc_u64_e32 v[20:21], s[20:21], v[20:21]
	s_delay_alu instid0(VALU_DEP_1)
	v_lshl_add_u64 v[22:23], v[10:11], 3, v[20:21]
	s_wait_xcnt 0x0
	s_and_saveexec_b32 s22, s29
	s_cbranch_execz .LBB519_23
; %bb.19:                               ;   in Loop: Header=BB519_6 Depth=1
	v_mov_b64_e32 v[24:25], s[4:5]
	v_mov_b64_e32 v[42:43], s[24:25]
	s_and_b32 vcc_lo, exec_lo, s28
	s_mov_b32 s23, -1
	s_delay_alu instid0(VALU_DEP_2) | instskip(NEXT) | instid1(VALU_DEP_1)
	v_pk_mul_f32 v[24:25], v[40:41], v[24:25] op_sel_hi:[0,1]
	v_pk_fma_f32 v[40:41], v[38:39], v[42:43], v[24:25] op_sel_hi:[0,1,1]
	v_pk_fma_f32 v[24:25], v[38:39], v[42:43], v[24:25] neg_lo:[0,0,1] neg_hi:[0,0,1]
	v_lshl_add_u64 v[38:39], v[8:9], 3, v[22:23]
	s_delay_alu instid0(VALU_DEP_3)
	v_mov_b32_e32 v25, v41
	s_cbranch_vccz .LBB519_21
; %bb.20:                               ;   in Loop: Header=BB519_6 Depth=1
	flat_load_b64 v[40:41], v[38:39]
	v_mov_b64_e32 v[42:43], s[6:7]
	v_mov_b64_e32 v[44:45], s[2:3]
	s_mov_b32 s23, 0
	s_wait_loadcnt_dscnt 0x0
	s_delay_alu instid0(VALU_DEP_2) | instskip(NEXT) | instid1(VALU_DEP_1)
	v_pk_mul_f32 v[42:43], v[40:41], v[42:43]
	v_pk_fma_f32 v[46:47], v[40:41], v[44:45], v[42:43] op_sel:[0,0,1] op_sel_hi:[1,1,0]
	v_pk_fma_f32 v[40:41], v[40:41], v[44:45], v[42:43] op_sel:[0,0,1] op_sel_hi:[1,1,0] neg_lo:[0,0,1] neg_hi:[0,0,1]
	s_delay_alu instid0(VALU_DEP_2) | instskip(NEXT) | instid1(VALU_DEP_1)
	v_mov_b32_e32 v41, v47
	v_pk_add_f32 v[40:41], v[24:25], v[40:41]
	flat_store_b64 v[38:39], v[40:41]
.LBB519_21:                             ;   in Loop: Header=BB519_6 Depth=1
	s_and_not1_b32 vcc_lo, exec_lo, s23
	s_cbranch_vccnz .LBB519_23
; %bb.22:                               ;   in Loop: Header=BB519_6 Depth=1
	flat_store_b64 v[38:39], v[24:25]
.LBB519_23:                             ;   in Loop: Header=BB519_6 Depth=1
	s_wait_xcnt 0x0
	s_or_b32 exec_lo, exec_lo, s22
	s_and_saveexec_b32 s22, s35
	s_cbranch_execz .LBB519_28
; %bb.24:                               ;   in Loop: Header=BB519_6 Depth=1
	v_mov_b64_e32 v[24:25], s[4:5]
	v_mov_b64_e32 v[38:39], s[24:25]
	v_lshl_add_u64 v[22:23], v[14:15], 3, v[22:23]
	s_and_not1_b32 vcc_lo, exec_lo, s28
	s_mov_b32 s23, -1
	s_delay_alu instid0(VALU_DEP_3) | instskip(NEXT) | instid1(VALU_DEP_1)
	v_pk_mul_f32 v[24:25], v[36:37], v[24:25] op_sel_hi:[0,1]
	v_pk_fma_f32 v[36:37], v[34:35], v[38:39], v[24:25] op_sel_hi:[0,1,1]
	v_pk_fma_f32 v[24:25], v[34:35], v[38:39], v[24:25] neg_lo:[0,0,1] neg_hi:[0,0,1]
	s_delay_alu instid0(VALU_DEP_2)
	v_mov_b32_e32 v25, v37
	s_cbranch_vccnz .LBB519_26
; %bb.25:                               ;   in Loop: Header=BB519_6 Depth=1
	flat_load_b64 v[34:35], v[22:23]
	v_mov_b64_e32 v[36:37], s[6:7]
	v_mov_b64_e32 v[38:39], s[2:3]
	s_mov_b32 s23, 0
	s_wait_loadcnt_dscnt 0x0
	s_delay_alu instid0(VALU_DEP_2) | instskip(NEXT) | instid1(VALU_DEP_1)
	v_pk_mul_f32 v[36:37], v[34:35], v[36:37]
	v_pk_fma_f32 v[40:41], v[34:35], v[38:39], v[36:37] op_sel:[0,0,1] op_sel_hi:[1,1,0]
	v_pk_fma_f32 v[34:35], v[34:35], v[38:39], v[36:37] op_sel:[0,0,1] op_sel_hi:[1,1,0] neg_lo:[0,0,1] neg_hi:[0,0,1]
	s_delay_alu instid0(VALU_DEP_2) | instskip(NEXT) | instid1(VALU_DEP_1)
	v_mov_b32_e32 v35, v41
	v_pk_add_f32 v[34:35], v[24:25], v[34:35]
	flat_store_b64 v[22:23], v[34:35]
.LBB519_26:                             ;   in Loop: Header=BB519_6 Depth=1
	s_and_not1_b32 vcc_lo, exec_lo, s23
	s_cbranch_vccnz .LBB519_28
; %bb.27:                               ;   in Loop: Header=BB519_6 Depth=1
	flat_store_b64 v[22:23], v[24:25]
.LBB519_28:                             ;   in Loop: Header=BB519_6 Depth=1
	s_wait_xcnt 0x0
	s_or_b32 exec_lo, exec_lo, s22
	v_lshl_add_u64 v[20:21], v[12:13], 3, v[20:21]
	s_and_saveexec_b32 s22, s36
	s_cbranch_execz .LBB519_33
; %bb.29:                               ;   in Loop: Header=BB519_6 Depth=1
	v_mov_b64_e32 v[22:23], s[4:5]
	v_mov_b64_e32 v[24:25], s[24:25]
	s_and_not1_b32 vcc_lo, exec_lo, s28
	s_mov_b32 s23, -1
	s_delay_alu instid0(VALU_DEP_2) | instskip(NEXT) | instid1(VALU_DEP_1)
	v_pk_mul_f32 v[22:23], v[32:33], v[22:23] op_sel_hi:[0,1]
	v_pk_fma_f32 v[32:33], v[30:31], v[24:25], v[22:23] op_sel_hi:[0,1,1]
	v_pk_fma_f32 v[22:23], v[30:31], v[24:25], v[22:23] neg_lo:[0,0,1] neg_hi:[0,0,1]
	v_lshl_add_u64 v[24:25], v[8:9], 3, v[20:21]
	s_delay_alu instid0(VALU_DEP_3)
	v_mov_b32_e32 v23, v33
	s_cbranch_vccnz .LBB519_31
; %bb.30:                               ;   in Loop: Header=BB519_6 Depth=1
	flat_load_b64 v[30:31], v[24:25]
	v_mov_b64_e32 v[32:33], s[6:7]
	v_mov_b64_e32 v[34:35], s[2:3]
	s_mov_b32 s23, 0
	s_wait_loadcnt_dscnt 0x0
	s_delay_alu instid0(VALU_DEP_2) | instskip(NEXT) | instid1(VALU_DEP_1)
	v_pk_mul_f32 v[32:33], v[30:31], v[32:33]
	v_pk_fma_f32 v[36:37], v[30:31], v[34:35], v[32:33] op_sel:[0,0,1] op_sel_hi:[1,1,0]
	v_pk_fma_f32 v[30:31], v[30:31], v[34:35], v[32:33] op_sel:[0,0,1] op_sel_hi:[1,1,0] neg_lo:[0,0,1] neg_hi:[0,0,1]
	s_delay_alu instid0(VALU_DEP_2) | instskip(NEXT) | instid1(VALU_DEP_1)
	v_mov_b32_e32 v31, v37
	v_pk_add_f32 v[30:31], v[22:23], v[30:31]
	flat_store_b64 v[24:25], v[30:31]
.LBB519_31:                             ;   in Loop: Header=BB519_6 Depth=1
	s_and_not1_b32 vcc_lo, exec_lo, s23
	s_cbranch_vccnz .LBB519_33
; %bb.32:                               ;   in Loop: Header=BB519_6 Depth=1
	flat_store_b64 v[24:25], v[22:23]
.LBB519_33:                             ;   in Loop: Header=BB519_6 Depth=1
	s_wait_xcnt 0x0
	s_or_b32 exec_lo, exec_lo, s22
	s_and_saveexec_b32 s22, s37
	s_cbranch_execz .LBB519_5
; %bb.34:                               ;   in Loop: Header=BB519_6 Depth=1
	v_mov_b64_e32 v[22:23], s[4:5]
	v_mov_b64_e32 v[24:25], s[24:25]
	v_lshl_add_u64 v[20:21], v[14:15], 3, v[20:21]
	s_and_not1_b32 vcc_lo, exec_lo, s28
	s_mov_b32 s23, -1
	s_delay_alu instid0(VALU_DEP_3) | instskip(NEXT) | instid1(VALU_DEP_1)
	v_pk_mul_f32 v[22:23], v[26:27], v[22:23] op_sel_hi:[0,1]
	v_pk_fma_f32 v[30:31], v[28:29], v[24:25], v[22:23] op_sel_hi:[0,1,1]
	v_pk_fma_f32 v[22:23], v[28:29], v[24:25], v[22:23] neg_lo:[0,0,1] neg_hi:[0,0,1]
	s_delay_alu instid0(VALU_DEP_2)
	v_mov_b32_e32 v23, v31
	s_cbranch_vccnz .LBB519_36
; %bb.35:                               ;   in Loop: Header=BB519_6 Depth=1
	flat_load_b64 v[24:25], v[20:21]
	v_mov_b64_e32 v[30:31], s[6:7]
	v_mov_b64_e32 v[32:33], s[2:3]
	s_mov_b32 s23, 0
	s_wait_loadcnt_dscnt 0x0
	s_delay_alu instid0(VALU_DEP_2) | instskip(NEXT) | instid1(VALU_DEP_1)
	v_pk_mul_f32 v[30:31], v[24:25], v[30:31]
	v_pk_fma_f32 v[34:35], v[24:25], v[32:33], v[30:31] op_sel:[0,0,1] op_sel_hi:[1,1,0]
	v_pk_fma_f32 v[24:25], v[24:25], v[32:33], v[30:31] op_sel:[0,0,1] op_sel_hi:[1,1,0] neg_lo:[0,0,1] neg_hi:[0,0,1]
	s_delay_alu instid0(VALU_DEP_2) | instskip(NEXT) | instid1(VALU_DEP_1)
	v_mov_b32_e32 v25, v35
	v_pk_add_f32 v[24:25], v[22:23], v[24:25]
	flat_store_b64 v[20:21], v[24:25]
.LBB519_36:                             ;   in Loop: Header=BB519_6 Depth=1
	s_and_not1_b32 vcc_lo, exec_lo, s23
	s_cbranch_vccnz .LBB519_5
; %bb.37:                               ;   in Loop: Header=BB519_6 Depth=1
	flat_store_b64 v[20:21], v[22:23]
	s_branch .LBB519_5
.LBB519_38:
	s_sendmsg sendmsg(MSG_DEALLOC_VGPRS)
	s_endpgm
	.section	.rodata,"a",@progbits
	.p2align	6, 0x0
	.amdhsa_kernel _ZL29rocblas_internal_gemmt_kernelIlLi16ELi32ELi8ELc67ELc78ELc76ELb1ELb0E19rocblas_complex_numIfEPKS1_PKS3_PKPS1_EviT_T9_T10_S9_lSB_S9_lSA_T11_S9_li
		.amdhsa_group_segment_fixed_size 4096
		.amdhsa_private_segment_fixed_size 0
		.amdhsa_kernarg_size 108
		.amdhsa_user_sgpr_count 2
		.amdhsa_user_sgpr_dispatch_ptr 0
		.amdhsa_user_sgpr_queue_ptr 0
		.amdhsa_user_sgpr_kernarg_segment_ptr 1
		.amdhsa_user_sgpr_dispatch_id 0
		.amdhsa_user_sgpr_kernarg_preload_length 0
		.amdhsa_user_sgpr_kernarg_preload_offset 0
		.amdhsa_user_sgpr_private_segment_size 0
		.amdhsa_wavefront_size32 1
		.amdhsa_uses_dynamic_stack 0
		.amdhsa_enable_private_segment 0
		.amdhsa_system_sgpr_workgroup_id_x 1
		.amdhsa_system_sgpr_workgroup_id_y 1
		.amdhsa_system_sgpr_workgroup_id_z 1
		.amdhsa_system_sgpr_workgroup_info 0
		.amdhsa_system_vgpr_workitem_id 1
		.amdhsa_next_free_vgpr 74
		.amdhsa_next_free_sgpr 41
		.amdhsa_named_barrier_count 0
		.amdhsa_reserve_vcc 1
		.amdhsa_float_round_mode_32 0
		.amdhsa_float_round_mode_16_64 0
		.amdhsa_float_denorm_mode_32 3
		.amdhsa_float_denorm_mode_16_64 3
		.amdhsa_fp16_overflow 0
		.amdhsa_memory_ordered 1
		.amdhsa_forward_progress 1
		.amdhsa_inst_pref_size 26
		.amdhsa_round_robin_scheduling 0
		.amdhsa_exception_fp_ieee_invalid_op 0
		.amdhsa_exception_fp_denorm_src 0
		.amdhsa_exception_fp_ieee_div_zero 0
		.amdhsa_exception_fp_ieee_overflow 0
		.amdhsa_exception_fp_ieee_underflow 0
		.amdhsa_exception_fp_ieee_inexact 0
		.amdhsa_exception_int_div_zero 0
	.end_amdhsa_kernel
	.section	.text._ZL29rocblas_internal_gemmt_kernelIlLi16ELi32ELi8ELc67ELc78ELc76ELb1ELb0E19rocblas_complex_numIfEPKS1_PKS3_PKPS1_EviT_T9_T10_S9_lSB_S9_lSA_T11_S9_li,"axG",@progbits,_ZL29rocblas_internal_gemmt_kernelIlLi16ELi32ELi8ELc67ELc78ELc76ELb1ELb0E19rocblas_complex_numIfEPKS1_PKS3_PKPS1_EviT_T9_T10_S9_lSB_S9_lSA_T11_S9_li,comdat
.Lfunc_end519:
	.size	_ZL29rocblas_internal_gemmt_kernelIlLi16ELi32ELi8ELc67ELc78ELc76ELb1ELb0E19rocblas_complex_numIfEPKS1_PKS3_PKPS1_EviT_T9_T10_S9_lSB_S9_lSA_T11_S9_li, .Lfunc_end519-_ZL29rocblas_internal_gemmt_kernelIlLi16ELi32ELi8ELc67ELc78ELc76ELb1ELb0E19rocblas_complex_numIfEPKS1_PKS3_PKPS1_EviT_T9_T10_S9_lSB_S9_lSA_T11_S9_li
                                        ; -- End function
	.set _ZL29rocblas_internal_gemmt_kernelIlLi16ELi32ELi8ELc67ELc78ELc76ELb1ELb0E19rocblas_complex_numIfEPKS1_PKS3_PKPS1_EviT_T9_T10_S9_lSB_S9_lSA_T11_S9_li.num_vgpr, 74
	.set _ZL29rocblas_internal_gemmt_kernelIlLi16ELi32ELi8ELc67ELc78ELc76ELb1ELb0E19rocblas_complex_numIfEPKS1_PKS3_PKPS1_EviT_T9_T10_S9_lSB_S9_lSA_T11_S9_li.num_agpr, 0
	.set _ZL29rocblas_internal_gemmt_kernelIlLi16ELi32ELi8ELc67ELc78ELc76ELb1ELb0E19rocblas_complex_numIfEPKS1_PKS3_PKPS1_EviT_T9_T10_S9_lSB_S9_lSA_T11_S9_li.numbered_sgpr, 41
	.set _ZL29rocblas_internal_gemmt_kernelIlLi16ELi32ELi8ELc67ELc78ELc76ELb1ELb0E19rocblas_complex_numIfEPKS1_PKS3_PKPS1_EviT_T9_T10_S9_lSB_S9_lSA_T11_S9_li.num_named_barrier, 0
	.set _ZL29rocblas_internal_gemmt_kernelIlLi16ELi32ELi8ELc67ELc78ELc76ELb1ELb0E19rocblas_complex_numIfEPKS1_PKS3_PKPS1_EviT_T9_T10_S9_lSB_S9_lSA_T11_S9_li.private_seg_size, 0
	.set _ZL29rocblas_internal_gemmt_kernelIlLi16ELi32ELi8ELc67ELc78ELc76ELb1ELb0E19rocblas_complex_numIfEPKS1_PKS3_PKPS1_EviT_T9_T10_S9_lSB_S9_lSA_T11_S9_li.uses_vcc, 1
	.set _ZL29rocblas_internal_gemmt_kernelIlLi16ELi32ELi8ELc67ELc78ELc76ELb1ELb0E19rocblas_complex_numIfEPKS1_PKS3_PKPS1_EviT_T9_T10_S9_lSB_S9_lSA_T11_S9_li.uses_flat_scratch, 0
	.set _ZL29rocblas_internal_gemmt_kernelIlLi16ELi32ELi8ELc67ELc78ELc76ELb1ELb0E19rocblas_complex_numIfEPKS1_PKS3_PKPS1_EviT_T9_T10_S9_lSB_S9_lSA_T11_S9_li.has_dyn_sized_stack, 0
	.set _ZL29rocblas_internal_gemmt_kernelIlLi16ELi32ELi8ELc67ELc78ELc76ELb1ELb0E19rocblas_complex_numIfEPKS1_PKS3_PKPS1_EviT_T9_T10_S9_lSB_S9_lSA_T11_S9_li.has_recursion, 0
	.set _ZL29rocblas_internal_gemmt_kernelIlLi16ELi32ELi8ELc67ELc78ELc76ELb1ELb0E19rocblas_complex_numIfEPKS1_PKS3_PKPS1_EviT_T9_T10_S9_lSB_S9_lSA_T11_S9_li.has_indirect_call, 0
	.section	.AMDGPU.csdata,"",@progbits
; Kernel info:
; codeLenInByte = 3272
; TotalNumSgprs: 43
; NumVgprs: 74
; ScratchSize: 0
; MemoryBound: 0
; FloatMode: 240
; IeeeMode: 1
; LDSByteSize: 4096 bytes/workgroup (compile time only)
; SGPRBlocks: 0
; VGPRBlocks: 4
; NumSGPRsForWavesPerEU: 43
; NumVGPRsForWavesPerEU: 74
; NamedBarCnt: 0
; Occupancy: 12
; WaveLimiterHint : 1
; COMPUTE_PGM_RSRC2:SCRATCH_EN: 0
; COMPUTE_PGM_RSRC2:USER_SGPR: 2
; COMPUTE_PGM_RSRC2:TRAP_HANDLER: 0
; COMPUTE_PGM_RSRC2:TGID_X_EN: 1
; COMPUTE_PGM_RSRC2:TGID_Y_EN: 1
; COMPUTE_PGM_RSRC2:TGID_Z_EN: 1
; COMPUTE_PGM_RSRC2:TIDIG_COMP_CNT: 1
	.section	.text._ZL29rocblas_internal_gemmt_kernelIlLi16ELi32ELi8ELc67ELc84ELc76ELb1ELb0E19rocblas_complex_numIfEPKS1_PKS3_PKPS1_EviT_T9_T10_S9_lSB_S9_lSA_T11_S9_li,"axG",@progbits,_ZL29rocblas_internal_gemmt_kernelIlLi16ELi32ELi8ELc67ELc84ELc76ELb1ELb0E19rocblas_complex_numIfEPKS1_PKS3_PKPS1_EviT_T9_T10_S9_lSB_S9_lSA_T11_S9_li,comdat
	.globl	_ZL29rocblas_internal_gemmt_kernelIlLi16ELi32ELi8ELc67ELc84ELc76ELb1ELb0E19rocblas_complex_numIfEPKS1_PKS3_PKPS1_EviT_T9_T10_S9_lSB_S9_lSA_T11_S9_li ; -- Begin function _ZL29rocblas_internal_gemmt_kernelIlLi16ELi32ELi8ELc67ELc84ELc76ELb1ELb0E19rocblas_complex_numIfEPKS1_PKS3_PKPS1_EviT_T9_T10_S9_lSB_S9_lSA_T11_S9_li
	.p2align	8
	.type	_ZL29rocblas_internal_gemmt_kernelIlLi16ELi32ELi8ELc67ELc84ELc76ELb1ELb0E19rocblas_complex_numIfEPKS1_PKS3_PKPS1_EviT_T9_T10_S9_lSB_S9_lSA_T11_S9_li,@function
_ZL29rocblas_internal_gemmt_kernelIlLi16ELi32ELi8ELc67ELc84ELc76ELb1ELb0E19rocblas_complex_numIfEPKS1_PKS3_PKPS1_EviT_T9_T10_S9_lSB_S9_lSA_T11_S9_li: ; @_ZL29rocblas_internal_gemmt_kernelIlLi16ELi32ELi8ELc67ELc84ELc76ELb1ELb0E19rocblas_complex_numIfEPKS1_PKS3_PKPS1_EviT_T9_T10_S9_lSB_S9_lSA_T11_S9_li
; %bb.0:
	s_load_b256 s[24:31], s[0:1], 0x48
	s_wait_kmcnt 0x0
	s_load_b64 s[6:7], s[24:25], 0x0
	s_load_b512 s[8:23], s[0:1], 0x8
	s_wait_kmcnt 0x0
	s_cmp_neq_f32 s6, 1.0
	s_load_b64 s[24:25], s[10:11], 0x0
	s_cselect_b32 s3, -1, 0
	s_and_b32 s4, s7, 0x7fffffff
	s_delay_alu instid0(SALU_CYCLE_1) | instskip(SKIP_3) | instid1(SALU_CYCLE_1)
	s_cmp_eq_u32 s4, 0
	s_cselect_b32 s2, -1, 0
	s_cmp_lg_u32 s4, 0
	s_cselect_b32 s4, -1, 0
	s_or_b32 s3, s3, s4
	s_delay_alu instid0(SALU_CYCLE_1)
	s_and_b32 vcc_lo, exec_lo, s3
	s_cbranch_vccnz .LBB520_2
; %bb.1:
	s_cmp_lg_u64 s[8:9], 0
	s_cselect_b32 s3, -1, 0
	s_wait_kmcnt 0x0
	s_cmp_neq_f32 s24, 0
	s_cselect_b32 s4, -1, 0
	s_cmp_neq_f32 s25, 0
	s_cselect_b32 s5, -1, 0
	s_delay_alu instid0(SALU_CYCLE_1) | instskip(NEXT) | instid1(SALU_CYCLE_1)
	s_or_b32 s4, s4, s5
	s_and_b32 s3, s3, s4
.LBB520_2:
	s_delay_alu instid0(SALU_CYCLE_1)
	s_and_not1_b32 vcc_lo, exec_lo, s3
	s_cbranch_vccnz .LBB520_38
; %bb.3:
	s_load_b32 s33, s[0:1], 0x68
	s_bfe_u32 s3, ttmp6, 0x40014
	s_lshr_b32 s4, ttmp7, 16
	s_add_co_i32 s3, s3, 1
	s_wait_xcnt 0x0
	s_bfe_u32 s10, ttmp6, 0x40008
	s_mul_i32 s5, s4, s3
	s_getreg_b32 s3, hwreg(HW_REG_IB_STS2, 6, 4)
	s_add_co_i32 s10, s10, s5
	s_cmp_eq_u32 s3, 0
	s_mov_b32 s11, 0
	s_cselect_b32 s10, s4, s10
	s_wait_kmcnt 0x0
	s_cmp_ge_u32 s10, s33
	s_cbranch_scc1 .LBB520_38
; %bb.4:
	v_and_b32_e32 v9, 0x3ff, v0
	v_bfe_u32 v15, v0, 10, 10
	s_load_b32 s4, s[0:1], 0x0
	s_wait_xcnt 0x0
	s_bfe_u32 s0, ttmp6, 0x4000c
	s_bfe_u32 s5, ttmp6, 0x40010
	s_add_co_i32 s0, s0, 1
	s_and_b32 s34, ttmp7, 0xffff
	s_add_co_i32 s5, s5, 1
	v_lshl_add_u32 v1, v15, 4, v9
	s_and_b32 s1, ttmp6, 15
	s_mul_i32 s0, ttmp9, s0
	s_mul_i32 s5, s34, s5
	s_bfe_u32 s35, ttmp6, 0x40004
	s_add_co_i32 s1, s1, s0
	s_add_co_i32 s35, s35, s5
	s_cmp_eq_u32 s3, 0
	v_dual_lshrrev_b32 v3, 3, v1 :: v_dual_bitop2_b32 v5, 31, v1 bitop3:0x40
	s_cselect_b32 s0, ttmp9, s1
	s_cselect_b32 s1, s34, s35
	v_dual_lshrrev_b32 v2, 5, v1 :: v_dual_bitop2_b32 v0, 7, v0 bitop3:0x40
	s_lshl_b32 s1, s1, 5
	s_delay_alu instid0(SALU_CYCLE_1) | instskip(SKIP_3) | instid1(VALU_DEP_2)
	v_dual_lshlrev_b32 v1, 3, v5 :: v_dual_add_nc_u32 v16, s1, v15
	s_lshl_b32 s3, s0, 5
	s_cmp_neq_f32 s24, 0
	v_dual_add_nc_u32 v4, s1, v3 :: v_dual_bitop2_b32 v6, s3, v5 bitop3:0x54
	v_dual_add_nc_u32 v18, 16, v16 :: v_dual_ashrrev_i32 v17, 31, v16
	s_cselect_b32 s0, -1, 0
	s_cmp_neq_f32 s25, 0
	s_delay_alu instid0(VALU_DEP_2) | instskip(NEXT) | instid1(VALU_DEP_2)
	v_dual_lshlrev_b32 v5, 3, v0 :: v_dual_ashrrev_i32 v7, 31, v6
	v_dual_ashrrev_i32 v19, 31, v18 :: v_dual_add_nc_u32 v8, s3, v9
	s_cselect_b32 s5, -1, 0
	s_wait_kmcnt 0x0
	v_cmp_le_i32_e64 s34, s4, v6
	s_or_b32 s40, s0, s5
	v_cmp_gt_i32_e64 s0, s4, v6
	v_mul_u64_e32 v[6:7], s[14:15], v[6:7]
	v_mul_u64_e32 v[10:11], s[28:29], v[16:17]
	;; [unrolled: 1-line block ×3, first 2 shown]
	s_cmp_neq_f32 s6, 0
	v_add_nc_u32_e32 v14, 16, v8
	v_cmp_le_i32_e32 vcc_lo, v16, v8
	v_lshl_or_b32 v3, v3, 6, v5
	s_cselect_b32 s3, -1, 0
	s_xor_b32 s5, s2, -1
	v_cmp_gt_i32_e64 s2, s4, v8
	v_cmp_gt_i64_e64 s41, s[8:9], 0
	v_cmp_gt_i32_e64 s1, s4, v4
	v_dual_ashrrev_i32 v5, 31, v4 :: v_dual_lshlrev_b32 v27, 3, v9
	s_or_b32 s35, s3, s5
	s_and_b32 s36, vcc_lo, s2
	v_cmp_le_i32_e32 vcc_lo, v18, v8
	v_ashrrev_i32_e32 v9, 31, v8
	v_cmp_le_i32_e64 s3, v16, v14
	v_cmp_gt_i32_e64 s4, s4, v14
	v_cmp_le_i32_e64 s5, v18, v14
	v_lshl_or_b32 v1, v2, 8, v1
	v_add_nc_u32_e32 v3, 0x800, v3
	v_lshl_add_u32 v29, v15, 6, 0x800
	v_dual_ashrrev_i32 v15, 31, v14 :: v_dual_mov_b32 v17, 0
	s_and_b32 s37, s3, s4
	s_and_b32 s38, vcc_lo, s2
	s_and_b32 s39, s5, s4
	s_mov_b32 s2, s6
	s_mov_b32 s3, s6
	;; [unrolled: 1-line block ×5, first 2 shown]
	s_and_b32 s40, s40, s41
	s_lshl_b64 s[14:15], s[22:23], 3
	s_lshl_b64 s[16:17], s[16:17], 3
	;; [unrolled: 1-line block ×3, first 2 shown]
                                        ; implicit-def: $vgpr18_vgpr19
	s_branch .LBB520_6
.LBB520_5:                              ;   in Loop: Header=BB520_6 Depth=1
	s_wait_xcnt 0x0
	s_or_b32 exec_lo, exec_lo, s28
	s_add_co_i32 s10, s10, 0x10000
	s_delay_alu instid0(SALU_CYCLE_1)
	s_cmp_lt_u32 s10, s33
	s_cbranch_scc0 .LBB520_38
.LBB520_6:                              ; =>This Loop Header: Depth=1
                                        ;     Child Loop BB520_9 Depth 2
	v_mov_b32_e32 v16, s10
	s_and_not1_b32 vcc_lo, exec_lo, s40
	global_load_b64 v[20:21], v16, s[26:27] scale_offset
	s_cbranch_vccnz .LBB520_17
; %bb.7:                                ;   in Loop: Header=BB520_6 Depth=1
	s_lshl_b64 s[28:29], s[10:11], 3
	v_dual_mov_b32 v26, 0 :: v_dual_mov_b32 v28, 0
	s_add_nc_u64 s[30:31], s[12:13], s[28:29]
	s_add_nc_u64 s[28:29], s[18:19], s[28:29]
	s_clause 0x1
	global_load_b64 v[22:23], v17, s[30:31]
	global_load_b64 v[24:25], v17, s[28:29]
	v_dual_mov_b32 v32, 0 :: v_dual_mov_b32 v30, 0
	v_dual_mov_b32 v36, 0 :: v_dual_mov_b32 v34, 0
	;; [unrolled: 1-line block ×3, first 2 shown]
	s_wait_xcnt 0x0
	s_mov_b64 s[28:29], 0
	s_wait_loadcnt 0x1
	v_add_nc_u64_e32 v[22:23], s[16:17], v[22:23]
	s_wait_loadcnt 0x0
	v_add_nc_u64_e32 v[24:25], s[14:15], v[24:25]
	s_delay_alu instid0(VALU_DEP_2) | instskip(NEXT) | instid1(VALU_DEP_2)
	v_lshl_add_u64 v[22:23], v[6:7], 3, v[22:23]
	v_lshl_add_u64 v[24:25], v[4:5], 3, v[24:25]
	s_branch .LBB520_9
.LBB520_8:                              ;   in Loop: Header=BB520_9 Depth=2
	s_wait_xcnt 0x0
	s_or_b32 exec_lo, exec_lo, s30
	s_wait_loadcnt_dscnt 0x0
	ds_store_b64 v3, v[42:43]
	s_wait_dscnt 0x0
	s_barrier_signal -1
	s_barrier_wait -1
	ds_load_b128 v[42:45], v29
	ds_load_2addr_b64 v[46:49], v27 offset1:16
	ds_load_b128 v[50:53], v29 offset:1024
	ds_load_b128 v[54:57], v29 offset:16
	ds_load_b128 v[58:61], v29 offset:32
	ds_load_b128 v[62:65], v29 offset:48
	ds_load_2addr_b64 v[66:69], v27 offset0:32 offset1:48
	ds_load_b128 v[70:73], v29 offset:1040
	s_add_nc_u64 s[28:29], s[28:29], 8
	s_delay_alu instid0(SALU_CYCLE_1)
	v_cmp_gt_i64_e64 s30, s[8:9], s[28:29]
	s_and_b32 vcc_lo, exec_lo, s30
	s_wait_dscnt 0x6
	v_dual_mul_f32 v16, v43, v47 :: v_dual_mul_f32 v31, v42, v47
	v_dual_mul_f32 v33, v43, v49 :: v_dual_mul_f32 v35, v42, v49
	s_wait_dscnt 0x5
	v_dual_mul_f32 v37, v51, v47 :: v_dual_mul_f32 v39, v50, v47
	v_dual_mul_f32 v41, v51, v49 :: v_dual_mul_f32 v47, v50, v49
	v_dual_fma_f32 v16, v42, v46, -v16 :: v_dual_fmac_f32 v31, v43, v46
	v_dual_fma_f32 v33, v42, v48, -v33 :: v_dual_fmac_f32 v35, v43, v48
	s_delay_alu instid0(VALU_DEP_4) | instskip(NEXT) | instid1(VALU_DEP_3)
	v_dual_fma_f32 v37, v50, v46, -v37 :: v_dual_fmac_f32 v39, v51, v46
	v_dual_add_f32 v16, v38, v16 :: v_dual_add_f32 v38, v40, v31
	v_fma_f32 v31, v50, v48, -v41
	s_delay_alu instid0(VALU_DEP_4) | instskip(NEXT) | instid1(VALU_DEP_4)
	v_dual_add_f32 v34, v34, v33 :: v_dual_add_f32 v35, v36, v35
	v_dual_add_f32 v36, v30, v37 :: v_dual_add_f32 v37, v32, v39
	s_wait_dscnt 0x1
	v_dual_mul_f32 v39, v45, v67 :: v_dual_fmac_f32 v47, v51, v48
	v_add_f32_e32 v28, v28, v31
	ds_load_2addr_b64 v[30:33], v27 offset0:64 offset1:80
	v_dual_mul_f32 v40, v44, v67 :: v_dual_fma_f32 v39, v44, v66, -v39
	v_dual_mul_f32 v41, v45, v69 :: v_dual_add_f32 v26, v26, v47
	s_delay_alu instid0(VALU_DEP_2) | instskip(NEXT) | instid1(VALU_DEP_3)
	v_dual_mul_f32 v42, v44, v69 :: v_dual_fmac_f32 v40, v45, v66
	v_add_f32_e32 v16, v16, v39
	s_delay_alu instid0(VALU_DEP_3) | instskip(NEXT) | instid1(VALU_DEP_3)
	v_dual_fma_f32 v39, v44, v68, -v41 :: v_dual_mul_f32 v41, v53, v67
	v_fmac_f32_e32 v42, v45, v68
	s_delay_alu instid0(VALU_DEP_4) | instskip(NEXT) | instid1(VALU_DEP_3)
	v_dual_add_f32 v38, v38, v40 :: v_dual_mul_f32 v40, v52, v67
	v_dual_add_f32 v39, v34, v39 :: v_dual_fma_f32 v34, v52, v66, -v41
	s_delay_alu instid0(VALU_DEP_3) | instskip(NEXT) | instid1(VALU_DEP_3)
	v_dual_mul_f32 v41, v53, v69 :: v_dual_add_f32 v42, v35, v42
	v_dual_fmac_f32 v40, v53, v66 :: v_dual_mul_f32 v43, v52, v69
	s_wait_dscnt 0x0
	s_delay_alu instid0(VALU_DEP_3) | instskip(NEXT) | instid1(VALU_DEP_3)
	v_dual_add_f32 v44, v36, v34 :: v_dual_mul_f32 v35, v55, v31
	v_fma_f32 v34, v52, v68, -v41
	s_delay_alu instid0(VALU_DEP_3) | instskip(SKIP_1) | instid1(VALU_DEP_4)
	v_dual_add_f32 v40, v37, v40 :: v_dual_mul_f32 v41, v54, v31
	v_fmac_f32_e32 v43, v53, v68
	v_fma_f32 v45, v54, v30, -v35
	s_delay_alu instid0(VALU_DEP_4) | instskip(SKIP_4) | instid1(VALU_DEP_3)
	v_dual_add_f32 v28, v28, v34 :: v_dual_mul_f32 v46, v55, v33
	ds_load_2addr_b64 v[34:37], v27 offset0:96 offset1:112
	v_dual_fmac_f32 v41, v55, v30 :: v_dual_add_f32 v26, v26, v43
	v_add_f32_e32 v16, v16, v45
	v_dual_mul_f32 v43, v54, v33 :: v_dual_fma_f32 v45, v54, v32, -v46
	v_dual_add_f32 v38, v38, v41 :: v_dual_mul_f32 v41, v71, v31
	s_delay_alu instid0(VALU_DEP_2) | instskip(NEXT) | instid1(VALU_DEP_3)
	v_dual_mul_f32 v31, v70, v31 :: v_dual_fmac_f32 v43, v55, v32
	v_add_f32_e32 v39, v39, v45
	s_delay_alu instid0(VALU_DEP_3) | instskip(NEXT) | instid1(VALU_DEP_3)
	v_dual_mul_f32 v45, v71, v33 :: v_dual_fma_f32 v41, v70, v30, -v41
	v_dual_fmac_f32 v31, v71, v30 :: v_dual_mul_f32 v46, v70, v33
	s_delay_alu instid0(VALU_DEP_4) | instskip(NEXT) | instid1(VALU_DEP_3)
	v_add_f32_e32 v42, v42, v43
	v_dual_fma_f32 v30, v70, v32, -v45 :: v_dual_add_f32 v43, v44, v41
	s_delay_alu instid0(VALU_DEP_3) | instskip(SKIP_1) | instid1(VALU_DEP_2)
	v_dual_add_f32 v44, v40, v31 :: v_dual_fmac_f32 v46, v71, v32
	s_wait_dscnt 0x0
	v_dual_mul_f32 v40, v57, v35 :: v_dual_add_f32 v28, v28, v30
	ds_load_2addr_b64 v[30:33], v27 offset0:128 offset1:144
	v_dual_mul_f32 v41, v56, v35 :: v_dual_mul_f32 v45, v57, v37
	v_fma_f32 v40, v56, v34, -v40
	v_dual_add_f32 v26, v26, v46 :: v_dual_mul_f32 v46, v56, v37
	s_delay_alu instid0(VALU_DEP_3) | instskip(NEXT) | instid1(VALU_DEP_4)
	v_fmac_f32_e32 v41, v57, v34
	v_fma_f32 v45, v56, v36, -v45
	s_delay_alu instid0(VALU_DEP_4) | instskip(NEXT) | instid1(VALU_DEP_3)
	v_dual_add_f32 v16, v16, v40 :: v_dual_mul_f32 v40, v73, v35
	v_dual_fmac_f32 v46, v57, v36 :: v_dual_add_f32 v47, v38, v41
	s_delay_alu instid0(VALU_DEP_3) | instskip(NEXT) | instid1(VALU_DEP_3)
	v_dual_add_f32 v48, v39, v45 :: v_dual_mul_f32 v35, v72, v35
	v_dual_fma_f32 v45, v72, v34, -v40 :: v_dual_mul_f32 v49, v73, v37
	s_delay_alu instid0(VALU_DEP_3)
	v_add_f32_e32 v46, v42, v46
	ds_load_b128 v[38:41], v29 offset:1056
	v_dual_fmac_f32 v35, v73, v34 :: v_dual_mul_f32 v42, v72, v37
	v_dual_fma_f32 v34, v72, v36, -v49 :: v_dual_add_f32 v49, v43, v45
	s_wait_dscnt 0x1
	v_dual_mul_f32 v37, v59, v31 :: v_dual_mul_f32 v51, v58, v31
	s_delay_alu instid0(VALU_DEP_3) | instskip(NEXT) | instid1(VALU_DEP_3)
	v_dual_fmac_f32 v42, v73, v36 :: v_dual_add_f32 v50, v44, v35
	v_add_f32_e32 v28, v28, v34
	s_delay_alu instid0(VALU_DEP_3) | instskip(NEXT) | instid1(VALU_DEP_3)
	v_dual_fma_f32 v43, v58, v30, -v37 :: v_dual_mul_f32 v44, v59, v33
	v_add_f32_e32 v26, v26, v42
	ds_load_2addr_b64 v[34:37], v27 offset0:160 offset1:176
	v_dual_fmac_f32 v51, v59, v30 :: v_dual_add_f32 v16, v16, v43
	v_dual_fma_f32 v52, v58, v32, -v44 :: v_dual_mul_f32 v53, v58, v33
	ds_load_b128 v[42:45], v29 offset:1072
	v_add_f32_e32 v47, v47, v51
	s_wait_dscnt 0x2
	v_dual_mul_f32 v54, v39, v31 :: v_dual_mul_f32 v31, v38, v31
	v_fmac_f32_e32 v53, v59, v32
	v_dual_add_f32 v48, v48, v52 :: v_dual_mul_f32 v52, v39, v33
	s_delay_alu instid0(VALU_DEP_3) | instskip(NEXT) | instid1(VALU_DEP_3)
	v_dual_fma_f32 v51, v38, v30, -v54 :: v_dual_fmac_f32 v31, v39, v30
	v_add_f32_e32 v46, v46, v53
	s_delay_alu instid0(VALU_DEP_3) | instskip(NEXT) | instid1(VALU_DEP_3)
	v_dual_mul_f32 v53, v38, v33 :: v_dual_fma_f32 v30, v38, v32, -v52
	v_add_f32_e32 v49, v49, v51
	s_delay_alu instid0(VALU_DEP_2)
	v_dual_add_f32 v38, v50, v31 :: v_dual_fmac_f32 v53, v39, v32
	s_wait_dscnt 0x1
	v_dual_mul_f32 v50, v61, v35 :: v_dual_mul_f32 v39, v60, v35
	v_dual_add_f32 v28, v28, v30 :: v_dual_mul_f32 v51, v61, v37
	ds_load_2addr_b64 v[30:33], v27 offset0:192 offset1:208
	v_dual_fma_f32 v50, v60, v34, -v50 :: v_dual_fmac_f32 v39, v61, v34
	v_add_f32_e32 v26, v26, v53
	v_mul_f32_e32 v52, v60, v37
	s_delay_alu instid0(VALU_DEP_3) | instskip(NEXT) | instid1(VALU_DEP_4)
	v_add_f32_e32 v16, v16, v50
	v_dual_fma_f32 v50, v60, v36, -v51 :: v_dual_add_f32 v39, v47, v39
	s_delay_alu instid0(VALU_DEP_3) | instskip(SKIP_1) | instid1(VALU_DEP_3)
	v_fmac_f32_e32 v52, v61, v36
	v_dual_mul_f32 v47, v41, v35 :: v_dual_mul_f32 v35, v40, v35
	v_dual_add_f32 v50, v48, v50 :: v_dual_mul_f32 v48, v41, v37
	s_delay_alu instid0(VALU_DEP_2) | instskip(NEXT) | instid1(VALU_DEP_3)
	v_dual_add_f32 v51, v46, v52 :: v_dual_fma_f32 v47, v40, v34, -v47
	v_dual_fmac_f32 v35, v41, v34 :: v_dual_mul_f32 v34, v40, v37
	s_delay_alu instid0(VALU_DEP_2) | instskip(SKIP_1) | instid1(VALU_DEP_2)
	v_dual_fma_f32 v37, v40, v36, -v48 :: v_dual_add_f32 v40, v49, v47
	s_wait_dscnt 0x0
	v_dual_mul_f32 v46, v63, v31 :: v_dual_fmac_f32 v34, v41, v36
	s_delay_alu instid0(VALU_DEP_2) | instskip(NEXT) | instid1(VALU_DEP_2)
	v_dual_add_f32 v35, v38, v35 :: v_dual_add_f32 v28, v28, v37
	v_dual_mul_f32 v36, v62, v31 :: v_dual_fma_f32 v37, v62, v30, -v46
	ds_load_2addr_b64 v[46:49], v27 offset0:224 offset1:240
	v_dual_add_f32 v26, v26, v34 :: v_dual_mul_f32 v34, v63, v33
	v_dual_fmac_f32 v36, v63, v30 :: v_dual_add_f32 v16, v16, v37
	v_dual_mul_f32 v37, v62, v33 :: v_dual_mul_f32 v38, v43, v31
	s_delay_alu instid0(VALU_DEP_3) | instskip(NEXT) | instid1(VALU_DEP_3)
	v_fma_f32 v34, v62, v32, -v34
	v_dual_mul_f32 v31, v42, v31 :: v_dual_add_f32 v36, v39, v36
	s_delay_alu instid0(VALU_DEP_3) | instskip(NEXT) | instid1(VALU_DEP_3)
	v_dual_fmac_f32 v37, v63, v32 :: v_dual_fma_f32 v38, v42, v30, -v38
	v_add_f32_e32 v34, v50, v34
	s_delay_alu instid0(VALU_DEP_3) | instskip(SKIP_1) | instid1(VALU_DEP_4)
	v_dual_fmac_f32 v31, v43, v30 :: v_dual_mul_f32 v30, v43, v33
	v_mul_f32_e32 v33, v42, v33
	v_dual_add_f32 v37, v51, v37 :: v_dual_add_f32 v39, v40, v38
	s_delay_alu instid0(VALU_DEP_3) | instskip(SKIP_3) | instid1(VALU_DEP_3)
	v_dual_add_f32 v31, v35, v31 :: v_dual_fma_f32 v30, v42, v32, -v30
	s_wait_dscnt 0x0
	v_dual_mul_f32 v35, v65, v47 :: v_dual_mul_f32 v40, v64, v47
	v_dual_fmac_f32 v33, v43, v32 :: v_dual_mul_f32 v32, v65, v49
	v_add_f32_e32 v28, v28, v30
	s_delay_alu instid0(VALU_DEP_3) | instskip(NEXT) | instid1(VALU_DEP_3)
	v_dual_fma_f32 v30, v64, v46, -v35 :: v_dual_fmac_f32 v40, v65, v46
	v_dual_mul_f32 v35, v64, v49 :: v_dual_fma_f32 v32, v64, v48, -v32
	s_delay_alu instid0(VALU_DEP_2) | instskip(NEXT) | instid1(VALU_DEP_3)
	v_dual_add_f32 v26, v26, v33 :: v_dual_add_f32 v38, v16, v30
	v_dual_add_f32 v40, v36, v40 :: v_dual_mul_f32 v16, v45, v47
	s_delay_alu instid0(VALU_DEP_3) | instskip(NEXT) | instid1(VALU_DEP_4)
	v_fmac_f32_e32 v35, v65, v48
	v_dual_add_f32 v34, v34, v32 :: v_dual_mul_f32 v30, v45, v49
	v_dual_mul_f32 v32, v44, v47 :: v_dual_mul_f32 v33, v44, v49
	s_delay_alu instid0(VALU_DEP_3) | instskip(NEXT) | instid1(VALU_DEP_2)
	v_dual_add_f32 v36, v37, v35 :: v_dual_fma_f32 v16, v44, v46, -v16
	v_dual_fma_f32 v35, v44, v48, -v30 :: v_dual_fmac_f32 v32, v45, v46
	s_delay_alu instid0(VALU_DEP_3) | instskip(NEXT) | instid1(VALU_DEP_2)
	v_fmac_f32_e32 v33, v45, v48
	v_dual_add_f32 v30, v39, v16 :: v_dual_add_f32 v28, v28, v35
	s_delay_alu instid0(VALU_DEP_2)
	v_dual_add_f32 v32, v31, v32 :: v_dual_add_f32 v26, v26, v33
	s_barrier_signal -1
	s_barrier_wait -1
	s_cbranch_vccz .LBB520_18
.LBB520_9:                              ;   Parent Loop BB520_6 Depth=1
                                        ; =>  This Inner Loop Header: Depth=2
	s_mov_b32 s30, 0
	s_mov_b32 s41, s34
	s_and_saveexec_b32 s31, s0
; %bb.10:                               ;   in Loop: Header=BB520_9 Depth=2
	v_add_nc_u32_e32 v16, s28, v2
	s_and_not1_b32 s41, s34, exec_lo
	s_mov_b32 s30, exec_lo
	s_delay_alu instid0(VALU_DEP_1) | instskip(SKIP_2) | instid1(SALU_CYCLE_1)
	v_cmp_le_u64_e32 vcc_lo, s[8:9], v[16:17]
	v_mov_b64_e32 v[18:19], v[16:17]
	s_and_b32 s42, vcc_lo, exec_lo
	s_or_b32 s41, s41, s42
; %bb.11:                               ;   in Loop: Header=BB520_9 Depth=2
	s_or_b32 exec_lo, exec_lo, s31
	s_and_saveexec_b32 s31, s41
	s_delay_alu instid0(SALU_CYCLE_1)
	s_xor_b32 s31, exec_lo, s31
; %bb.12:                               ;   in Loop: Header=BB520_9 Depth=2
	s_and_not1_b32 s30, s30, exec_lo
	ds_store_b32 v1, v17
; %bb.13:                               ;   in Loop: Header=BB520_9 Depth=2
	s_or_b32 exec_lo, exec_lo, s31
	v_dual_mov_b32 v42, 0 :: v_dual_mov_b32 v31, 0
	s_and_saveexec_b32 s31, s30
	s_cbranch_execz .LBB520_15
; %bb.14:                               ;   in Loop: Header=BB520_9 Depth=2
	v_lshl_add_u64 v[44:45], v[18:19], 3, v[22:23]
	flat_load_b64 v[44:45], v[44:45]
	s_wait_loadcnt_dscnt 0x0
	v_xor_b32_e32 v31, 0x80000000, v45
	ds_store_b32 v1, v44
.LBB520_15:                             ;   in Loop: Header=BB520_9 Depth=2
	s_wait_xcnt 0x0
	s_or_b32 exec_lo, exec_lo, s31
	v_dual_mov_b32 v43, 0 :: v_dual_add_nc_u32 v16, s28, v0
	ds_store_b32 v1, v31 offset:4
	v_cmp_gt_u64_e32 vcc_lo, s[8:9], v[16:17]
	s_and_b32 s31, vcc_lo, s1
	s_delay_alu instid0(SALU_CYCLE_1)
	s_and_saveexec_b32 s30, s31
	s_cbranch_execz .LBB520_8
; %bb.16:                               ;   in Loop: Header=BB520_9 Depth=2
	v_mul_u64_e32 v[42:43], s[20:21], v[16:17]
	s_delay_alu instid0(VALU_DEP_1)
	v_lshl_add_u64 v[42:43], v[42:43], 3, v[24:25]
	flat_load_b64 v[42:43], v[42:43]
	s_branch .LBB520_8
.LBB520_17:                             ;   in Loop: Header=BB520_6 Depth=1
	v_dual_mov_b32 v38, v17 :: v_dual_mov_b32 v40, v17
	v_dual_mov_b32 v34, v17 :: v_dual_mov_b32 v36, v17
	;; [unrolled: 1-line block ×4, first 2 shown]
.LBB520_18:                             ;   in Loop: Header=BB520_6 Depth=1
	s_wait_loadcnt 0x0
	v_add_nc_u64_e32 v[20:21], s[22:23], v[20:21]
	s_delay_alu instid0(VALU_DEP_1)
	v_lshl_add_u64 v[22:23], v[10:11], 3, v[20:21]
	s_wait_xcnt 0x0
	s_and_saveexec_b32 s28, s36
	s_cbranch_execz .LBB520_23
; %bb.19:                               ;   in Loop: Header=BB520_6 Depth=1
	v_mov_b64_e32 v[24:25], s[4:5]
	v_mov_b64_e32 v[42:43], s[24:25]
	s_and_b32 vcc_lo, exec_lo, s35
	s_mov_b32 s29, -1
	s_delay_alu instid0(VALU_DEP_2) | instskip(NEXT) | instid1(VALU_DEP_1)
	v_pk_mul_f32 v[24:25], v[40:41], v[24:25] op_sel_hi:[0,1]
	v_pk_fma_f32 v[40:41], v[38:39], v[42:43], v[24:25] op_sel_hi:[0,1,1]
	v_pk_fma_f32 v[24:25], v[38:39], v[42:43], v[24:25] neg_lo:[0,0,1] neg_hi:[0,0,1]
	v_lshl_add_u64 v[38:39], v[8:9], 3, v[22:23]
	s_delay_alu instid0(VALU_DEP_3)
	v_mov_b32_e32 v25, v41
	s_cbranch_vccz .LBB520_21
; %bb.20:                               ;   in Loop: Header=BB520_6 Depth=1
	flat_load_b64 v[40:41], v[38:39]
	v_mov_b64_e32 v[42:43], s[6:7]
	v_mov_b64_e32 v[44:45], s[2:3]
	s_mov_b32 s29, 0
	s_wait_loadcnt_dscnt 0x0
	s_delay_alu instid0(VALU_DEP_2) | instskip(NEXT) | instid1(VALU_DEP_1)
	v_pk_mul_f32 v[42:43], v[40:41], v[42:43]
	v_pk_fma_f32 v[46:47], v[40:41], v[44:45], v[42:43] op_sel:[0,0,1] op_sel_hi:[1,1,0]
	v_pk_fma_f32 v[40:41], v[40:41], v[44:45], v[42:43] op_sel:[0,0,1] op_sel_hi:[1,1,0] neg_lo:[0,0,1] neg_hi:[0,0,1]
	s_delay_alu instid0(VALU_DEP_2) | instskip(NEXT) | instid1(VALU_DEP_1)
	v_mov_b32_e32 v41, v47
	v_pk_add_f32 v[40:41], v[24:25], v[40:41]
	flat_store_b64 v[38:39], v[40:41]
.LBB520_21:                             ;   in Loop: Header=BB520_6 Depth=1
	s_and_not1_b32 vcc_lo, exec_lo, s29
	s_cbranch_vccnz .LBB520_23
; %bb.22:                               ;   in Loop: Header=BB520_6 Depth=1
	flat_store_b64 v[38:39], v[24:25]
.LBB520_23:                             ;   in Loop: Header=BB520_6 Depth=1
	s_wait_xcnt 0x0
	s_or_b32 exec_lo, exec_lo, s28
	s_and_saveexec_b32 s28, s37
	s_cbranch_execz .LBB520_28
; %bb.24:                               ;   in Loop: Header=BB520_6 Depth=1
	v_mov_b64_e32 v[24:25], s[4:5]
	v_mov_b64_e32 v[38:39], s[24:25]
	v_lshl_add_u64 v[22:23], v[14:15], 3, v[22:23]
	s_and_not1_b32 vcc_lo, exec_lo, s35
	s_mov_b32 s29, -1
	s_delay_alu instid0(VALU_DEP_3) | instskip(NEXT) | instid1(VALU_DEP_1)
	v_pk_mul_f32 v[24:25], v[36:37], v[24:25] op_sel_hi:[0,1]
	v_pk_fma_f32 v[36:37], v[34:35], v[38:39], v[24:25] op_sel_hi:[0,1,1]
	v_pk_fma_f32 v[24:25], v[34:35], v[38:39], v[24:25] neg_lo:[0,0,1] neg_hi:[0,0,1]
	s_delay_alu instid0(VALU_DEP_2)
	v_mov_b32_e32 v25, v37
	s_cbranch_vccnz .LBB520_26
; %bb.25:                               ;   in Loop: Header=BB520_6 Depth=1
	flat_load_b64 v[34:35], v[22:23]
	v_mov_b64_e32 v[36:37], s[6:7]
	v_mov_b64_e32 v[38:39], s[2:3]
	s_mov_b32 s29, 0
	s_wait_loadcnt_dscnt 0x0
	s_delay_alu instid0(VALU_DEP_2) | instskip(NEXT) | instid1(VALU_DEP_1)
	v_pk_mul_f32 v[36:37], v[34:35], v[36:37]
	v_pk_fma_f32 v[40:41], v[34:35], v[38:39], v[36:37] op_sel:[0,0,1] op_sel_hi:[1,1,0]
	v_pk_fma_f32 v[34:35], v[34:35], v[38:39], v[36:37] op_sel:[0,0,1] op_sel_hi:[1,1,0] neg_lo:[0,0,1] neg_hi:[0,0,1]
	s_delay_alu instid0(VALU_DEP_2) | instskip(NEXT) | instid1(VALU_DEP_1)
	v_mov_b32_e32 v35, v41
	v_pk_add_f32 v[34:35], v[24:25], v[34:35]
	flat_store_b64 v[22:23], v[34:35]
.LBB520_26:                             ;   in Loop: Header=BB520_6 Depth=1
	s_and_not1_b32 vcc_lo, exec_lo, s29
	s_cbranch_vccnz .LBB520_28
; %bb.27:                               ;   in Loop: Header=BB520_6 Depth=1
	flat_store_b64 v[22:23], v[24:25]
.LBB520_28:                             ;   in Loop: Header=BB520_6 Depth=1
	s_wait_xcnt 0x0
	s_or_b32 exec_lo, exec_lo, s28
	v_lshl_add_u64 v[20:21], v[12:13], 3, v[20:21]
	s_and_saveexec_b32 s28, s38
	s_cbranch_execz .LBB520_33
; %bb.29:                               ;   in Loop: Header=BB520_6 Depth=1
	v_mov_b64_e32 v[22:23], s[4:5]
	v_mov_b64_e32 v[24:25], s[24:25]
	s_and_not1_b32 vcc_lo, exec_lo, s35
	s_mov_b32 s29, -1
	s_delay_alu instid0(VALU_DEP_2) | instskip(NEXT) | instid1(VALU_DEP_1)
	v_pk_mul_f32 v[22:23], v[32:33], v[22:23] op_sel_hi:[0,1]
	v_pk_fma_f32 v[32:33], v[30:31], v[24:25], v[22:23] op_sel_hi:[0,1,1]
	v_pk_fma_f32 v[22:23], v[30:31], v[24:25], v[22:23] neg_lo:[0,0,1] neg_hi:[0,0,1]
	v_lshl_add_u64 v[24:25], v[8:9], 3, v[20:21]
	s_delay_alu instid0(VALU_DEP_3)
	v_mov_b32_e32 v23, v33
	s_cbranch_vccnz .LBB520_31
; %bb.30:                               ;   in Loop: Header=BB520_6 Depth=1
	flat_load_b64 v[30:31], v[24:25]
	v_mov_b64_e32 v[32:33], s[6:7]
	v_mov_b64_e32 v[34:35], s[2:3]
	s_mov_b32 s29, 0
	s_wait_loadcnt_dscnt 0x0
	s_delay_alu instid0(VALU_DEP_2) | instskip(NEXT) | instid1(VALU_DEP_1)
	v_pk_mul_f32 v[32:33], v[30:31], v[32:33]
	v_pk_fma_f32 v[36:37], v[30:31], v[34:35], v[32:33] op_sel:[0,0,1] op_sel_hi:[1,1,0]
	v_pk_fma_f32 v[30:31], v[30:31], v[34:35], v[32:33] op_sel:[0,0,1] op_sel_hi:[1,1,0] neg_lo:[0,0,1] neg_hi:[0,0,1]
	s_delay_alu instid0(VALU_DEP_2) | instskip(NEXT) | instid1(VALU_DEP_1)
	v_mov_b32_e32 v31, v37
	v_pk_add_f32 v[30:31], v[22:23], v[30:31]
	flat_store_b64 v[24:25], v[30:31]
.LBB520_31:                             ;   in Loop: Header=BB520_6 Depth=1
	s_and_not1_b32 vcc_lo, exec_lo, s29
	s_cbranch_vccnz .LBB520_33
; %bb.32:                               ;   in Loop: Header=BB520_6 Depth=1
	flat_store_b64 v[24:25], v[22:23]
.LBB520_33:                             ;   in Loop: Header=BB520_6 Depth=1
	s_wait_xcnt 0x0
	s_or_b32 exec_lo, exec_lo, s28
	s_and_saveexec_b32 s28, s39
	s_cbranch_execz .LBB520_5
; %bb.34:                               ;   in Loop: Header=BB520_6 Depth=1
	v_mov_b64_e32 v[22:23], s[4:5]
	v_mov_b64_e32 v[24:25], s[24:25]
	v_lshl_add_u64 v[20:21], v[14:15], 3, v[20:21]
	s_and_not1_b32 vcc_lo, exec_lo, s35
	s_mov_b32 s29, -1
	s_delay_alu instid0(VALU_DEP_3) | instskip(NEXT) | instid1(VALU_DEP_1)
	v_pk_mul_f32 v[22:23], v[26:27], v[22:23] op_sel_hi:[0,1]
	v_pk_fma_f32 v[30:31], v[28:29], v[24:25], v[22:23] op_sel_hi:[0,1,1]
	v_pk_fma_f32 v[22:23], v[28:29], v[24:25], v[22:23] neg_lo:[0,0,1] neg_hi:[0,0,1]
	s_delay_alu instid0(VALU_DEP_2)
	v_mov_b32_e32 v23, v31
	s_cbranch_vccnz .LBB520_36
; %bb.35:                               ;   in Loop: Header=BB520_6 Depth=1
	flat_load_b64 v[24:25], v[20:21]
	v_mov_b64_e32 v[30:31], s[6:7]
	v_mov_b64_e32 v[32:33], s[2:3]
	s_mov_b32 s29, 0
	s_wait_loadcnt_dscnt 0x0
	s_delay_alu instid0(VALU_DEP_2) | instskip(NEXT) | instid1(VALU_DEP_1)
	v_pk_mul_f32 v[30:31], v[24:25], v[30:31]
	v_pk_fma_f32 v[34:35], v[24:25], v[32:33], v[30:31] op_sel:[0,0,1] op_sel_hi:[1,1,0]
	v_pk_fma_f32 v[24:25], v[24:25], v[32:33], v[30:31] op_sel:[0,0,1] op_sel_hi:[1,1,0] neg_lo:[0,0,1] neg_hi:[0,0,1]
	s_delay_alu instid0(VALU_DEP_2) | instskip(NEXT) | instid1(VALU_DEP_1)
	v_mov_b32_e32 v25, v35
	v_pk_add_f32 v[24:25], v[22:23], v[24:25]
	flat_store_b64 v[20:21], v[24:25]
.LBB520_36:                             ;   in Loop: Header=BB520_6 Depth=1
	s_and_not1_b32 vcc_lo, exec_lo, s29
	s_cbranch_vccnz .LBB520_5
; %bb.37:                               ;   in Loop: Header=BB520_6 Depth=1
	flat_store_b64 v[20:21], v[22:23]
	s_branch .LBB520_5
.LBB520_38:
	s_sendmsg sendmsg(MSG_DEALLOC_VGPRS)
	s_endpgm
	.section	.rodata,"a",@progbits
	.p2align	6, 0x0
	.amdhsa_kernel _ZL29rocblas_internal_gemmt_kernelIlLi16ELi32ELi8ELc67ELc84ELc76ELb1ELb0E19rocblas_complex_numIfEPKS1_PKS3_PKPS1_EviT_T9_T10_S9_lSB_S9_lSA_T11_S9_li
		.amdhsa_group_segment_fixed_size 4096
		.amdhsa_private_segment_fixed_size 0
		.amdhsa_kernarg_size 108
		.amdhsa_user_sgpr_count 2
		.amdhsa_user_sgpr_dispatch_ptr 0
		.amdhsa_user_sgpr_queue_ptr 0
		.amdhsa_user_sgpr_kernarg_segment_ptr 1
		.amdhsa_user_sgpr_dispatch_id 0
		.amdhsa_user_sgpr_kernarg_preload_length 0
		.amdhsa_user_sgpr_kernarg_preload_offset 0
		.amdhsa_user_sgpr_private_segment_size 0
		.amdhsa_wavefront_size32 1
		.amdhsa_uses_dynamic_stack 0
		.amdhsa_enable_private_segment 0
		.amdhsa_system_sgpr_workgroup_id_x 1
		.amdhsa_system_sgpr_workgroup_id_y 1
		.amdhsa_system_sgpr_workgroup_id_z 1
		.amdhsa_system_sgpr_workgroup_info 0
		.amdhsa_system_vgpr_workitem_id 1
		.amdhsa_next_free_vgpr 74
		.amdhsa_next_free_sgpr 43
		.amdhsa_named_barrier_count 0
		.amdhsa_reserve_vcc 1
		.amdhsa_float_round_mode_32 0
		.amdhsa_float_round_mode_16_64 0
		.amdhsa_float_denorm_mode_32 3
		.amdhsa_float_denorm_mode_16_64 3
		.amdhsa_fp16_overflow 0
		.amdhsa_memory_ordered 1
		.amdhsa_forward_progress 1
		.amdhsa_inst_pref_size 26
		.amdhsa_round_robin_scheduling 0
		.amdhsa_exception_fp_ieee_invalid_op 0
		.amdhsa_exception_fp_denorm_src 0
		.amdhsa_exception_fp_ieee_div_zero 0
		.amdhsa_exception_fp_ieee_overflow 0
		.amdhsa_exception_fp_ieee_underflow 0
		.amdhsa_exception_fp_ieee_inexact 0
		.amdhsa_exception_int_div_zero 0
	.end_amdhsa_kernel
	.section	.text._ZL29rocblas_internal_gemmt_kernelIlLi16ELi32ELi8ELc67ELc84ELc76ELb1ELb0E19rocblas_complex_numIfEPKS1_PKS3_PKPS1_EviT_T9_T10_S9_lSB_S9_lSA_T11_S9_li,"axG",@progbits,_ZL29rocblas_internal_gemmt_kernelIlLi16ELi32ELi8ELc67ELc84ELc76ELb1ELb0E19rocblas_complex_numIfEPKS1_PKS3_PKPS1_EviT_T9_T10_S9_lSB_S9_lSA_T11_S9_li,comdat
.Lfunc_end520:
	.size	_ZL29rocblas_internal_gemmt_kernelIlLi16ELi32ELi8ELc67ELc84ELc76ELb1ELb0E19rocblas_complex_numIfEPKS1_PKS3_PKPS1_EviT_T9_T10_S9_lSB_S9_lSA_T11_S9_li, .Lfunc_end520-_ZL29rocblas_internal_gemmt_kernelIlLi16ELi32ELi8ELc67ELc84ELc76ELb1ELb0E19rocblas_complex_numIfEPKS1_PKS3_PKPS1_EviT_T9_T10_S9_lSB_S9_lSA_T11_S9_li
                                        ; -- End function
	.set _ZL29rocblas_internal_gemmt_kernelIlLi16ELi32ELi8ELc67ELc84ELc76ELb1ELb0E19rocblas_complex_numIfEPKS1_PKS3_PKPS1_EviT_T9_T10_S9_lSB_S9_lSA_T11_S9_li.num_vgpr, 74
	.set _ZL29rocblas_internal_gemmt_kernelIlLi16ELi32ELi8ELc67ELc84ELc76ELb1ELb0E19rocblas_complex_numIfEPKS1_PKS3_PKPS1_EviT_T9_T10_S9_lSB_S9_lSA_T11_S9_li.num_agpr, 0
	.set _ZL29rocblas_internal_gemmt_kernelIlLi16ELi32ELi8ELc67ELc84ELc76ELb1ELb0E19rocblas_complex_numIfEPKS1_PKS3_PKPS1_EviT_T9_T10_S9_lSB_S9_lSA_T11_S9_li.numbered_sgpr, 43
	.set _ZL29rocblas_internal_gemmt_kernelIlLi16ELi32ELi8ELc67ELc84ELc76ELb1ELb0E19rocblas_complex_numIfEPKS1_PKS3_PKPS1_EviT_T9_T10_S9_lSB_S9_lSA_T11_S9_li.num_named_barrier, 0
	.set _ZL29rocblas_internal_gemmt_kernelIlLi16ELi32ELi8ELc67ELc84ELc76ELb1ELb0E19rocblas_complex_numIfEPKS1_PKS3_PKPS1_EviT_T9_T10_S9_lSB_S9_lSA_T11_S9_li.private_seg_size, 0
	.set _ZL29rocblas_internal_gemmt_kernelIlLi16ELi32ELi8ELc67ELc84ELc76ELb1ELb0E19rocblas_complex_numIfEPKS1_PKS3_PKPS1_EviT_T9_T10_S9_lSB_S9_lSA_T11_S9_li.uses_vcc, 1
	.set _ZL29rocblas_internal_gemmt_kernelIlLi16ELi32ELi8ELc67ELc84ELc76ELb1ELb0E19rocblas_complex_numIfEPKS1_PKS3_PKPS1_EviT_T9_T10_S9_lSB_S9_lSA_T11_S9_li.uses_flat_scratch, 0
	.set _ZL29rocblas_internal_gemmt_kernelIlLi16ELi32ELi8ELc67ELc84ELc76ELb1ELb0E19rocblas_complex_numIfEPKS1_PKS3_PKPS1_EviT_T9_T10_S9_lSB_S9_lSA_T11_S9_li.has_dyn_sized_stack, 0
	.set _ZL29rocblas_internal_gemmt_kernelIlLi16ELi32ELi8ELc67ELc84ELc76ELb1ELb0E19rocblas_complex_numIfEPKS1_PKS3_PKPS1_EviT_T9_T10_S9_lSB_S9_lSA_T11_S9_li.has_recursion, 0
	.set _ZL29rocblas_internal_gemmt_kernelIlLi16ELi32ELi8ELc67ELc84ELc76ELb1ELb0E19rocblas_complex_numIfEPKS1_PKS3_PKPS1_EviT_T9_T10_S9_lSB_S9_lSA_T11_S9_li.has_indirect_call, 0
	.section	.AMDGPU.csdata,"",@progbits
; Kernel info:
; codeLenInByte = 3276
; TotalNumSgprs: 45
; NumVgprs: 74
; ScratchSize: 0
; MemoryBound: 0
; FloatMode: 240
; IeeeMode: 1
; LDSByteSize: 4096 bytes/workgroup (compile time only)
; SGPRBlocks: 0
; VGPRBlocks: 4
; NumSGPRsForWavesPerEU: 45
; NumVGPRsForWavesPerEU: 74
; NamedBarCnt: 0
; Occupancy: 12
; WaveLimiterHint : 1
; COMPUTE_PGM_RSRC2:SCRATCH_EN: 0
; COMPUTE_PGM_RSRC2:USER_SGPR: 2
; COMPUTE_PGM_RSRC2:TRAP_HANDLER: 0
; COMPUTE_PGM_RSRC2:TGID_X_EN: 1
; COMPUTE_PGM_RSRC2:TGID_Y_EN: 1
; COMPUTE_PGM_RSRC2:TGID_Z_EN: 1
; COMPUTE_PGM_RSRC2:TIDIG_COMP_CNT: 1
	.section	.text._ZL29rocblas_internal_gemmt_kernelIlLi16ELi32ELi8ELc67ELc67ELc76ELb1ELb1E19rocblas_complex_numIfEPKS1_PKS3_PKPS1_EviT_T9_T10_S9_lSB_S9_lSA_T11_S9_li,"axG",@progbits,_ZL29rocblas_internal_gemmt_kernelIlLi16ELi32ELi8ELc67ELc67ELc76ELb1ELb1E19rocblas_complex_numIfEPKS1_PKS3_PKPS1_EviT_T9_T10_S9_lSB_S9_lSA_T11_S9_li,comdat
	.globl	_ZL29rocblas_internal_gemmt_kernelIlLi16ELi32ELi8ELc67ELc67ELc76ELb1ELb1E19rocblas_complex_numIfEPKS1_PKS3_PKPS1_EviT_T9_T10_S9_lSB_S9_lSA_T11_S9_li ; -- Begin function _ZL29rocblas_internal_gemmt_kernelIlLi16ELi32ELi8ELc67ELc67ELc76ELb1ELb1E19rocblas_complex_numIfEPKS1_PKS3_PKPS1_EviT_T9_T10_S9_lSB_S9_lSA_T11_S9_li
	.p2align	8
	.type	_ZL29rocblas_internal_gemmt_kernelIlLi16ELi32ELi8ELc67ELc67ELc76ELb1ELb1E19rocblas_complex_numIfEPKS1_PKS3_PKPS1_EviT_T9_T10_S9_lSB_S9_lSA_T11_S9_li,@function
_ZL29rocblas_internal_gemmt_kernelIlLi16ELi32ELi8ELc67ELc67ELc76ELb1ELb1E19rocblas_complex_numIfEPKS1_PKS3_PKPS1_EviT_T9_T10_S9_lSB_S9_lSA_T11_S9_li: ; @_ZL29rocblas_internal_gemmt_kernelIlLi16ELi32ELi8ELc67ELc67ELc76ELb1ELb1E19rocblas_complex_numIfEPKS1_PKS3_PKPS1_EviT_T9_T10_S9_lSB_S9_lSA_T11_S9_li
; %bb.0:
	s_load_b256 s[24:31], s[0:1], 0x48
	s_wait_kmcnt 0x0
	s_load_b64 s[6:7], s[24:25], 0x0
	s_load_b512 s[8:23], s[0:1], 0x8
	s_wait_kmcnt 0x0
	s_cmp_neq_f32 s6, 1.0
	s_load_b64 s[24:25], s[10:11], 0x0
	s_cselect_b32 s3, -1, 0
	s_and_b32 s4, s7, 0x7fffffff
	s_delay_alu instid0(SALU_CYCLE_1) | instskip(SKIP_3) | instid1(SALU_CYCLE_1)
	s_cmp_eq_u32 s4, 0
	s_cselect_b32 s2, -1, 0
	s_cmp_lg_u32 s4, 0
	s_cselect_b32 s4, -1, 0
	s_or_b32 s3, s3, s4
	s_delay_alu instid0(SALU_CYCLE_1)
	s_and_b32 vcc_lo, exec_lo, s3
	s_cbranch_vccnz .LBB521_2
; %bb.1:
	s_cmp_lg_u64 s[8:9], 0
	s_cselect_b32 s3, -1, 0
	s_wait_kmcnt 0x0
	s_cmp_neq_f32 s24, 0
	s_cselect_b32 s4, -1, 0
	s_cmp_neq_f32 s25, 0
	s_cselect_b32 s5, -1, 0
	s_delay_alu instid0(SALU_CYCLE_1) | instskip(NEXT) | instid1(SALU_CYCLE_1)
	s_or_b32 s4, s4, s5
	s_and_b32 s3, s3, s4
.LBB521_2:
	s_delay_alu instid0(SALU_CYCLE_1)
	s_and_not1_b32 vcc_lo, exec_lo, s3
	s_cbranch_vccnz .LBB521_40
; %bb.3:
	s_load_b32 s33, s[0:1], 0x68
	s_bfe_u32 s3, ttmp6, 0x40014
	s_lshr_b32 s4, ttmp7, 16
	s_add_co_i32 s3, s3, 1
	s_wait_xcnt 0x0
	s_bfe_u32 s10, ttmp6, 0x40008
	s_mul_i32 s5, s4, s3
	s_getreg_b32 s3, hwreg(HW_REG_IB_STS2, 6, 4)
	s_add_co_i32 s10, s10, s5
	s_cmp_eq_u32 s3, 0
	s_mov_b32 s11, 0
	s_cselect_b32 s10, s4, s10
	s_wait_kmcnt 0x0
	s_cmp_ge_u32 s10, s33
	s_cbranch_scc1 .LBB521_40
; %bb.4:
	v_and_b32_e32 v9, 0x3ff, v0
	v_bfe_u32 v15, v0, 10, 10
	s_load_b32 s4, s[0:1], 0x0
	s_wait_xcnt 0x0
	s_bfe_u32 s0, ttmp6, 0x4000c
	s_bfe_u32 s5, ttmp6, 0x40010
	s_add_co_i32 s0, s0, 1
	s_and_b32 s34, ttmp7, 0xffff
	s_add_co_i32 s5, s5, 1
	v_lshl_add_u32 v1, v15, 4, v9
	s_and_b32 s1, ttmp6, 15
	s_mul_i32 s0, ttmp9, s0
	s_mul_i32 s5, s34, s5
	s_bfe_u32 s35, ttmp6, 0x40004
	s_add_co_i32 s1, s1, s0
	s_add_co_i32 s35, s35, s5
	s_cmp_eq_u32 s3, 0
	v_dual_lshrrev_b32 v3, 3, v1 :: v_dual_bitop2_b32 v5, 31, v1 bitop3:0x40
	s_cselect_b32 s0, ttmp9, s1
	s_cselect_b32 s1, s34, s35
	s_lshl_b32 s3, s0, 5
	s_lshl_b32 s1, s1, 5
	s_delay_alu instid0(SALU_CYCLE_1) | instskip(SKIP_3) | instid1(VALU_DEP_2)
	v_dual_add_nc_u32 v4, s1, v3 :: v_dual_bitop2_b32 v6, s3, v5 bitop3:0x54
	v_add_nc_u32_e32 v16, s1, v15
	s_cmp_neq_f32 s24, 0
	v_dual_lshrrev_b32 v2, 5, v1 :: v_dual_bitop2_b32 v0, 7, v0 bitop3:0x40
	v_dual_ashrrev_i32 v7, 31, v6 :: v_dual_add_nc_u32 v18, 16, v16
	v_ashrrev_i32_e32 v17, 31, v16
	s_cselect_b32 s0, -1, 0
	s_cmp_neq_f32 s25, 0
	v_dual_lshlrev_b32 v1, 3, v0 :: v_dual_lshlrev_b32 v5, 3, v5
	v_ashrrev_i32_e32 v19, 31, v18
	s_cselect_b32 s5, -1, 0
	s_wait_kmcnt 0x0
	v_cmp_le_i32_e64 s34, s4, v6
	s_or_b32 s39, s0, s5
	v_cmp_gt_i32_e64 s0, s4, v6
	v_lshl_or_b32 v3, v3, 6, v1
	v_lshl_or_b32 v1, v2, 8, v5
	v_mul_u64_e32 v[6:7], s[14:15], v[6:7]
	v_ashrrev_i32_e32 v5, 31, v4
	v_mul_u64_e32 v[10:11], s[28:29], v[16:17]
	v_mul_u64_e32 v[12:13], s[28:29], v[18:19]
	v_dual_add_nc_u32 v8, s3, v9 :: v_dual_lshlrev_b32 v27, 3, v9
	s_cmp_neq_f32 s6, 0
	v_cmp_gt_i64_e64 s40, s[8:9], 0
	v_cmp_gt_i32_e32 vcc_lo, s4, v4
	s_delay_alu instid0(VALU_DEP_3)
	v_dual_add_nc_u32 v14, 16, v8 :: v_dual_ashrrev_i32 v9, 31, v8
	s_cselect_b32 s3, -1, 0
	s_xor_b32 s5, s2, -1
	v_cmp_le_i32_e64 s1, v16, v8
	v_cmp_gt_i32_e64 s2, s4, v8
	s_or_b32 s35, s3, s5
	v_cmp_le_i32_e64 s3, v16, v14
	v_cmp_gt_i32_e64 s4, s4, v14
	v_cmp_le_i32_e64 s5, v18, v14
	s_and_b32 s36, s1, s2
	v_cmp_le_i32_e64 s1, v18, v8
	v_add_nc_u32_e32 v3, 0x800, v3
	v_lshl_add_u32 v29, v15, 6, 0x800
	v_dual_ashrrev_i32 v15, 31, v14 :: v_dual_mov_b32 v17, 0
	s_and_b32 s37, s3, s4
	s_and_b32 s1, s1, s2
	;; [unrolled: 1-line block ×3, first 2 shown]
	s_mov_b32 s2, s6
	s_mov_b32 s3, s6
	;; [unrolled: 1-line block ×5, first 2 shown]
	s_and_b32 s39, s39, s40
	s_lshl_b64 s[14:15], s[22:23], 3
	s_lshl_b64 s[16:17], s[16:17], 3
	s_xor_b32 s40, vcc_lo, -1
	s_lshl_b64 s[22:23], s[30:31], 3
                                        ; implicit-def: $vgpr18_vgpr19
	s_branch .LBB521_6
.LBB521_5:                              ;   in Loop: Header=BB521_6 Depth=1
	s_wait_xcnt 0x0
	s_or_b32 exec_lo, exec_lo, s28
	s_add_co_i32 s10, s10, 0x10000
	s_delay_alu instid0(SALU_CYCLE_1)
	s_cmp_lt_u32 s10, s33
	s_cbranch_scc0 .LBB521_40
.LBB521_6:                              ; =>This Loop Header: Depth=1
                                        ;     Child Loop BB521_9 Depth 2
	v_mov_b32_e32 v16, s10
	s_and_not1_b32 vcc_lo, exec_lo, s39
	global_load_b64 v[20:21], v16, s[26:27] scale_offset
	s_cbranch_vccnz .LBB521_19
; %bb.7:                                ;   in Loop: Header=BB521_6 Depth=1
	s_lshl_b64 s[28:29], s[10:11], 3
	v_dual_mov_b32 v26, 0 :: v_dual_mov_b32 v28, 0
	s_add_nc_u64 s[30:31], s[12:13], s[28:29]
	s_add_nc_u64 s[28:29], s[18:19], s[28:29]
	s_clause 0x1
	global_load_b64 v[22:23], v17, s[30:31]
	global_load_b64 v[24:25], v17, s[28:29]
	v_dual_mov_b32 v32, 0 :: v_dual_mov_b32 v30, 0
	v_dual_mov_b32 v36, 0 :: v_dual_mov_b32 v34, 0
	;; [unrolled: 1-line block ×3, first 2 shown]
	s_wait_xcnt 0x0
	s_mov_b64 s[28:29], 0
	s_wait_loadcnt 0x1
	v_add_nc_u64_e32 v[22:23], s[16:17], v[22:23]
	s_wait_loadcnt 0x0
	v_add_nc_u64_e32 v[24:25], s[14:15], v[24:25]
	s_delay_alu instid0(VALU_DEP_2) | instskip(NEXT) | instid1(VALU_DEP_2)
	v_lshl_add_u64 v[22:23], v[6:7], 3, v[22:23]
	v_lshl_add_u64 v[24:25], v[4:5], 3, v[24:25]
	s_branch .LBB521_9
.LBB521_8:                              ;   in Loop: Header=BB521_9 Depth=2
	s_wait_xcnt 0x0
	s_or_b32 exec_lo, exec_lo, s30
	ds_store_b32 v3, v31 offset:4
	s_wait_dscnt 0x0
	s_barrier_signal -1
	s_barrier_wait -1
	ds_load_b128 v[42:45], v29
	ds_load_2addr_b64 v[46:49], v27 offset1:16
	ds_load_b128 v[50:53], v29 offset:1024
	ds_load_b128 v[54:57], v29 offset:16
	;; [unrolled: 1-line block ×4, first 2 shown]
	ds_load_2addr_b64 v[66:69], v27 offset0:32 offset1:48
	ds_load_b128 v[70:73], v29 offset:1040
	s_add_nc_u64 s[28:29], s[28:29], 8
	s_delay_alu instid0(SALU_CYCLE_1)
	v_cmp_gt_i64_e64 s30, s[8:9], s[28:29]
	s_and_b32 vcc_lo, exec_lo, s30
	s_wait_dscnt 0x6
	v_dual_mul_f32 v16, v43, v47 :: v_dual_mul_f32 v31, v42, v47
	v_dual_mul_f32 v33, v43, v49 :: v_dual_mul_f32 v35, v42, v49
	s_wait_dscnt 0x5
	v_dual_mul_f32 v37, v51, v47 :: v_dual_mul_f32 v39, v50, v47
	v_dual_mul_f32 v41, v51, v49 :: v_dual_mul_f32 v47, v50, v49
	v_dual_fma_f32 v16, v42, v46, -v16 :: v_dual_fmac_f32 v31, v43, v46
	v_dual_fma_f32 v33, v42, v48, -v33 :: v_dual_fmac_f32 v35, v43, v48
	s_delay_alu instid0(VALU_DEP_4) | instskip(NEXT) | instid1(VALU_DEP_3)
	v_dual_fma_f32 v37, v50, v46, -v37 :: v_dual_fmac_f32 v39, v51, v46
	v_dual_add_f32 v16, v38, v16 :: v_dual_add_f32 v38, v40, v31
	v_fma_f32 v31, v50, v48, -v41
	s_delay_alu instid0(VALU_DEP_4) | instskip(NEXT) | instid1(VALU_DEP_4)
	v_dual_add_f32 v34, v34, v33 :: v_dual_add_f32 v35, v36, v35
	v_dual_add_f32 v36, v30, v37 :: v_dual_add_f32 v37, v32, v39
	s_wait_dscnt 0x1
	v_dual_mul_f32 v39, v45, v67 :: v_dual_fmac_f32 v47, v51, v48
	v_add_f32_e32 v28, v28, v31
	ds_load_2addr_b64 v[30:33], v27 offset0:64 offset1:80
	v_dual_mul_f32 v40, v44, v67 :: v_dual_fma_f32 v39, v44, v66, -v39
	v_dual_mul_f32 v41, v45, v69 :: v_dual_add_f32 v26, v26, v47
	s_delay_alu instid0(VALU_DEP_2) | instskip(NEXT) | instid1(VALU_DEP_3)
	v_dual_mul_f32 v42, v44, v69 :: v_dual_fmac_f32 v40, v45, v66
	v_add_f32_e32 v16, v16, v39
	s_delay_alu instid0(VALU_DEP_3) | instskip(NEXT) | instid1(VALU_DEP_3)
	v_dual_fma_f32 v39, v44, v68, -v41 :: v_dual_mul_f32 v41, v53, v67
	v_fmac_f32_e32 v42, v45, v68
	s_delay_alu instid0(VALU_DEP_4) | instskip(NEXT) | instid1(VALU_DEP_3)
	v_dual_add_f32 v38, v38, v40 :: v_dual_mul_f32 v40, v52, v67
	v_dual_add_f32 v39, v34, v39 :: v_dual_fma_f32 v34, v52, v66, -v41
	s_delay_alu instid0(VALU_DEP_3) | instskip(NEXT) | instid1(VALU_DEP_3)
	v_dual_mul_f32 v41, v53, v69 :: v_dual_add_f32 v42, v35, v42
	v_dual_fmac_f32 v40, v53, v66 :: v_dual_mul_f32 v43, v52, v69
	s_wait_dscnt 0x0
	s_delay_alu instid0(VALU_DEP_3) | instskip(NEXT) | instid1(VALU_DEP_3)
	v_dual_add_f32 v44, v36, v34 :: v_dual_mul_f32 v35, v55, v31
	v_fma_f32 v34, v52, v68, -v41
	s_delay_alu instid0(VALU_DEP_3) | instskip(SKIP_1) | instid1(VALU_DEP_4)
	v_dual_add_f32 v40, v37, v40 :: v_dual_mul_f32 v41, v54, v31
	v_fmac_f32_e32 v43, v53, v68
	v_fma_f32 v45, v54, v30, -v35
	s_delay_alu instid0(VALU_DEP_4) | instskip(SKIP_4) | instid1(VALU_DEP_3)
	v_dual_add_f32 v28, v28, v34 :: v_dual_mul_f32 v46, v55, v33
	ds_load_2addr_b64 v[34:37], v27 offset0:96 offset1:112
	v_dual_fmac_f32 v41, v55, v30 :: v_dual_add_f32 v26, v26, v43
	v_add_f32_e32 v16, v16, v45
	v_dual_mul_f32 v43, v54, v33 :: v_dual_fma_f32 v45, v54, v32, -v46
	v_dual_add_f32 v38, v38, v41 :: v_dual_mul_f32 v41, v71, v31
	s_delay_alu instid0(VALU_DEP_2) | instskip(NEXT) | instid1(VALU_DEP_3)
	v_dual_mul_f32 v31, v70, v31 :: v_dual_fmac_f32 v43, v55, v32
	v_add_f32_e32 v39, v39, v45
	s_delay_alu instid0(VALU_DEP_3) | instskip(NEXT) | instid1(VALU_DEP_3)
	v_dual_mul_f32 v45, v71, v33 :: v_dual_fma_f32 v41, v70, v30, -v41
	v_dual_fmac_f32 v31, v71, v30 :: v_dual_mul_f32 v46, v70, v33
	s_delay_alu instid0(VALU_DEP_4) | instskip(NEXT) | instid1(VALU_DEP_3)
	v_add_f32_e32 v42, v42, v43
	v_dual_fma_f32 v30, v70, v32, -v45 :: v_dual_add_f32 v43, v44, v41
	s_delay_alu instid0(VALU_DEP_3) | instskip(SKIP_1) | instid1(VALU_DEP_2)
	v_dual_add_f32 v44, v40, v31 :: v_dual_fmac_f32 v46, v71, v32
	s_wait_dscnt 0x0
	v_dual_mul_f32 v40, v57, v35 :: v_dual_add_f32 v28, v28, v30
	ds_load_2addr_b64 v[30:33], v27 offset0:128 offset1:144
	v_dual_mul_f32 v41, v56, v35 :: v_dual_mul_f32 v45, v57, v37
	v_fma_f32 v40, v56, v34, -v40
	v_dual_add_f32 v26, v26, v46 :: v_dual_mul_f32 v46, v56, v37
	s_delay_alu instid0(VALU_DEP_3) | instskip(NEXT) | instid1(VALU_DEP_4)
	v_fmac_f32_e32 v41, v57, v34
	v_fma_f32 v45, v56, v36, -v45
	s_delay_alu instid0(VALU_DEP_4) | instskip(NEXT) | instid1(VALU_DEP_3)
	v_dual_add_f32 v16, v16, v40 :: v_dual_mul_f32 v40, v73, v35
	v_dual_fmac_f32 v46, v57, v36 :: v_dual_add_f32 v47, v38, v41
	s_delay_alu instid0(VALU_DEP_3) | instskip(NEXT) | instid1(VALU_DEP_3)
	v_dual_add_f32 v48, v39, v45 :: v_dual_mul_f32 v35, v72, v35
	v_dual_fma_f32 v45, v72, v34, -v40 :: v_dual_mul_f32 v49, v73, v37
	s_delay_alu instid0(VALU_DEP_3)
	v_add_f32_e32 v46, v42, v46
	ds_load_b128 v[38:41], v29 offset:1056
	v_dual_fmac_f32 v35, v73, v34 :: v_dual_mul_f32 v42, v72, v37
	v_dual_fma_f32 v34, v72, v36, -v49 :: v_dual_add_f32 v49, v43, v45
	s_wait_dscnt 0x1
	v_dual_mul_f32 v37, v59, v31 :: v_dual_mul_f32 v51, v58, v31
	s_delay_alu instid0(VALU_DEP_3) | instskip(NEXT) | instid1(VALU_DEP_3)
	v_dual_fmac_f32 v42, v73, v36 :: v_dual_add_f32 v50, v44, v35
	v_add_f32_e32 v28, v28, v34
	s_delay_alu instid0(VALU_DEP_3) | instskip(NEXT) | instid1(VALU_DEP_3)
	v_dual_fma_f32 v43, v58, v30, -v37 :: v_dual_mul_f32 v44, v59, v33
	v_add_f32_e32 v26, v26, v42
	ds_load_2addr_b64 v[34:37], v27 offset0:160 offset1:176
	v_dual_fmac_f32 v51, v59, v30 :: v_dual_add_f32 v16, v16, v43
	v_dual_fma_f32 v52, v58, v32, -v44 :: v_dual_mul_f32 v53, v58, v33
	ds_load_b128 v[42:45], v29 offset:1072
	v_add_f32_e32 v47, v47, v51
	s_wait_dscnt 0x2
	v_dual_mul_f32 v54, v39, v31 :: v_dual_mul_f32 v31, v38, v31
	v_fmac_f32_e32 v53, v59, v32
	v_dual_add_f32 v48, v48, v52 :: v_dual_mul_f32 v52, v39, v33
	s_delay_alu instid0(VALU_DEP_3) | instskip(NEXT) | instid1(VALU_DEP_3)
	v_dual_fma_f32 v51, v38, v30, -v54 :: v_dual_fmac_f32 v31, v39, v30
	v_add_f32_e32 v46, v46, v53
	s_delay_alu instid0(VALU_DEP_3) | instskip(NEXT) | instid1(VALU_DEP_3)
	v_dual_mul_f32 v53, v38, v33 :: v_dual_fma_f32 v30, v38, v32, -v52
	v_add_f32_e32 v49, v49, v51
	s_delay_alu instid0(VALU_DEP_2)
	v_dual_add_f32 v38, v50, v31 :: v_dual_fmac_f32 v53, v39, v32
	s_wait_dscnt 0x1
	v_dual_mul_f32 v50, v61, v35 :: v_dual_mul_f32 v39, v60, v35
	v_dual_add_f32 v28, v28, v30 :: v_dual_mul_f32 v51, v61, v37
	ds_load_2addr_b64 v[30:33], v27 offset0:192 offset1:208
	v_dual_fma_f32 v50, v60, v34, -v50 :: v_dual_fmac_f32 v39, v61, v34
	v_add_f32_e32 v26, v26, v53
	v_mul_f32_e32 v52, v60, v37
	s_delay_alu instid0(VALU_DEP_3) | instskip(NEXT) | instid1(VALU_DEP_4)
	v_add_f32_e32 v16, v16, v50
	v_dual_fma_f32 v50, v60, v36, -v51 :: v_dual_add_f32 v39, v47, v39
	s_delay_alu instid0(VALU_DEP_3) | instskip(SKIP_1) | instid1(VALU_DEP_3)
	v_fmac_f32_e32 v52, v61, v36
	v_dual_mul_f32 v47, v41, v35 :: v_dual_mul_f32 v35, v40, v35
	v_dual_add_f32 v50, v48, v50 :: v_dual_mul_f32 v48, v41, v37
	s_delay_alu instid0(VALU_DEP_2) | instskip(NEXT) | instid1(VALU_DEP_3)
	v_dual_add_f32 v51, v46, v52 :: v_dual_fma_f32 v47, v40, v34, -v47
	v_dual_fmac_f32 v35, v41, v34 :: v_dual_mul_f32 v34, v40, v37
	s_delay_alu instid0(VALU_DEP_2) | instskip(SKIP_1) | instid1(VALU_DEP_2)
	v_dual_fma_f32 v37, v40, v36, -v48 :: v_dual_add_f32 v40, v49, v47
	s_wait_dscnt 0x0
	v_dual_mul_f32 v46, v63, v31 :: v_dual_fmac_f32 v34, v41, v36
	s_delay_alu instid0(VALU_DEP_2) | instskip(NEXT) | instid1(VALU_DEP_2)
	v_dual_add_f32 v35, v38, v35 :: v_dual_add_f32 v28, v28, v37
	v_dual_mul_f32 v36, v62, v31 :: v_dual_fma_f32 v37, v62, v30, -v46
	ds_load_2addr_b64 v[46:49], v27 offset0:224 offset1:240
	v_dual_add_f32 v26, v26, v34 :: v_dual_mul_f32 v34, v63, v33
	v_dual_fmac_f32 v36, v63, v30 :: v_dual_add_f32 v16, v16, v37
	v_dual_mul_f32 v37, v62, v33 :: v_dual_mul_f32 v38, v43, v31
	s_delay_alu instid0(VALU_DEP_3) | instskip(NEXT) | instid1(VALU_DEP_3)
	v_fma_f32 v34, v62, v32, -v34
	v_dual_mul_f32 v31, v42, v31 :: v_dual_add_f32 v36, v39, v36
	s_delay_alu instid0(VALU_DEP_3) | instskip(NEXT) | instid1(VALU_DEP_3)
	v_dual_fmac_f32 v37, v63, v32 :: v_dual_fma_f32 v38, v42, v30, -v38
	v_add_f32_e32 v34, v50, v34
	s_delay_alu instid0(VALU_DEP_3) | instskip(SKIP_1) | instid1(VALU_DEP_4)
	v_dual_fmac_f32 v31, v43, v30 :: v_dual_mul_f32 v30, v43, v33
	v_mul_f32_e32 v33, v42, v33
	v_dual_add_f32 v37, v51, v37 :: v_dual_add_f32 v39, v40, v38
	s_delay_alu instid0(VALU_DEP_3) | instskip(SKIP_3) | instid1(VALU_DEP_3)
	v_dual_add_f32 v31, v35, v31 :: v_dual_fma_f32 v30, v42, v32, -v30
	s_wait_dscnt 0x0
	v_dual_mul_f32 v35, v65, v47 :: v_dual_mul_f32 v40, v64, v47
	v_dual_fmac_f32 v33, v43, v32 :: v_dual_mul_f32 v32, v65, v49
	v_add_f32_e32 v28, v28, v30
	s_delay_alu instid0(VALU_DEP_3) | instskip(NEXT) | instid1(VALU_DEP_3)
	v_dual_fma_f32 v30, v64, v46, -v35 :: v_dual_fmac_f32 v40, v65, v46
	v_dual_mul_f32 v35, v64, v49 :: v_dual_fma_f32 v32, v64, v48, -v32
	s_delay_alu instid0(VALU_DEP_2) | instskip(NEXT) | instid1(VALU_DEP_3)
	v_dual_add_f32 v26, v26, v33 :: v_dual_add_f32 v38, v16, v30
	v_dual_add_f32 v40, v36, v40 :: v_dual_mul_f32 v16, v45, v47
	s_delay_alu instid0(VALU_DEP_3) | instskip(NEXT) | instid1(VALU_DEP_4)
	v_fmac_f32_e32 v35, v65, v48
	v_dual_add_f32 v34, v34, v32 :: v_dual_mul_f32 v30, v45, v49
	v_dual_mul_f32 v32, v44, v47 :: v_dual_mul_f32 v33, v44, v49
	s_delay_alu instid0(VALU_DEP_3) | instskip(NEXT) | instid1(VALU_DEP_2)
	v_dual_add_f32 v36, v37, v35 :: v_dual_fma_f32 v16, v44, v46, -v16
	v_dual_fma_f32 v35, v44, v48, -v30 :: v_dual_fmac_f32 v32, v45, v46
	s_delay_alu instid0(VALU_DEP_3) | instskip(NEXT) | instid1(VALU_DEP_2)
	v_fmac_f32_e32 v33, v45, v48
	v_dual_add_f32 v30, v39, v16 :: v_dual_add_f32 v28, v28, v35
	s_delay_alu instid0(VALU_DEP_2)
	v_dual_add_f32 v32, v31, v32 :: v_dual_add_f32 v26, v26, v33
	s_barrier_signal -1
	s_barrier_wait -1
	s_cbranch_vccz .LBB521_20
.LBB521_9:                              ;   Parent Loop BB521_6 Depth=1
                                        ; =>  This Inner Loop Header: Depth=2
	s_mov_b32 s30, 0
	s_mov_b32 s41, s34
	s_and_saveexec_b32 s31, s0
	s_cbranch_execnz .LBB521_17
; %bb.10:                               ;   in Loop: Header=BB521_9 Depth=2
	s_or_b32 exec_lo, exec_lo, s31
	s_and_saveexec_b32 s31, s41
	s_delay_alu instid0(SALU_CYCLE_1)
	s_xor_b32 s31, exec_lo, s31
	s_cbranch_execnz .LBB521_18
.LBB521_11:                             ;   in Loop: Header=BB521_9 Depth=2
	s_or_b32 exec_lo, exec_lo, s31
	v_mov_b32_e32 v31, 0
	s_and_saveexec_b32 s31, s30
	s_cbranch_execz .LBB521_13
.LBB521_12:                             ;   in Loop: Header=BB521_9 Depth=2
	v_lshl_add_u64 v[42:43], v[18:19], 3, v[22:23]
	flat_load_b64 v[42:43], v[42:43]
	s_wait_loadcnt_dscnt 0x0
	v_xor_b32_e32 v31, 0x80000000, v43
	ds_store_b32 v1, v42
.LBB521_13:                             ;   in Loop: Header=BB521_9 Depth=2
	s_wait_xcnt 0x0
	s_or_b32 exec_lo, exec_lo, s31
	v_add_nc_u32_e32 v16, s28, v0
	ds_store_b32 v1, v31 offset:4
	v_cmp_le_u64_e32 vcc_lo, s[8:9], v[16:17]
	s_or_b32 s30, vcc_lo, s40
	s_delay_alu instid0(SALU_CYCLE_1) | instskip(NEXT) | instid1(SALU_CYCLE_1)
	s_and_saveexec_b32 s31, s30
	s_xor_b32 s30, exec_lo, s31
; %bb.14:                               ;   in Loop: Header=BB521_9 Depth=2
	ds_store_b32 v3, v17
; %bb.15:                               ;   in Loop: Header=BB521_9 Depth=2
	s_or_saveexec_b32 s30, s30
	v_mov_b32_e32 v31, 0
	s_xor_b32 exec_lo, exec_lo, s30
	s_cbranch_execz .LBB521_8
; %bb.16:                               ;   in Loop: Header=BB521_9 Depth=2
	v_mul_u64_e32 v[42:43], s[20:21], v[16:17]
	s_delay_alu instid0(VALU_DEP_1)
	v_lshl_add_u64 v[42:43], v[42:43], 3, v[24:25]
	flat_load_b64 v[42:43], v[42:43]
	s_wait_loadcnt_dscnt 0x0
	v_xor_b32_e32 v31, 0x80000000, v43
	ds_store_b32 v3, v42
	s_branch .LBB521_8
.LBB521_17:                             ;   in Loop: Header=BB521_9 Depth=2
	v_add_nc_u32_e32 v16, s28, v2
	s_and_not1_b32 s41, s34, exec_lo
	s_mov_b32 s30, exec_lo
	s_delay_alu instid0(VALU_DEP_1) | instskip(SKIP_2) | instid1(SALU_CYCLE_1)
	v_cmp_le_u64_e32 vcc_lo, s[8:9], v[16:17]
	v_mov_b64_e32 v[18:19], v[16:17]
	s_and_b32 s42, vcc_lo, exec_lo
	s_or_b32 s41, s41, s42
	s_or_b32 exec_lo, exec_lo, s31
	s_and_saveexec_b32 s31, s41
	s_delay_alu instid0(SALU_CYCLE_1)
	s_xor_b32 s31, exec_lo, s31
	s_cbranch_execz .LBB521_11
.LBB521_18:                             ;   in Loop: Header=BB521_9 Depth=2
	s_and_not1_b32 s30, s30, exec_lo
	ds_store_b32 v1, v17
	s_or_b32 exec_lo, exec_lo, s31
	v_mov_b32_e32 v31, 0
	s_and_saveexec_b32 s31, s30
	s_cbranch_execnz .LBB521_12
	s_branch .LBB521_13
.LBB521_19:                             ;   in Loop: Header=BB521_6 Depth=1
	v_dual_mov_b32 v38, v17 :: v_dual_mov_b32 v40, v17
	v_dual_mov_b32 v34, v17 :: v_dual_mov_b32 v36, v17
	v_dual_mov_b32 v30, v17 :: v_dual_mov_b32 v32, v17
	v_dual_mov_b32 v28, v17 :: v_dual_mov_b32 v26, v17
.LBB521_20:                             ;   in Loop: Header=BB521_6 Depth=1
	s_wait_loadcnt 0x0
	v_add_nc_u64_e32 v[20:21], s[22:23], v[20:21]
	s_delay_alu instid0(VALU_DEP_1)
	v_lshl_add_u64 v[22:23], v[10:11], 3, v[20:21]
	s_wait_xcnt 0x0
	s_and_saveexec_b32 s28, s36
	s_cbranch_execz .LBB521_25
; %bb.21:                               ;   in Loop: Header=BB521_6 Depth=1
	v_mov_b64_e32 v[24:25], s[4:5]
	v_mov_b64_e32 v[42:43], s[24:25]
	s_and_b32 vcc_lo, exec_lo, s35
	s_mov_b32 s29, -1
	s_delay_alu instid0(VALU_DEP_2) | instskip(NEXT) | instid1(VALU_DEP_1)
	v_pk_mul_f32 v[24:25], v[40:41], v[24:25] op_sel_hi:[0,1]
	v_pk_fma_f32 v[40:41], v[38:39], v[42:43], v[24:25] op_sel_hi:[0,1,1]
	v_pk_fma_f32 v[24:25], v[38:39], v[42:43], v[24:25] neg_lo:[0,0,1] neg_hi:[0,0,1]
	v_lshl_add_u64 v[38:39], v[8:9], 3, v[22:23]
	s_delay_alu instid0(VALU_DEP_3)
	v_mov_b32_e32 v25, v41
	s_cbranch_vccz .LBB521_23
; %bb.22:                               ;   in Loop: Header=BB521_6 Depth=1
	flat_load_b64 v[40:41], v[38:39]
	v_mov_b64_e32 v[42:43], s[6:7]
	v_mov_b64_e32 v[44:45], s[2:3]
	s_mov_b32 s29, 0
	s_wait_loadcnt_dscnt 0x0
	s_delay_alu instid0(VALU_DEP_2) | instskip(NEXT) | instid1(VALU_DEP_1)
	v_pk_mul_f32 v[42:43], v[40:41], v[42:43]
	v_pk_fma_f32 v[46:47], v[40:41], v[44:45], v[42:43] op_sel:[0,0,1] op_sel_hi:[1,1,0]
	v_pk_fma_f32 v[40:41], v[40:41], v[44:45], v[42:43] op_sel:[0,0,1] op_sel_hi:[1,1,0] neg_lo:[0,0,1] neg_hi:[0,0,1]
	s_delay_alu instid0(VALU_DEP_2) | instskip(NEXT) | instid1(VALU_DEP_1)
	v_mov_b32_e32 v41, v47
	v_pk_add_f32 v[40:41], v[24:25], v[40:41]
	flat_store_b64 v[38:39], v[40:41]
.LBB521_23:                             ;   in Loop: Header=BB521_6 Depth=1
	s_and_not1_b32 vcc_lo, exec_lo, s29
	s_cbranch_vccnz .LBB521_25
; %bb.24:                               ;   in Loop: Header=BB521_6 Depth=1
	flat_store_b64 v[38:39], v[24:25]
.LBB521_25:                             ;   in Loop: Header=BB521_6 Depth=1
	s_wait_xcnt 0x0
	s_or_b32 exec_lo, exec_lo, s28
	s_and_saveexec_b32 s28, s37
	s_cbranch_execz .LBB521_30
; %bb.26:                               ;   in Loop: Header=BB521_6 Depth=1
	v_mov_b64_e32 v[24:25], s[4:5]
	v_mov_b64_e32 v[38:39], s[24:25]
	v_lshl_add_u64 v[22:23], v[14:15], 3, v[22:23]
	s_and_not1_b32 vcc_lo, exec_lo, s35
	s_mov_b32 s29, -1
	s_delay_alu instid0(VALU_DEP_3) | instskip(NEXT) | instid1(VALU_DEP_1)
	v_pk_mul_f32 v[24:25], v[36:37], v[24:25] op_sel_hi:[0,1]
	v_pk_fma_f32 v[36:37], v[34:35], v[38:39], v[24:25] op_sel_hi:[0,1,1]
	v_pk_fma_f32 v[24:25], v[34:35], v[38:39], v[24:25] neg_lo:[0,0,1] neg_hi:[0,0,1]
	s_delay_alu instid0(VALU_DEP_2)
	v_mov_b32_e32 v25, v37
	s_cbranch_vccnz .LBB521_28
; %bb.27:                               ;   in Loop: Header=BB521_6 Depth=1
	flat_load_b64 v[34:35], v[22:23]
	v_mov_b64_e32 v[36:37], s[6:7]
	v_mov_b64_e32 v[38:39], s[2:3]
	s_mov_b32 s29, 0
	s_wait_loadcnt_dscnt 0x0
	s_delay_alu instid0(VALU_DEP_2) | instskip(NEXT) | instid1(VALU_DEP_1)
	v_pk_mul_f32 v[36:37], v[34:35], v[36:37]
	v_pk_fma_f32 v[40:41], v[34:35], v[38:39], v[36:37] op_sel:[0,0,1] op_sel_hi:[1,1,0]
	v_pk_fma_f32 v[34:35], v[34:35], v[38:39], v[36:37] op_sel:[0,0,1] op_sel_hi:[1,1,0] neg_lo:[0,0,1] neg_hi:[0,0,1]
	s_delay_alu instid0(VALU_DEP_2) | instskip(NEXT) | instid1(VALU_DEP_1)
	v_mov_b32_e32 v35, v41
	v_pk_add_f32 v[34:35], v[24:25], v[34:35]
	flat_store_b64 v[22:23], v[34:35]
.LBB521_28:                             ;   in Loop: Header=BB521_6 Depth=1
	s_and_not1_b32 vcc_lo, exec_lo, s29
	s_cbranch_vccnz .LBB521_30
; %bb.29:                               ;   in Loop: Header=BB521_6 Depth=1
	flat_store_b64 v[22:23], v[24:25]
.LBB521_30:                             ;   in Loop: Header=BB521_6 Depth=1
	s_wait_xcnt 0x0
	s_or_b32 exec_lo, exec_lo, s28
	v_lshl_add_u64 v[20:21], v[12:13], 3, v[20:21]
	s_and_saveexec_b32 s28, s1
	s_cbranch_execz .LBB521_35
; %bb.31:                               ;   in Loop: Header=BB521_6 Depth=1
	v_mov_b64_e32 v[22:23], s[4:5]
	v_mov_b64_e32 v[24:25], s[24:25]
	s_and_not1_b32 vcc_lo, exec_lo, s35
	s_mov_b32 s29, -1
	s_delay_alu instid0(VALU_DEP_2) | instskip(NEXT) | instid1(VALU_DEP_1)
	v_pk_mul_f32 v[22:23], v[32:33], v[22:23] op_sel_hi:[0,1]
	v_pk_fma_f32 v[32:33], v[30:31], v[24:25], v[22:23] op_sel_hi:[0,1,1]
	v_pk_fma_f32 v[22:23], v[30:31], v[24:25], v[22:23] neg_lo:[0,0,1] neg_hi:[0,0,1]
	v_lshl_add_u64 v[24:25], v[8:9], 3, v[20:21]
	s_delay_alu instid0(VALU_DEP_3)
	v_mov_b32_e32 v23, v33
	s_cbranch_vccnz .LBB521_33
; %bb.32:                               ;   in Loop: Header=BB521_6 Depth=1
	flat_load_b64 v[30:31], v[24:25]
	v_mov_b64_e32 v[32:33], s[6:7]
	v_mov_b64_e32 v[34:35], s[2:3]
	s_mov_b32 s29, 0
	s_wait_loadcnt_dscnt 0x0
	s_delay_alu instid0(VALU_DEP_2) | instskip(NEXT) | instid1(VALU_DEP_1)
	v_pk_mul_f32 v[32:33], v[30:31], v[32:33]
	v_pk_fma_f32 v[36:37], v[30:31], v[34:35], v[32:33] op_sel:[0,0,1] op_sel_hi:[1,1,0]
	v_pk_fma_f32 v[30:31], v[30:31], v[34:35], v[32:33] op_sel:[0,0,1] op_sel_hi:[1,1,0] neg_lo:[0,0,1] neg_hi:[0,0,1]
	s_delay_alu instid0(VALU_DEP_2) | instskip(NEXT) | instid1(VALU_DEP_1)
	v_mov_b32_e32 v31, v37
	v_pk_add_f32 v[30:31], v[22:23], v[30:31]
	flat_store_b64 v[24:25], v[30:31]
.LBB521_33:                             ;   in Loop: Header=BB521_6 Depth=1
	s_and_not1_b32 vcc_lo, exec_lo, s29
	s_cbranch_vccnz .LBB521_35
; %bb.34:                               ;   in Loop: Header=BB521_6 Depth=1
	flat_store_b64 v[24:25], v[22:23]
.LBB521_35:                             ;   in Loop: Header=BB521_6 Depth=1
	s_wait_xcnt 0x0
	s_or_b32 exec_lo, exec_lo, s28
	s_and_saveexec_b32 s28, s38
	s_cbranch_execz .LBB521_5
; %bb.36:                               ;   in Loop: Header=BB521_6 Depth=1
	v_mov_b64_e32 v[22:23], s[4:5]
	v_mov_b64_e32 v[24:25], s[24:25]
	v_lshl_add_u64 v[20:21], v[14:15], 3, v[20:21]
	s_and_not1_b32 vcc_lo, exec_lo, s35
	s_mov_b32 s29, -1
	s_delay_alu instid0(VALU_DEP_3) | instskip(NEXT) | instid1(VALU_DEP_1)
	v_pk_mul_f32 v[22:23], v[26:27], v[22:23] op_sel_hi:[0,1]
	v_pk_fma_f32 v[30:31], v[28:29], v[24:25], v[22:23] op_sel_hi:[0,1,1]
	v_pk_fma_f32 v[22:23], v[28:29], v[24:25], v[22:23] neg_lo:[0,0,1] neg_hi:[0,0,1]
	s_delay_alu instid0(VALU_DEP_2)
	v_mov_b32_e32 v23, v31
	s_cbranch_vccnz .LBB521_38
; %bb.37:                               ;   in Loop: Header=BB521_6 Depth=1
	flat_load_b64 v[24:25], v[20:21]
	v_mov_b64_e32 v[30:31], s[6:7]
	v_mov_b64_e32 v[32:33], s[2:3]
	s_mov_b32 s29, 0
	s_wait_loadcnt_dscnt 0x0
	s_delay_alu instid0(VALU_DEP_2) | instskip(NEXT) | instid1(VALU_DEP_1)
	v_pk_mul_f32 v[30:31], v[24:25], v[30:31]
	v_pk_fma_f32 v[34:35], v[24:25], v[32:33], v[30:31] op_sel:[0,0,1] op_sel_hi:[1,1,0]
	v_pk_fma_f32 v[24:25], v[24:25], v[32:33], v[30:31] op_sel:[0,0,1] op_sel_hi:[1,1,0] neg_lo:[0,0,1] neg_hi:[0,0,1]
	s_delay_alu instid0(VALU_DEP_2) | instskip(NEXT) | instid1(VALU_DEP_1)
	v_mov_b32_e32 v25, v35
	v_pk_add_f32 v[24:25], v[22:23], v[24:25]
	flat_store_b64 v[20:21], v[24:25]
.LBB521_38:                             ;   in Loop: Header=BB521_6 Depth=1
	s_and_not1_b32 vcc_lo, exec_lo, s29
	s_cbranch_vccnz .LBB521_5
; %bb.39:                               ;   in Loop: Header=BB521_6 Depth=1
	flat_store_b64 v[20:21], v[22:23]
	s_branch .LBB521_5
.LBB521_40:
	s_sendmsg sendmsg(MSG_DEALLOC_VGPRS)
	s_endpgm
	.section	.rodata,"a",@progbits
	.p2align	6, 0x0
	.amdhsa_kernel _ZL29rocblas_internal_gemmt_kernelIlLi16ELi32ELi8ELc67ELc67ELc76ELb1ELb1E19rocblas_complex_numIfEPKS1_PKS3_PKPS1_EviT_T9_T10_S9_lSB_S9_lSA_T11_S9_li
		.amdhsa_group_segment_fixed_size 4096
		.amdhsa_private_segment_fixed_size 0
		.amdhsa_kernarg_size 108
		.amdhsa_user_sgpr_count 2
		.amdhsa_user_sgpr_dispatch_ptr 0
		.amdhsa_user_sgpr_queue_ptr 0
		.amdhsa_user_sgpr_kernarg_segment_ptr 1
		.amdhsa_user_sgpr_dispatch_id 0
		.amdhsa_user_sgpr_kernarg_preload_length 0
		.amdhsa_user_sgpr_kernarg_preload_offset 0
		.amdhsa_user_sgpr_private_segment_size 0
		.amdhsa_wavefront_size32 1
		.amdhsa_uses_dynamic_stack 0
		.amdhsa_enable_private_segment 0
		.amdhsa_system_sgpr_workgroup_id_x 1
		.amdhsa_system_sgpr_workgroup_id_y 1
		.amdhsa_system_sgpr_workgroup_id_z 1
		.amdhsa_system_sgpr_workgroup_info 0
		.amdhsa_system_vgpr_workitem_id 1
		.amdhsa_next_free_vgpr 74
		.amdhsa_next_free_sgpr 43
		.amdhsa_named_barrier_count 0
		.amdhsa_reserve_vcc 1
		.amdhsa_float_round_mode_32 0
		.amdhsa_float_round_mode_16_64 0
		.amdhsa_float_denorm_mode_32 3
		.amdhsa_float_denorm_mode_16_64 3
		.amdhsa_fp16_overflow 0
		.amdhsa_memory_ordered 1
		.amdhsa_forward_progress 1
		.amdhsa_inst_pref_size 27
		.amdhsa_round_robin_scheduling 0
		.amdhsa_exception_fp_ieee_invalid_op 0
		.amdhsa_exception_fp_denorm_src 0
		.amdhsa_exception_fp_ieee_div_zero 0
		.amdhsa_exception_fp_ieee_overflow 0
		.amdhsa_exception_fp_ieee_underflow 0
		.amdhsa_exception_fp_ieee_inexact 0
		.amdhsa_exception_int_div_zero 0
	.end_amdhsa_kernel
	.section	.text._ZL29rocblas_internal_gemmt_kernelIlLi16ELi32ELi8ELc67ELc67ELc76ELb1ELb1E19rocblas_complex_numIfEPKS1_PKS3_PKPS1_EviT_T9_T10_S9_lSB_S9_lSA_T11_S9_li,"axG",@progbits,_ZL29rocblas_internal_gemmt_kernelIlLi16ELi32ELi8ELc67ELc67ELc76ELb1ELb1E19rocblas_complex_numIfEPKS1_PKS3_PKPS1_EviT_T9_T10_S9_lSB_S9_lSA_T11_S9_li,comdat
.Lfunc_end521:
	.size	_ZL29rocblas_internal_gemmt_kernelIlLi16ELi32ELi8ELc67ELc67ELc76ELb1ELb1E19rocblas_complex_numIfEPKS1_PKS3_PKPS1_EviT_T9_T10_S9_lSB_S9_lSA_T11_S9_li, .Lfunc_end521-_ZL29rocblas_internal_gemmt_kernelIlLi16ELi32ELi8ELc67ELc67ELc76ELb1ELb1E19rocblas_complex_numIfEPKS1_PKS3_PKPS1_EviT_T9_T10_S9_lSB_S9_lSA_T11_S9_li
                                        ; -- End function
	.set _ZL29rocblas_internal_gemmt_kernelIlLi16ELi32ELi8ELc67ELc67ELc76ELb1ELb1E19rocblas_complex_numIfEPKS1_PKS3_PKPS1_EviT_T9_T10_S9_lSB_S9_lSA_T11_S9_li.num_vgpr, 74
	.set _ZL29rocblas_internal_gemmt_kernelIlLi16ELi32ELi8ELc67ELc67ELc76ELb1ELb1E19rocblas_complex_numIfEPKS1_PKS3_PKPS1_EviT_T9_T10_S9_lSB_S9_lSA_T11_S9_li.num_agpr, 0
	.set _ZL29rocblas_internal_gemmt_kernelIlLi16ELi32ELi8ELc67ELc67ELc76ELb1ELb1E19rocblas_complex_numIfEPKS1_PKS3_PKPS1_EviT_T9_T10_S9_lSB_S9_lSA_T11_S9_li.numbered_sgpr, 43
	.set _ZL29rocblas_internal_gemmt_kernelIlLi16ELi32ELi8ELc67ELc67ELc76ELb1ELb1E19rocblas_complex_numIfEPKS1_PKS3_PKPS1_EviT_T9_T10_S9_lSB_S9_lSA_T11_S9_li.num_named_barrier, 0
	.set _ZL29rocblas_internal_gemmt_kernelIlLi16ELi32ELi8ELc67ELc67ELc76ELb1ELb1E19rocblas_complex_numIfEPKS1_PKS3_PKPS1_EviT_T9_T10_S9_lSB_S9_lSA_T11_S9_li.private_seg_size, 0
	.set _ZL29rocblas_internal_gemmt_kernelIlLi16ELi32ELi8ELc67ELc67ELc76ELb1ELb1E19rocblas_complex_numIfEPKS1_PKS3_PKPS1_EviT_T9_T10_S9_lSB_S9_lSA_T11_S9_li.uses_vcc, 1
	.set _ZL29rocblas_internal_gemmt_kernelIlLi16ELi32ELi8ELc67ELc67ELc76ELb1ELb1E19rocblas_complex_numIfEPKS1_PKS3_PKPS1_EviT_T9_T10_S9_lSB_S9_lSA_T11_S9_li.uses_flat_scratch, 0
	.set _ZL29rocblas_internal_gemmt_kernelIlLi16ELi32ELi8ELc67ELc67ELc76ELb1ELb1E19rocblas_complex_numIfEPKS1_PKS3_PKPS1_EviT_T9_T10_S9_lSB_S9_lSA_T11_S9_li.has_dyn_sized_stack, 0
	.set _ZL29rocblas_internal_gemmt_kernelIlLi16ELi32ELi8ELc67ELc67ELc76ELb1ELb1E19rocblas_complex_numIfEPKS1_PKS3_PKPS1_EviT_T9_T10_S9_lSB_S9_lSA_T11_S9_li.has_recursion, 0
	.set _ZL29rocblas_internal_gemmt_kernelIlLi16ELi32ELi8ELc67ELc67ELc76ELb1ELb1E19rocblas_complex_numIfEPKS1_PKS3_PKPS1_EviT_T9_T10_S9_lSB_S9_lSA_T11_S9_li.has_indirect_call, 0
	.section	.AMDGPU.csdata,"",@progbits
; Kernel info:
; codeLenInByte = 3360
; TotalNumSgprs: 45
; NumVgprs: 74
; ScratchSize: 0
; MemoryBound: 0
; FloatMode: 240
; IeeeMode: 1
; LDSByteSize: 4096 bytes/workgroup (compile time only)
; SGPRBlocks: 0
; VGPRBlocks: 4
; NumSGPRsForWavesPerEU: 45
; NumVGPRsForWavesPerEU: 74
; NamedBarCnt: 0
; Occupancy: 12
; WaveLimiterHint : 1
; COMPUTE_PGM_RSRC2:SCRATCH_EN: 0
; COMPUTE_PGM_RSRC2:USER_SGPR: 2
; COMPUTE_PGM_RSRC2:TRAP_HANDLER: 0
; COMPUTE_PGM_RSRC2:TGID_X_EN: 1
; COMPUTE_PGM_RSRC2:TGID_Y_EN: 1
; COMPUTE_PGM_RSRC2:TGID_Z_EN: 1
; COMPUTE_PGM_RSRC2:TIDIG_COMP_CNT: 1
	.section	.text._ZL29rocblas_internal_gemmt_kernelIlLi16ELi32ELi8ELc78ELc78ELc85ELb0ELb0E19rocblas_complex_numIfES1_PKPKS1_PKPS1_EviT_T9_T10_S9_lSB_S9_lSA_T11_S9_li,"axG",@progbits,_ZL29rocblas_internal_gemmt_kernelIlLi16ELi32ELi8ELc78ELc78ELc85ELb0ELb0E19rocblas_complex_numIfES1_PKPKS1_PKPS1_EviT_T9_T10_S9_lSB_S9_lSA_T11_S9_li,comdat
	.globl	_ZL29rocblas_internal_gemmt_kernelIlLi16ELi32ELi8ELc78ELc78ELc85ELb0ELb0E19rocblas_complex_numIfES1_PKPKS1_PKPS1_EviT_T9_T10_S9_lSB_S9_lSA_T11_S9_li ; -- Begin function _ZL29rocblas_internal_gemmt_kernelIlLi16ELi32ELi8ELc78ELc78ELc85ELb0ELb0E19rocblas_complex_numIfES1_PKPKS1_PKPS1_EviT_T9_T10_S9_lSB_S9_lSA_T11_S9_li
	.p2align	8
	.type	_ZL29rocblas_internal_gemmt_kernelIlLi16ELi32ELi8ELc78ELc78ELc85ELb0ELb0E19rocblas_complex_numIfES1_PKPKS1_PKPS1_EviT_T9_T10_S9_lSB_S9_lSA_T11_S9_li,@function
_ZL29rocblas_internal_gemmt_kernelIlLi16ELi32ELi8ELc78ELc78ELc85ELb0ELb0E19rocblas_complex_numIfES1_PKPKS1_PKPS1_EviT_T9_T10_S9_lSB_S9_lSA_T11_S9_li: ; @_ZL29rocblas_internal_gemmt_kernelIlLi16ELi32ELi8ELc78ELc78ELc85ELb0ELb0E19rocblas_complex_numIfES1_PKPKS1_PKPS1_EviT_T9_T10_S9_lSB_S9_lSA_T11_S9_li
; %bb.0:
	s_clause 0x1
	s_load_b64 s[24:25], s[0:1], 0x48
	s_load_b128 s[16:19], s[0:1], 0x8
	s_wait_kmcnt 0x0
	s_cmp_neq_f32 s24, 1.0
	s_cselect_b32 s2, -1, 0
	s_and_b32 s4, s25, 0x7fffffff
	s_delay_alu instid0(SALU_CYCLE_1) | instskip(SKIP_3) | instid1(SALU_CYCLE_1)
	s_cmp_eq_u32 s4, 0
	s_cselect_b32 s3, -1, 0
	s_cmp_lg_u32 s4, 0
	s_cselect_b32 s4, -1, 0
	s_or_b32 s2, s2, s4
	s_delay_alu instid0(SALU_CYCLE_1)
	s_and_b32 vcc_lo, exec_lo, s2
	s_cbranch_vccnz .LBB522_2
; %bb.1:
	s_cmp_lg_u64 s[16:17], 0
	s_cselect_b32 s2, -1, 0
	s_cmp_neq_f32 s18, 0
	s_cselect_b32 s4, -1, 0
	s_cmp_neq_f32 s19, 0
	s_cselect_b32 s5, -1, 0
	s_delay_alu instid0(SALU_CYCLE_1) | instskip(NEXT) | instid1(SALU_CYCLE_1)
	s_or_b32 s4, s4, s5
	s_and_b32 s2, s2, s4
.LBB522_2:
	s_delay_alu instid0(SALU_CYCLE_1)
	s_and_not1_b32 vcc_lo, exec_lo, s2
	s_cbranch_vccnz .LBB522_35
; %bb.3:
	s_load_b32 s30, s[0:1], 0x68
	s_bfe_u32 s2, ttmp6, 0x40014
	s_lshr_b32 s4, ttmp7, 16
	s_add_co_i32 s2, s2, 1
	s_bfe_u32 s6, ttmp6, 0x40008
	s_mul_i32 s5, s4, s2
	s_getreg_b32 s2, hwreg(HW_REG_IB_STS2, 6, 4)
	s_add_co_i32 s6, s6, s5
	s_cmp_eq_u32 s2, 0
	s_mov_b32 s27, 0
	s_cselect_b32 s26, s4, s6
	s_wait_kmcnt 0x0
	s_cmp_ge_u32 s26, s30
	s_cbranch_scc1 .LBB522_35
; %bb.4:
	s_bfe_u32 s5, ttmp6, 0x4000c
	s_bfe_u32 s6, ttmp6, 0x40010
	v_and_b32_e32 v9, 0x3ff, v0
	v_bfe_u32 v15, v0, 10, 10
	s_add_co_i32 s5, s5, 1
	s_and_b32 s20, ttmp7, 0xffff
	s_add_co_i32 s6, s6, 1
	s_and_b32 s4, ttmp6, 15
	s_mul_i32 s5, ttmp9, s5
	s_mul_i32 s6, s20, s6
	s_bfe_u32 s7, ttmp6, 0x40004
	v_lshl_add_u32 v1, v15, 4, v9
	s_add_co_i32 s21, s4, s5
	s_add_co_i32 s22, s7, s6
	s_cmp_eq_u32 s2, 0
	s_load_b128 s[4:7], s[0:1], 0x38
	s_cselect_b32 s20, s20, s22
	s_cselect_b32 s2, ttmp9, s21
	s_lshl_b32 s31, s20, 5
	v_dual_lshrrev_b32 v8, 3, v1 :: v_dual_bitop2_b32 v3, 31, v1 bitop3:0x40
	s_clause 0x2
	s_load_b128 s[20:23], s[0:1], 0x50
	s_load_b32 s34, s[0:1], 0x0
	s_load_b256 s[8:15], s[0:1], 0x18
	s_lshl_b32 s2, s2, 5
	s_load_b64 s[28:29], s[0:1], 0x60
	v_dual_add_nc_u32 v6, s31, v8 :: v_dual_bitop2_b32 v4, s2, v3 bitop3:0x54
	v_dual_add_nc_u32 v16, s31, v15 :: v_dual_bitop2_b32 v0, 7, v0 bitop3:0x40
	s_delay_alu instid0(VALU_DEP_2) | instskip(NEXT) | instid1(VALU_DEP_2)
	v_dual_lshrrev_b32 v2, 5, v1 :: v_dual_ashrrev_i32 v5, 31, v4
	v_dual_ashrrev_i32 v7, 31, v6 :: v_dual_add_nc_u32 v18, 16, v16
	v_ashrrev_i32_e32 v17, 31, v16
	s_cmp_neq_f32 s18, 0
	v_dual_lshlrev_b32 v1, 3, v3 :: v_dual_lshlrev_b32 v3, 3, v0
	s_delay_alu instid0(VALU_DEP_3)
	v_ashrrev_i32_e32 v19, 31, v18
	s_cselect_b32 s33, -1, 0
	s_cmp_neq_f32 s19, 0
	v_lshlrev_b32_e32 v25, 3, v9
	s_wait_kmcnt 0x0
	v_cmp_gt_i32_e64 s1, s34, v6
	v_mul_u64_e32 v[6:7], s[4:5], v[6:7]
	v_mul_u64_e32 v[10:11], s[22:23], v[16:17]
	;; [unrolled: 1-line block ×3, first 2 shown]
	v_lshl_or_b32 v3, v8, 6, v3
	v_add_nc_u32_e32 v8, s2, v9
	s_cselect_b32 s0, -1, 0
	v_cmp_gt_i32_e32 vcc_lo, s34, v16
	s_or_b32 s37, s33, s0
	s_cmp_neq_f32 s24, 0
	v_cmp_le_i32_e64 s2, v8, v16
	v_dual_add_nc_u32 v14, 16, v8 :: v_dual_ashrrev_i32 v9, 31, v8
	v_cmp_gt_i64_e64 s38, s[16:17], 0
	s_cselect_b32 s4, -1, 0
	s_xor_b32 s3, s3, -1
	s_and_b32 s33, vcc_lo, s2
	s_or_b32 s31, s4, s3
	v_cmp_le_i32_e64 s2, v14, v16
	v_cmp_gt_i32_e64 s3, s34, v18
	v_cmp_le_i32_e64 s4, v8, v18
	v_cmp_le_i32_e64 s5, v14, v18
	v_cmp_gt_i32_e64 s0, s34, v4
	v_lshl_or_b32 v1, v2, 8, v1
	v_add_nc_u32_e32 v3, 0x800, v3
	v_lshl_add_u32 v27, v15, 6, 0x800
	v_dual_ashrrev_i32 v15, 31, v14 :: v_dual_mov_b32 v17, 0
	s_and_b32 s34, vcc_lo, s2
	s_and_b32 s35, s3, s4
	s_and_b32 s36, s3, s5
	s_mov_b32 s2, s24
	s_mov_b32 s3, s24
	;; [unrolled: 1-line block ×5, first 2 shown]
	s_and_b32 s37, s37, s38
	s_lshl_b64 s[6:7], s[6:7], 3
	s_lshl_b64 s[12:13], s[12:13], 3
	;; [unrolled: 1-line block ×3, first 2 shown]
	s_branch .LBB522_6
.LBB522_5:                              ;   in Loop: Header=BB522_6 Depth=1
	s_wait_xcnt 0x0
	s_or_b32 exec_lo, exec_lo, s28
	s_add_co_i32 s26, s26, 0x10000
	s_delay_alu instid0(SALU_CYCLE_1)
	s_cmp_lt_u32 s26, s30
	s_cbranch_scc0 .LBB522_35
.LBB522_6:                              ; =>This Loop Header: Depth=1
                                        ;     Child Loop BB522_9 Depth 2
	v_dual_mov_b32 v16, s26 :: v_dual_mov_b32 v36, v17
	v_dual_mov_b32 v38, v17 :: v_dual_mov_b32 v32, v17
	;; [unrolled: 1-line block ×3, first 2 shown]
	global_load_b64 v[18:19], v16, s[20:21] scale_offset
	v_dual_mov_b32 v30, v17 :: v_dual_mov_b32 v24, v17
	v_mov_b32_e32 v26, v17
	s_and_not1_b32 vcc_lo, exec_lo, s37
	s_cbranch_vccnz .LBB522_15
; %bb.7:                                ;   in Loop: Header=BB522_6 Depth=1
	s_lshl_b64 s[28:29], s[26:27], 3
	v_dual_mov_b32 v26, 0 :: v_dual_mov_b32 v24, 0
	s_add_nc_u64 s[38:39], s[8:9], s[28:29]
	s_add_nc_u64 s[28:29], s[14:15], s[28:29]
	s_clause 0x1
	global_load_b64 v[20:21], v17, s[38:39]
	global_load_b64 v[22:23], v17, s[28:29]
	v_dual_mov_b32 v30, 0 :: v_dual_mov_b32 v28, 0
	v_dual_mov_b32 v34, 0 :: v_dual_mov_b32 v32, 0
	;; [unrolled: 1-line block ×3, first 2 shown]
	s_wait_xcnt 0x0
	s_mov_b64 s[28:29], 0
	s_wait_loadcnt 0x1
	v_add_nc_u64_e32 v[20:21], s[12:13], v[20:21]
	s_wait_loadcnt 0x0
	v_add_nc_u64_e32 v[22:23], s[6:7], v[22:23]
	s_delay_alu instid0(VALU_DEP_2) | instskip(NEXT) | instid1(VALU_DEP_2)
	v_lshl_add_u64 v[20:21], v[4:5], 3, v[20:21]
	v_lshl_add_u64 v[22:23], v[6:7], 3, v[22:23]
	s_branch .LBB522_9
.LBB522_8:                              ;   in Loop: Header=BB522_9 Depth=2
	s_wait_xcnt 0x0
	s_or_b32 exec_lo, exec_lo, s38
	s_wait_loadcnt_dscnt 0x0
	ds_store_b64 v3, v[42:43]
	s_wait_dscnt 0x0
	s_barrier_signal -1
	s_barrier_wait -1
	ds_load_b128 v[40:43], v27
	ds_load_2addr_b64 v[44:47], v25 offset1:16
	ds_load_b128 v[48:51], v27 offset:1024
	ds_load_b128 v[52:55], v27 offset:16
	;; [unrolled: 1-line block ×4, first 2 shown]
	ds_load_2addr_b64 v[64:67], v25 offset0:32 offset1:48
	ds_load_b128 v[68:71], v27 offset:1040
	s_add_nc_u64 s[28:29], s[28:29], 8
	s_delay_alu instid0(SALU_CYCLE_1)
	v_cmp_gt_i64_e64 s38, s[16:17], s[28:29]
	s_and_b32 vcc_lo, exec_lo, s38
	s_wait_dscnt 0x6
	v_dual_mul_f32 v16, v41, v45 :: v_dual_mul_f32 v29, v40, v45
	v_dual_mul_f32 v31, v41, v47 :: v_dual_mul_f32 v33, v40, v47
	s_wait_dscnt 0x5
	v_dual_mul_f32 v35, v49, v45 :: v_dual_mul_f32 v37, v48, v45
	v_dual_mul_f32 v39, v49, v47 :: v_dual_mul_f32 v45, v48, v47
	v_dual_fma_f32 v16, v40, v44, -v16 :: v_dual_fmac_f32 v29, v41, v44
	v_dual_fma_f32 v31, v40, v46, -v31 :: v_dual_fmac_f32 v33, v41, v46
	s_delay_alu instid0(VALU_DEP_4) | instskip(NEXT) | instid1(VALU_DEP_3)
	v_dual_fma_f32 v35, v48, v44, -v35 :: v_dual_fmac_f32 v37, v49, v44
	v_dual_add_f32 v16, v36, v16 :: v_dual_add_f32 v36, v38, v29
	v_fma_f32 v29, v48, v46, -v39
	s_delay_alu instid0(VALU_DEP_4) | instskip(NEXT) | instid1(VALU_DEP_4)
	v_dual_add_f32 v32, v32, v31 :: v_dual_add_f32 v33, v34, v33
	v_dual_add_f32 v34, v28, v35 :: v_dual_add_f32 v35, v30, v37
	s_wait_dscnt 0x1
	v_dual_mul_f32 v37, v43, v65 :: v_dual_fmac_f32 v45, v49, v46
	v_add_f32_e32 v24, v24, v29
	ds_load_2addr_b64 v[28:31], v25 offset0:64 offset1:80
	v_dual_mul_f32 v38, v42, v65 :: v_dual_fma_f32 v37, v42, v64, -v37
	v_dual_mul_f32 v39, v43, v67 :: v_dual_add_f32 v26, v26, v45
	s_delay_alu instid0(VALU_DEP_2) | instskip(NEXT) | instid1(VALU_DEP_2)
	v_dual_mul_f32 v40, v42, v67 :: v_dual_fmac_f32 v38, v43, v64
	v_dual_add_f32 v16, v16, v37 :: v_dual_fma_f32 v37, v42, v66, -v39
	v_mul_f32_e32 v39, v51, v65
	s_delay_alu instid0(VALU_DEP_3) | instskip(NEXT) | instid1(VALU_DEP_4)
	v_fmac_f32_e32 v40, v43, v66
	v_dual_add_f32 v36, v36, v38 :: v_dual_mul_f32 v38, v50, v65
	s_delay_alu instid0(VALU_DEP_3) | instskip(NEXT) | instid1(VALU_DEP_3)
	v_dual_add_f32 v37, v32, v37 :: v_dual_fma_f32 v32, v50, v64, -v39
	v_dual_mul_f32 v39, v51, v67 :: v_dual_add_f32 v40, v33, v40
	s_delay_alu instid0(VALU_DEP_3) | instskip(SKIP_1) | instid1(VALU_DEP_3)
	v_dual_fmac_f32 v38, v51, v64 :: v_dual_mul_f32 v41, v50, v67
	s_wait_dscnt 0x0
	v_dual_add_f32 v42, v34, v32 :: v_dual_mul_f32 v33, v53, v29
	s_delay_alu instid0(VALU_DEP_3) | instskip(NEXT) | instid1(VALU_DEP_3)
	v_fma_f32 v32, v50, v66, -v39
	v_dual_add_f32 v38, v35, v38 :: v_dual_mul_f32 v39, v52, v29
	v_fmac_f32_e32 v41, v51, v66
	s_delay_alu instid0(VALU_DEP_4) | instskip(NEXT) | instid1(VALU_DEP_4)
	v_fma_f32 v43, v52, v28, -v33
	v_dual_add_f32 v24, v24, v32 :: v_dual_mul_f32 v44, v53, v31
	ds_load_2addr_b64 v[32:35], v25 offset0:96 offset1:112
	v_dual_fmac_f32 v39, v53, v28 :: v_dual_add_f32 v26, v26, v41
	v_add_f32_e32 v16, v16, v43
	v_dual_mul_f32 v41, v52, v31 :: v_dual_fma_f32 v43, v52, v30, -v44
	s_delay_alu instid0(VALU_DEP_3) | instskip(NEXT) | instid1(VALU_DEP_2)
	v_dual_add_f32 v36, v36, v39 :: v_dual_mul_f32 v39, v69, v29
	v_dual_mul_f32 v29, v68, v29 :: v_dual_fmac_f32 v41, v53, v30
	s_delay_alu instid0(VALU_DEP_3) | instskip(NEXT) | instid1(VALU_DEP_3)
	v_add_f32_e32 v37, v37, v43
	v_dual_mul_f32 v43, v69, v31 :: v_dual_fma_f32 v39, v68, v28, -v39
	s_delay_alu instid0(VALU_DEP_3) | instskip(NEXT) | instid1(VALU_DEP_4)
	v_dual_fmac_f32 v29, v69, v28 :: v_dual_mul_f32 v44, v68, v31
	v_add_f32_e32 v40, v40, v41
	s_delay_alu instid0(VALU_DEP_3) | instskip(NEXT) | instid1(VALU_DEP_3)
	v_dual_fma_f32 v28, v68, v30, -v43 :: v_dual_add_f32 v41, v42, v39
	v_dual_add_f32 v42, v38, v29 :: v_dual_fmac_f32 v44, v69, v30
	s_wait_dscnt 0x0
	s_delay_alu instid0(VALU_DEP_2) | instskip(SKIP_2) | instid1(VALU_DEP_1)
	v_dual_mul_f32 v38, v55, v33 :: v_dual_add_f32 v24, v24, v28
	ds_load_2addr_b64 v[28:31], v25 offset0:128 offset1:144
	v_dual_mul_f32 v39, v54, v33 :: v_dual_mul_f32 v43, v55, v35
	v_dual_fma_f32 v38, v54, v32, -v38 :: v_dual_fmac_f32 v39, v55, v32
	s_delay_alu instid0(VALU_DEP_1) | instskip(NEXT) | instid1(VALU_DEP_3)
	v_dual_add_f32 v26, v26, v44 :: v_dual_add_f32 v16, v16, v38
	v_dual_mul_f32 v44, v54, v35 :: v_dual_fma_f32 v43, v54, v34, -v43
	s_delay_alu instid0(VALU_DEP_3) | instskip(NEXT) | instid1(VALU_DEP_2)
	v_dual_mul_f32 v38, v71, v33 :: v_dual_add_f32 v45, v36, v39
	v_dual_mul_f32 v33, v70, v33 :: v_dual_fmac_f32 v44, v55, v34
	s_delay_alu instid0(VALU_DEP_2)
	v_dual_add_f32 v46, v37, v43 :: v_dual_fma_f32 v43, v70, v32, -v38
	v_mul_f32_e32 v47, v71, v35
	ds_load_b128 v[36:39], v27 offset:1056
	v_add_f32_e32 v44, v40, v44
	v_dual_fmac_f32 v33, v71, v32 :: v_dual_mul_f32 v40, v70, v35
	v_dual_fma_f32 v32, v70, v34, -v47 :: v_dual_add_f32 v47, v41, v43
	s_wait_dscnt 0x1
	v_mul_f32_e32 v35, v57, v29
	s_delay_alu instid0(VALU_DEP_3) | instskip(NEXT) | instid1(VALU_DEP_3)
	v_dual_add_f32 v48, v42, v33 :: v_dual_fmac_f32 v40, v71, v34
	v_add_f32_e32 v24, v24, v32
	s_delay_alu instid0(VALU_DEP_3) | instskip(NEXT) | instid1(VALU_DEP_3)
	v_dual_mul_f32 v49, v56, v29 :: v_dual_fma_f32 v41, v56, v28, -v35
	v_dual_mul_f32 v42, v57, v31 :: v_dual_add_f32 v26, v26, v40
	ds_load_2addr_b64 v[32:35], v25 offset0:160 offset1:176
	v_dual_fmac_f32 v49, v57, v28 :: v_dual_add_f32 v16, v16, v41
	v_dual_fma_f32 v50, v56, v30, -v42 :: v_dual_mul_f32 v51, v56, v31
	ds_load_b128 v[40:43], v27 offset:1072
	s_wait_dscnt 0x2
	v_dual_mul_f32 v52, v37, v29 :: v_dual_mul_f32 v29, v36, v29
	v_dual_add_f32 v45, v45, v49 :: v_dual_add_f32 v46, v46, v50
	s_delay_alu instid0(VALU_DEP_2) | instskip(NEXT) | instid1(VALU_DEP_3)
	v_dual_fmac_f32 v51, v57, v30 :: v_dual_fma_f32 v49, v36, v28, -v52
	v_dual_mul_f32 v50, v37, v31 :: v_dual_fmac_f32 v29, v37, v28
	s_delay_alu instid0(VALU_DEP_2) | instskip(NEXT) | instid1(VALU_DEP_2)
	v_dual_add_f32 v44, v44, v51 :: v_dual_add_f32 v47, v47, v49
	v_dual_mul_f32 v51, v36, v31 :: v_dual_fma_f32 v28, v36, v30, -v50
	s_delay_alu instid0(VALU_DEP_3) | instskip(SKIP_2) | instid1(VALU_DEP_3)
	v_add_f32_e32 v36, v48, v29
	s_wait_dscnt 0x1
	v_dual_mul_f32 v48, v59, v33 :: v_dual_mul_f32 v49, v59, v35
	v_dual_fmac_f32 v51, v37, v30 :: v_dual_add_f32 v24, v24, v28
	ds_load_2addr_b64 v[28:31], v25 offset0:192 offset1:208
	v_dual_mul_f32 v37, v58, v33 :: v_dual_fma_f32 v48, v58, v32, -v48
	s_delay_alu instid0(VALU_DEP_1) | instskip(NEXT) | instid1(VALU_DEP_2)
	v_dual_mul_f32 v50, v58, v35 :: v_dual_fmac_f32 v37, v59, v32
	v_dual_add_f32 v26, v26, v51 :: v_dual_add_f32 v16, v16, v48
	s_delay_alu instid0(VALU_DEP_2) | instskip(NEXT) | instid1(VALU_DEP_3)
	v_dual_fma_f32 v48, v58, v34, -v49 :: v_dual_fmac_f32 v50, v59, v34
	v_add_f32_e32 v37, v45, v37
	v_dual_mul_f32 v45, v39, v33 :: v_dual_mul_f32 v33, v38, v33
	s_delay_alu instid0(VALU_DEP_3) | instskip(NEXT) | instid1(VALU_DEP_2)
	v_dual_add_f32 v48, v46, v48 :: v_dual_mul_f32 v46, v39, v35
	v_dual_add_f32 v49, v44, v50 :: v_dual_fma_f32 v45, v38, v32, -v45
	s_delay_alu instid0(VALU_DEP_3) | instskip(SKIP_1) | instid1(VALU_DEP_3)
	v_dual_fmac_f32 v33, v39, v32 :: v_dual_mul_f32 v32, v38, v35
	s_wait_dscnt 0x0
	v_dual_fma_f32 v35, v38, v34, -v46 :: v_dual_mul_f32 v44, v61, v29
	s_delay_alu instid0(VALU_DEP_3) | instskip(NEXT) | instid1(VALU_DEP_3)
	v_add_f32_e32 v38, v47, v45
	v_dual_fmac_f32 v32, v39, v34 :: v_dual_mul_f32 v34, v60, v29
	s_delay_alu instid0(VALU_DEP_3) | instskip(NEXT) | instid1(VALU_DEP_4)
	v_add_f32_e32 v24, v24, v35
	v_fma_f32 v35, v60, v28, -v44
	ds_load_2addr_b64 v[44:47], v25 offset0:224 offset1:240
	v_dual_add_f32 v33, v36, v33 :: v_dual_add_f32 v26, v26, v32
	v_dual_mul_f32 v32, v61, v31 :: v_dual_fmac_f32 v34, v61, v28
	v_dual_add_f32 v16, v16, v35 :: v_dual_mul_f32 v36, v41, v29
	s_delay_alu instid0(VALU_DEP_2) | instskip(NEXT) | instid1(VALU_DEP_3)
	v_dual_mul_f32 v35, v60, v31 :: v_dual_fma_f32 v32, v60, v30, -v32
	v_dual_mul_f32 v29, v40, v29 :: v_dual_add_f32 v34, v37, v34
	s_delay_alu instid0(VALU_DEP_2) | instskip(NEXT) | instid1(VALU_DEP_3)
	v_dual_fma_f32 v36, v40, v28, -v36 :: v_dual_fmac_f32 v35, v61, v30
	v_add_f32_e32 v32, v48, v32
	s_delay_alu instid0(VALU_DEP_3) | instskip(SKIP_1) | instid1(VALU_DEP_4)
	v_dual_fmac_f32 v29, v41, v28 :: v_dual_mul_f32 v28, v41, v31
	v_mul_f32_e32 v31, v40, v31
	v_dual_add_f32 v35, v49, v35 :: v_dual_add_f32 v37, v38, v36
	s_delay_alu instid0(VALU_DEP_3) | instskip(SKIP_3) | instid1(VALU_DEP_3)
	v_dual_add_f32 v29, v33, v29 :: v_dual_fma_f32 v28, v40, v30, -v28
	s_wait_dscnt 0x0
	v_dual_mul_f32 v33, v63, v45 :: v_dual_mul_f32 v38, v62, v45
	v_dual_fmac_f32 v31, v41, v30 :: v_dual_mul_f32 v30, v63, v47
	v_add_f32_e32 v24, v24, v28
	s_delay_alu instid0(VALU_DEP_3) | instskip(NEXT) | instid1(VALU_DEP_3)
	v_dual_fma_f32 v28, v62, v44, -v33 :: v_dual_fmac_f32 v38, v63, v44
	v_dual_mul_f32 v33, v62, v47 :: v_dual_fma_f32 v30, v62, v46, -v30
	s_delay_alu instid0(VALU_DEP_2) | instskip(NEXT) | instid1(VALU_DEP_3)
	v_dual_add_f32 v26, v26, v31 :: v_dual_add_f32 v36, v16, v28
	v_dual_add_f32 v38, v34, v38 :: v_dual_mul_f32 v16, v43, v45
	s_delay_alu instid0(VALU_DEP_3) | instskip(NEXT) | instid1(VALU_DEP_4)
	v_fmac_f32_e32 v33, v63, v46
	v_dual_add_f32 v32, v32, v30 :: v_dual_mul_f32 v28, v43, v47
	v_dual_mul_f32 v30, v42, v45 :: v_dual_mul_f32 v31, v42, v47
	s_delay_alu instid0(VALU_DEP_3) | instskip(NEXT) | instid1(VALU_DEP_2)
	v_dual_add_f32 v34, v35, v33 :: v_dual_fma_f32 v16, v42, v44, -v16
	v_dual_fma_f32 v33, v42, v46, -v28 :: v_dual_fmac_f32 v30, v43, v44
	s_delay_alu instid0(VALU_DEP_3) | instskip(NEXT) | instid1(VALU_DEP_2)
	v_fmac_f32_e32 v31, v43, v46
	v_dual_add_f32 v28, v37, v16 :: v_dual_add_f32 v24, v24, v33
	s_delay_alu instid0(VALU_DEP_2)
	v_dual_add_f32 v30, v29, v30 :: v_dual_add_f32 v26, v26, v31
	s_barrier_signal -1
	s_barrier_wait -1
	s_cbranch_vccz .LBB522_15
.LBB522_9:                              ;   Parent Loop BB522_6 Depth=1
                                        ; =>  This Inner Loop Header: Depth=2
	v_dual_mov_b32 v40, 0 :: v_dual_mov_b32 v41, 0
	s_and_saveexec_b32 s38, s0
	s_cbranch_execz .LBB522_13
; %bb.10:                               ;   in Loop: Header=BB522_9 Depth=2
	v_dual_mov_b32 v41, 0 :: v_dual_add_nc_u32 v16, s28, v2
	v_mov_b32_e32 v40, 0
	s_mov_b32 s39, exec_lo
	s_delay_alu instid0(VALU_DEP_2)
	v_cmpx_gt_u64_e64 s[16:17], v[16:17]
	s_cbranch_execz .LBB522_12
; %bb.11:                               ;   in Loop: Header=BB522_9 Depth=2
	v_mul_u64_e32 v[40:41], s[10:11], v[16:17]
	s_delay_alu instid0(VALU_DEP_1)
	v_lshl_add_u64 v[40:41], v[40:41], 3, v[20:21]
	flat_load_b64 v[40:41], v[40:41]
.LBB522_12:                             ;   in Loop: Header=BB522_9 Depth=2
	s_wait_xcnt 0x0
	s_or_b32 exec_lo, exec_lo, s39
.LBB522_13:                             ;   in Loop: Header=BB522_9 Depth=2
	s_delay_alu instid0(SALU_CYCLE_1)
	s_or_b32 exec_lo, exec_lo, s38
	v_dual_add_nc_u32 v16, s28, v0 :: v_dual_mov_b32 v42, 0
	v_mov_b32_e32 v43, 0
	s_wait_loadcnt_dscnt 0x0
	ds_store_b64 v1, v[40:41]
	v_cmp_gt_u64_e32 vcc_lo, s[16:17], v[16:17]
	s_and_b32 s39, vcc_lo, s1
	s_delay_alu instid0(SALU_CYCLE_1)
	s_and_saveexec_b32 s38, s39
	s_cbranch_execz .LBB522_8
; %bb.14:                               ;   in Loop: Header=BB522_9 Depth=2
	v_lshl_add_u64 v[40:41], v[16:17], 3, v[22:23]
	flat_load_b64 v[42:43], v[40:41]
	s_branch .LBB522_8
.LBB522_15:                             ;   in Loop: Header=BB522_6 Depth=1
	s_wait_loadcnt 0x0
	v_add_nc_u64_e32 v[18:19], s[22:23], v[18:19]
	s_delay_alu instid0(VALU_DEP_1)
	v_lshl_add_u64 v[20:21], v[10:11], 3, v[18:19]
	s_wait_xcnt 0x0
	s_and_saveexec_b32 s28, s33
	s_cbranch_execz .LBB522_20
; %bb.16:                               ;   in Loop: Header=BB522_6 Depth=1
	v_mov_b64_e32 v[22:23], s[4:5]
	v_mov_b64_e32 v[40:41], s[18:19]
	s_and_b32 vcc_lo, exec_lo, s31
	s_mov_b32 s29, -1
	s_delay_alu instid0(VALU_DEP_2) | instskip(NEXT) | instid1(VALU_DEP_1)
	v_pk_mul_f32 v[22:23], v[38:39], v[22:23] op_sel_hi:[0,1]
	v_pk_fma_f32 v[38:39], v[36:37], v[40:41], v[22:23] op_sel_hi:[0,1,1]
	v_pk_fma_f32 v[22:23], v[36:37], v[40:41], v[22:23] neg_lo:[0,0,1] neg_hi:[0,0,1]
	v_lshl_add_u64 v[36:37], v[8:9], 3, v[20:21]
	s_delay_alu instid0(VALU_DEP_3)
	v_mov_b32_e32 v23, v39
	s_cbranch_vccz .LBB522_18
; %bb.17:                               ;   in Loop: Header=BB522_6 Depth=1
	flat_load_b64 v[38:39], v[36:37]
	v_mov_b64_e32 v[40:41], s[24:25]
	v_mov_b64_e32 v[42:43], s[2:3]
	s_mov_b32 s29, 0
	s_wait_loadcnt_dscnt 0x0
	s_delay_alu instid0(VALU_DEP_2) | instskip(NEXT) | instid1(VALU_DEP_1)
	v_pk_mul_f32 v[40:41], v[38:39], v[40:41]
	v_pk_fma_f32 v[44:45], v[38:39], v[42:43], v[40:41] op_sel:[0,0,1] op_sel_hi:[1,1,0]
	v_pk_fma_f32 v[38:39], v[38:39], v[42:43], v[40:41] op_sel:[0,0,1] op_sel_hi:[1,1,0] neg_lo:[0,0,1] neg_hi:[0,0,1]
	s_delay_alu instid0(VALU_DEP_2) | instskip(NEXT) | instid1(VALU_DEP_1)
	v_mov_b32_e32 v39, v45
	v_pk_add_f32 v[38:39], v[22:23], v[38:39]
	flat_store_b64 v[36:37], v[38:39]
.LBB522_18:                             ;   in Loop: Header=BB522_6 Depth=1
	s_and_not1_b32 vcc_lo, exec_lo, s29
	s_cbranch_vccnz .LBB522_20
; %bb.19:                               ;   in Loop: Header=BB522_6 Depth=1
	flat_store_b64 v[36:37], v[22:23]
.LBB522_20:                             ;   in Loop: Header=BB522_6 Depth=1
	s_wait_xcnt 0x0
	s_or_b32 exec_lo, exec_lo, s28
	s_and_saveexec_b32 s28, s34
	s_cbranch_execz .LBB522_25
; %bb.21:                               ;   in Loop: Header=BB522_6 Depth=1
	v_mov_b64_e32 v[22:23], s[4:5]
	v_mov_b64_e32 v[36:37], s[18:19]
	v_lshl_add_u64 v[20:21], v[14:15], 3, v[20:21]
	s_and_not1_b32 vcc_lo, exec_lo, s31
	s_mov_b32 s29, -1
	s_delay_alu instid0(VALU_DEP_3) | instskip(NEXT) | instid1(VALU_DEP_1)
	v_pk_mul_f32 v[22:23], v[34:35], v[22:23] op_sel_hi:[0,1]
	v_pk_fma_f32 v[34:35], v[32:33], v[36:37], v[22:23] op_sel_hi:[0,1,1]
	v_pk_fma_f32 v[22:23], v[32:33], v[36:37], v[22:23] neg_lo:[0,0,1] neg_hi:[0,0,1]
	s_delay_alu instid0(VALU_DEP_2)
	v_mov_b32_e32 v23, v35
	s_cbranch_vccnz .LBB522_23
; %bb.22:                               ;   in Loop: Header=BB522_6 Depth=1
	flat_load_b64 v[32:33], v[20:21]
	v_mov_b64_e32 v[34:35], s[24:25]
	v_mov_b64_e32 v[36:37], s[2:3]
	s_mov_b32 s29, 0
	s_wait_loadcnt_dscnt 0x0
	s_delay_alu instid0(VALU_DEP_2) | instskip(NEXT) | instid1(VALU_DEP_1)
	v_pk_mul_f32 v[34:35], v[32:33], v[34:35]
	v_pk_fma_f32 v[38:39], v[32:33], v[36:37], v[34:35] op_sel:[0,0,1] op_sel_hi:[1,1,0]
	v_pk_fma_f32 v[32:33], v[32:33], v[36:37], v[34:35] op_sel:[0,0,1] op_sel_hi:[1,1,0] neg_lo:[0,0,1] neg_hi:[0,0,1]
	s_delay_alu instid0(VALU_DEP_2) | instskip(NEXT) | instid1(VALU_DEP_1)
	v_mov_b32_e32 v33, v39
	v_pk_add_f32 v[32:33], v[22:23], v[32:33]
	flat_store_b64 v[20:21], v[32:33]
.LBB522_23:                             ;   in Loop: Header=BB522_6 Depth=1
	s_and_not1_b32 vcc_lo, exec_lo, s29
	s_cbranch_vccnz .LBB522_25
; %bb.24:                               ;   in Loop: Header=BB522_6 Depth=1
	flat_store_b64 v[20:21], v[22:23]
.LBB522_25:                             ;   in Loop: Header=BB522_6 Depth=1
	s_wait_xcnt 0x0
	s_or_b32 exec_lo, exec_lo, s28
	v_lshl_add_u64 v[18:19], v[12:13], 3, v[18:19]
	s_and_saveexec_b32 s28, s35
	s_cbranch_execz .LBB522_30
; %bb.26:                               ;   in Loop: Header=BB522_6 Depth=1
	v_mov_b64_e32 v[20:21], s[4:5]
	v_mov_b64_e32 v[22:23], s[18:19]
	s_and_not1_b32 vcc_lo, exec_lo, s31
	s_mov_b32 s29, -1
	s_delay_alu instid0(VALU_DEP_2) | instskip(NEXT) | instid1(VALU_DEP_1)
	v_pk_mul_f32 v[20:21], v[30:31], v[20:21] op_sel_hi:[0,1]
	v_pk_fma_f32 v[30:31], v[28:29], v[22:23], v[20:21] op_sel_hi:[0,1,1]
	v_pk_fma_f32 v[20:21], v[28:29], v[22:23], v[20:21] neg_lo:[0,0,1] neg_hi:[0,0,1]
	v_lshl_add_u64 v[22:23], v[8:9], 3, v[18:19]
	s_delay_alu instid0(VALU_DEP_3)
	v_mov_b32_e32 v21, v31
	s_cbranch_vccnz .LBB522_28
; %bb.27:                               ;   in Loop: Header=BB522_6 Depth=1
	flat_load_b64 v[28:29], v[22:23]
	v_mov_b64_e32 v[30:31], s[24:25]
	v_mov_b64_e32 v[32:33], s[2:3]
	s_mov_b32 s29, 0
	s_wait_loadcnt_dscnt 0x0
	s_delay_alu instid0(VALU_DEP_2) | instskip(NEXT) | instid1(VALU_DEP_1)
	v_pk_mul_f32 v[30:31], v[28:29], v[30:31]
	v_pk_fma_f32 v[34:35], v[28:29], v[32:33], v[30:31] op_sel:[0,0,1] op_sel_hi:[1,1,0]
	v_pk_fma_f32 v[28:29], v[28:29], v[32:33], v[30:31] op_sel:[0,0,1] op_sel_hi:[1,1,0] neg_lo:[0,0,1] neg_hi:[0,0,1]
	s_delay_alu instid0(VALU_DEP_2) | instskip(NEXT) | instid1(VALU_DEP_1)
	v_mov_b32_e32 v29, v35
	v_pk_add_f32 v[28:29], v[20:21], v[28:29]
	flat_store_b64 v[22:23], v[28:29]
.LBB522_28:                             ;   in Loop: Header=BB522_6 Depth=1
	s_and_not1_b32 vcc_lo, exec_lo, s29
	s_cbranch_vccnz .LBB522_30
; %bb.29:                               ;   in Loop: Header=BB522_6 Depth=1
	flat_store_b64 v[22:23], v[20:21]
.LBB522_30:                             ;   in Loop: Header=BB522_6 Depth=1
	s_wait_xcnt 0x0
	s_or_b32 exec_lo, exec_lo, s28
	s_and_saveexec_b32 s28, s36
	s_cbranch_execz .LBB522_5
; %bb.31:                               ;   in Loop: Header=BB522_6 Depth=1
	v_mov_b64_e32 v[20:21], s[4:5]
	v_mov_b64_e32 v[22:23], s[18:19]
	v_lshl_add_u64 v[18:19], v[14:15], 3, v[18:19]
	s_and_not1_b32 vcc_lo, exec_lo, s31
	s_mov_b32 s29, -1
	s_delay_alu instid0(VALU_DEP_3) | instskip(NEXT) | instid1(VALU_DEP_1)
	v_pk_mul_f32 v[20:21], v[26:27], v[20:21] op_sel_hi:[0,1]
	v_pk_fma_f32 v[28:29], v[24:25], v[22:23], v[20:21] op_sel_hi:[0,1,1]
	v_pk_fma_f32 v[20:21], v[24:25], v[22:23], v[20:21] neg_lo:[0,0,1] neg_hi:[0,0,1]
	s_delay_alu instid0(VALU_DEP_2)
	v_mov_b32_e32 v21, v29
	s_cbranch_vccnz .LBB522_33
; %bb.32:                               ;   in Loop: Header=BB522_6 Depth=1
	flat_load_b64 v[22:23], v[18:19]
	v_mov_b64_e32 v[28:29], s[24:25]
	v_mov_b64_e32 v[30:31], s[2:3]
	s_mov_b32 s29, 0
	s_wait_loadcnt_dscnt 0x0
	s_delay_alu instid0(VALU_DEP_2) | instskip(NEXT) | instid1(VALU_DEP_1)
	v_pk_mul_f32 v[28:29], v[22:23], v[28:29]
	v_pk_fma_f32 v[32:33], v[22:23], v[30:31], v[28:29] op_sel:[0,0,1] op_sel_hi:[1,1,0]
	v_pk_fma_f32 v[22:23], v[22:23], v[30:31], v[28:29] op_sel:[0,0,1] op_sel_hi:[1,1,0] neg_lo:[0,0,1] neg_hi:[0,0,1]
	s_delay_alu instid0(VALU_DEP_2) | instskip(NEXT) | instid1(VALU_DEP_1)
	v_mov_b32_e32 v23, v33
	v_pk_add_f32 v[22:23], v[20:21], v[22:23]
	flat_store_b64 v[18:19], v[22:23]
.LBB522_33:                             ;   in Loop: Header=BB522_6 Depth=1
	s_and_not1_b32 vcc_lo, exec_lo, s29
	s_cbranch_vccnz .LBB522_5
; %bb.34:                               ;   in Loop: Header=BB522_6 Depth=1
	flat_store_b64 v[18:19], v[20:21]
	s_branch .LBB522_5
.LBB522_35:
	s_sendmsg sendmsg(MSG_DEALLOC_VGPRS)
	s_endpgm
	.section	.rodata,"a",@progbits
	.p2align	6, 0x0
	.amdhsa_kernel _ZL29rocblas_internal_gemmt_kernelIlLi16ELi32ELi8ELc78ELc78ELc85ELb0ELb0E19rocblas_complex_numIfES1_PKPKS1_PKPS1_EviT_T9_T10_S9_lSB_S9_lSA_T11_S9_li
		.amdhsa_group_segment_fixed_size 4096
		.amdhsa_private_segment_fixed_size 0
		.amdhsa_kernarg_size 108
		.amdhsa_user_sgpr_count 2
		.amdhsa_user_sgpr_dispatch_ptr 0
		.amdhsa_user_sgpr_queue_ptr 0
		.amdhsa_user_sgpr_kernarg_segment_ptr 1
		.amdhsa_user_sgpr_dispatch_id 0
		.amdhsa_user_sgpr_kernarg_preload_length 0
		.amdhsa_user_sgpr_kernarg_preload_offset 0
		.amdhsa_user_sgpr_private_segment_size 0
		.amdhsa_wavefront_size32 1
		.amdhsa_uses_dynamic_stack 0
		.amdhsa_enable_private_segment 0
		.amdhsa_system_sgpr_workgroup_id_x 1
		.amdhsa_system_sgpr_workgroup_id_y 1
		.amdhsa_system_sgpr_workgroup_id_z 1
		.amdhsa_system_sgpr_workgroup_info 0
		.amdhsa_system_vgpr_workitem_id 1
		.amdhsa_next_free_vgpr 72
		.amdhsa_next_free_sgpr 40
		.amdhsa_named_barrier_count 0
		.amdhsa_reserve_vcc 1
		.amdhsa_float_round_mode_32 0
		.amdhsa_float_round_mode_16_64 0
		.amdhsa_float_denorm_mode_32 3
		.amdhsa_float_denorm_mode_16_64 3
		.amdhsa_fp16_overflow 0
		.amdhsa_memory_ordered 1
		.amdhsa_forward_progress 1
		.amdhsa_inst_pref_size 26
		.amdhsa_round_robin_scheduling 0
		.amdhsa_exception_fp_ieee_invalid_op 0
		.amdhsa_exception_fp_denorm_src 0
		.amdhsa_exception_fp_ieee_div_zero 0
		.amdhsa_exception_fp_ieee_overflow 0
		.amdhsa_exception_fp_ieee_underflow 0
		.amdhsa_exception_fp_ieee_inexact 0
		.amdhsa_exception_int_div_zero 0
	.end_amdhsa_kernel
	.section	.text._ZL29rocblas_internal_gemmt_kernelIlLi16ELi32ELi8ELc78ELc78ELc85ELb0ELb0E19rocblas_complex_numIfES1_PKPKS1_PKPS1_EviT_T9_T10_S9_lSB_S9_lSA_T11_S9_li,"axG",@progbits,_ZL29rocblas_internal_gemmt_kernelIlLi16ELi32ELi8ELc78ELc78ELc85ELb0ELb0E19rocblas_complex_numIfES1_PKPKS1_PKPS1_EviT_T9_T10_S9_lSB_S9_lSA_T11_S9_li,comdat
.Lfunc_end522:
	.size	_ZL29rocblas_internal_gemmt_kernelIlLi16ELi32ELi8ELc78ELc78ELc85ELb0ELb0E19rocblas_complex_numIfES1_PKPKS1_PKPS1_EviT_T9_T10_S9_lSB_S9_lSA_T11_S9_li, .Lfunc_end522-_ZL29rocblas_internal_gemmt_kernelIlLi16ELi32ELi8ELc78ELc78ELc85ELb0ELb0E19rocblas_complex_numIfES1_PKPKS1_PKPS1_EviT_T9_T10_S9_lSB_S9_lSA_T11_S9_li
                                        ; -- End function
	.set _ZL29rocblas_internal_gemmt_kernelIlLi16ELi32ELi8ELc78ELc78ELc85ELb0ELb0E19rocblas_complex_numIfES1_PKPKS1_PKPS1_EviT_T9_T10_S9_lSB_S9_lSA_T11_S9_li.num_vgpr, 72
	.set _ZL29rocblas_internal_gemmt_kernelIlLi16ELi32ELi8ELc78ELc78ELc85ELb0ELb0E19rocblas_complex_numIfES1_PKPKS1_PKPS1_EviT_T9_T10_S9_lSB_S9_lSA_T11_S9_li.num_agpr, 0
	.set _ZL29rocblas_internal_gemmt_kernelIlLi16ELi32ELi8ELc78ELc78ELc85ELb0ELb0E19rocblas_complex_numIfES1_PKPKS1_PKPS1_EviT_T9_T10_S9_lSB_S9_lSA_T11_S9_li.numbered_sgpr, 40
	.set _ZL29rocblas_internal_gemmt_kernelIlLi16ELi32ELi8ELc78ELc78ELc85ELb0ELb0E19rocblas_complex_numIfES1_PKPKS1_PKPS1_EviT_T9_T10_S9_lSB_S9_lSA_T11_S9_li.num_named_barrier, 0
	.set _ZL29rocblas_internal_gemmt_kernelIlLi16ELi32ELi8ELc78ELc78ELc85ELb0ELb0E19rocblas_complex_numIfES1_PKPKS1_PKPS1_EviT_T9_T10_S9_lSB_S9_lSA_T11_S9_li.private_seg_size, 0
	.set _ZL29rocblas_internal_gemmt_kernelIlLi16ELi32ELi8ELc78ELc78ELc85ELb0ELb0E19rocblas_complex_numIfES1_PKPKS1_PKPS1_EviT_T9_T10_S9_lSB_S9_lSA_T11_S9_li.uses_vcc, 1
	.set _ZL29rocblas_internal_gemmt_kernelIlLi16ELi32ELi8ELc78ELc78ELc85ELb0ELb0E19rocblas_complex_numIfES1_PKPKS1_PKPS1_EviT_T9_T10_S9_lSB_S9_lSA_T11_S9_li.uses_flat_scratch, 0
	.set _ZL29rocblas_internal_gemmt_kernelIlLi16ELi32ELi8ELc78ELc78ELc85ELb0ELb0E19rocblas_complex_numIfES1_PKPKS1_PKPS1_EviT_T9_T10_S9_lSB_S9_lSA_T11_S9_li.has_dyn_sized_stack, 0
	.set _ZL29rocblas_internal_gemmt_kernelIlLi16ELi32ELi8ELc78ELc78ELc85ELb0ELb0E19rocblas_complex_numIfES1_PKPKS1_PKPS1_EviT_T9_T10_S9_lSB_S9_lSA_T11_S9_li.has_recursion, 0
	.set _ZL29rocblas_internal_gemmt_kernelIlLi16ELi32ELi8ELc78ELc78ELc85ELb0ELb0E19rocblas_complex_numIfES1_PKPKS1_PKPS1_EviT_T9_T10_S9_lSB_S9_lSA_T11_S9_li.has_indirect_call, 0
	.section	.AMDGPU.csdata,"",@progbits
; Kernel info:
; codeLenInByte = 3228
; TotalNumSgprs: 42
; NumVgprs: 72
; ScratchSize: 0
; MemoryBound: 0
; FloatMode: 240
; IeeeMode: 1
; LDSByteSize: 4096 bytes/workgroup (compile time only)
; SGPRBlocks: 0
; VGPRBlocks: 4
; NumSGPRsForWavesPerEU: 42
; NumVGPRsForWavesPerEU: 72
; NamedBarCnt: 0
; Occupancy: 12
; WaveLimiterHint : 1
; COMPUTE_PGM_RSRC2:SCRATCH_EN: 0
; COMPUTE_PGM_RSRC2:USER_SGPR: 2
; COMPUTE_PGM_RSRC2:TRAP_HANDLER: 0
; COMPUTE_PGM_RSRC2:TGID_X_EN: 1
; COMPUTE_PGM_RSRC2:TGID_Y_EN: 1
; COMPUTE_PGM_RSRC2:TGID_Z_EN: 1
; COMPUTE_PGM_RSRC2:TIDIG_COMP_CNT: 1
	.section	.text._ZL29rocblas_internal_gemmt_kernelIlLi16ELi32ELi8ELc78ELc84ELc85ELb0ELb0E19rocblas_complex_numIfES1_PKPKS1_PKPS1_EviT_T9_T10_S9_lSB_S9_lSA_T11_S9_li,"axG",@progbits,_ZL29rocblas_internal_gemmt_kernelIlLi16ELi32ELi8ELc78ELc84ELc85ELb0ELb0E19rocblas_complex_numIfES1_PKPKS1_PKPS1_EviT_T9_T10_S9_lSB_S9_lSA_T11_S9_li,comdat
	.globl	_ZL29rocblas_internal_gemmt_kernelIlLi16ELi32ELi8ELc78ELc84ELc85ELb0ELb0E19rocblas_complex_numIfES1_PKPKS1_PKPS1_EviT_T9_T10_S9_lSB_S9_lSA_T11_S9_li ; -- Begin function _ZL29rocblas_internal_gemmt_kernelIlLi16ELi32ELi8ELc78ELc84ELc85ELb0ELb0E19rocblas_complex_numIfES1_PKPKS1_PKPS1_EviT_T9_T10_S9_lSB_S9_lSA_T11_S9_li
	.p2align	8
	.type	_ZL29rocblas_internal_gemmt_kernelIlLi16ELi32ELi8ELc78ELc84ELc85ELb0ELb0E19rocblas_complex_numIfES1_PKPKS1_PKPS1_EviT_T9_T10_S9_lSB_S9_lSA_T11_S9_li,@function
_ZL29rocblas_internal_gemmt_kernelIlLi16ELi32ELi8ELc78ELc84ELc85ELb0ELb0E19rocblas_complex_numIfES1_PKPKS1_PKPS1_EviT_T9_T10_S9_lSB_S9_lSA_T11_S9_li: ; @_ZL29rocblas_internal_gemmt_kernelIlLi16ELi32ELi8ELc78ELc84ELc85ELb0ELb0E19rocblas_complex_numIfES1_PKPKS1_PKPS1_EviT_T9_T10_S9_lSB_S9_lSA_T11_S9_li
; %bb.0:
	s_clause 0x1
	s_load_b64 s[6:7], s[0:1], 0x48
	s_load_b128 s[16:19], s[0:1], 0x8
	s_wait_kmcnt 0x0
	s_cmp_neq_f32 s6, 1.0
	s_cselect_b32 s2, -1, 0
	s_and_b32 s4, s7, 0x7fffffff
	s_delay_alu instid0(SALU_CYCLE_1) | instskip(SKIP_3) | instid1(SALU_CYCLE_1)
	s_cmp_eq_u32 s4, 0
	s_cselect_b32 s3, -1, 0
	s_cmp_lg_u32 s4, 0
	s_cselect_b32 s4, -1, 0
	s_or_b32 s2, s2, s4
	s_delay_alu instid0(SALU_CYCLE_1)
	s_and_b32 vcc_lo, exec_lo, s2
	s_cbranch_vccnz .LBB523_2
; %bb.1:
	s_cmp_lg_u64 s[16:17], 0
	s_cselect_b32 s2, -1, 0
	s_cmp_neq_f32 s18, 0
	s_cselect_b32 s4, -1, 0
	s_cmp_neq_f32 s19, 0
	s_cselect_b32 s5, -1, 0
	s_delay_alu instid0(SALU_CYCLE_1) | instskip(NEXT) | instid1(SALU_CYCLE_1)
	s_or_b32 s4, s4, s5
	s_and_b32 s2, s2, s4
.LBB523_2:
	s_delay_alu instid0(SALU_CYCLE_1)
	s_and_not1_b32 vcc_lo, exec_lo, s2
	s_cbranch_vccnz .LBB523_35
; %bb.3:
	s_load_b32 s33, s[0:1], 0x68
	s_bfe_u32 s2, ttmp6, 0x40014
	s_lshr_b32 s4, ttmp7, 16
	s_add_co_i32 s2, s2, 1
	s_bfe_u32 s8, ttmp6, 0x40008
	s_mul_i32 s5, s4, s2
	s_getreg_b32 s2, hwreg(HW_REG_IB_STS2, 6, 4)
	s_add_co_i32 s8, s8, s5
	s_cmp_eq_u32 s2, 0
	s_mov_b32 s29, 0
	s_cselect_b32 s28, s4, s8
	s_wait_kmcnt 0x0
	s_cmp_ge_u32 s28, s33
	s_cbranch_scc1 .LBB523_35
; %bb.4:
	v_and_b32_e32 v9, 0x3ff, v0
	v_bfe_u32 v15, v0, 10, 10
	s_bfe_u32 s8, ttmp6, 0x4000c
	s_bfe_u32 s9, ttmp6, 0x40010
	s_and_b32 s20, ttmp7, 0xffff
	s_add_co_i32 s8, s8, 1
	s_add_co_i32 s9, s9, 1
	s_and_b32 s5, ttmp6, 15
	v_lshl_add_u32 v1, v15, 4, v9
	s_mul_i32 s8, ttmp9, s8
	s_mul_i32 s9, s20, s9
	s_bfe_u32 s10, ttmp6, 0x40004
	s_add_co_i32 s5, s5, s8
	s_add_co_i32 s21, s10, s9
	s_cmp_eq_u32 s2, 0
	v_dual_lshrrev_b32 v2, 5, v1 :: v_dual_bitop2_b32 v0, 7, v0 bitop3:0x40
	s_cselect_b32 s2, ttmp9, s5
	s_cselect_b32 s5, s20, s21
	v_dual_lshrrev_b32 v3, 3, v1 :: v_dual_bitop2_b32 v1, 31, v1 bitop3:0x40
	s_clause 0x1
	s_load_b128 s[20:23], s[0:1], 0x38
	s_load_b128 s[24:27], s[0:1], 0x50
	s_lshl_b32 s2, s2, 5
	s_lshl_b32 s5, s5, 5
	s_load_b32 s4, s[0:1], 0x0
	v_dual_add_nc_u32 v6, s5, v3 :: v_dual_bitop2_b32 v4, s2, v1 bitop3:0x54
	v_dual_lshlrev_b32 v1, 3, v1 :: v_dual_add_nc_u32 v16, s5, v15
	s_cmp_neq_f32 s18, 0
	s_clause 0x1
	s_load_b256 s[8:15], s[0:1], 0x18
	s_load_b64 s[30:31], s[0:1], 0x60
	v_dual_add_nc_u32 v8, s2, v9 :: v_dual_add_nc_u32 v18, 16, v16
	v_ashrrev_i32_e32 v17, 31, v16
	v_lshlrev_b32_e32 v5, 3, v0
	s_cselect_b32 s34, -1, 0
	s_cmp_neq_f32 s19, 0
	v_ashrrev_i32_e32 v19, 31, v18
	v_cmp_le_i32_e64 s2, v8, v16
	v_lshl_or_b32 v3, v3, 6, v5
	s_wait_kmcnt 0x0
	v_mul_u64_e32 v[10:11], s[26:27], v[16:17]
	v_ashrrev_i32_e32 v5, 31, v4
	v_mul_u64_e32 v[12:13], s[26:27], v[18:19]
	s_cselect_b32 s0, -1, 0
	v_cmp_gt_i32_e32 vcc_lo, s4, v16
	s_or_b32 s39, s34, s0
	s_cmp_neq_f32 s6, 0
	v_add_nc_u32_e32 v14, 16, v8
	v_cmp_gt_i64_e64 s40, s[16:17], 0
	v_cmp_gt_i32_e64 s0, s4, v4
	s_cselect_b32 s5, -1, 0
	s_xor_b32 s3, s3, -1
	v_cmp_gt_i32_e64 s1, s4, v6
	v_dual_ashrrev_i32 v7, 31, v6 :: v_dual_lshlrev_b32 v25, 3, v9
	s_or_b32 s34, s5, s3
	s_and_b32 s35, vcc_lo, s2
	v_cmp_gt_i32_e64 s3, s4, v18
	v_cmp_le_i32_e64 s4, v8, v18
	v_ashrrev_i32_e32 v9, 31, v8
	v_cmp_le_i32_e64 s2, v14, v16
	v_cmp_le_i32_e64 s5, v14, v18
	v_lshl_or_b32 v1, v2, 8, v1
	v_add_nc_u32_e32 v3, 0x800, v3
	v_lshl_add_u32 v27, v15, 6, 0x800
	v_dual_ashrrev_i32 v15, 31, v14 :: v_dual_mov_b32 v17, 0
	s_and_b32 s36, vcc_lo, s2
	s_and_b32 s37, s3, s4
	s_and_b32 s38, s3, s5
	s_mov_b32 s2, s6
	s_mov_b32 s3, s6
	;; [unrolled: 1-line block ×5, first 2 shown]
	s_and_b32 s39, s39, s40
	s_lshl_b64 s[22:23], s[22:23], 3
	s_lshl_b64 s[12:13], s[12:13], 3
	;; [unrolled: 1-line block ×3, first 2 shown]
	s_branch .LBB523_6
.LBB523_5:                              ;   in Loop: Header=BB523_6 Depth=1
	s_wait_xcnt 0x0
	s_or_b32 exec_lo, exec_lo, s30
	s_add_co_i32 s28, s28, 0x10000
	s_delay_alu instid0(SALU_CYCLE_1)
	s_cmp_lt_u32 s28, s33
	s_cbranch_scc0 .LBB523_35
.LBB523_6:                              ; =>This Loop Header: Depth=1
                                        ;     Child Loop BB523_9 Depth 2
	v_dual_mov_b32 v16, s28 :: v_dual_mov_b32 v36, v17
	v_dual_mov_b32 v38, v17 :: v_dual_mov_b32 v32, v17
	;; [unrolled: 1-line block ×3, first 2 shown]
	global_load_b64 v[18:19], v16, s[24:25] scale_offset
	v_dual_mov_b32 v30, v17 :: v_dual_mov_b32 v24, v17
	v_mov_b32_e32 v26, v17
	s_and_not1_b32 vcc_lo, exec_lo, s39
	s_cbranch_vccnz .LBB523_15
; %bb.7:                                ;   in Loop: Header=BB523_6 Depth=1
	s_lshl_b64 s[30:31], s[28:29], 3
	v_dual_mov_b32 v26, 0 :: v_dual_mov_b32 v24, 0
	s_add_nc_u64 s[40:41], s[8:9], s[30:31]
	s_add_nc_u64 s[30:31], s[14:15], s[30:31]
	s_clause 0x1
	global_load_b64 v[20:21], v17, s[40:41]
	global_load_b64 v[22:23], v17, s[30:31]
	v_dual_mov_b32 v30, 0 :: v_dual_mov_b32 v28, 0
	v_dual_mov_b32 v34, 0 :: v_dual_mov_b32 v32, 0
	;; [unrolled: 1-line block ×3, first 2 shown]
	s_wait_xcnt 0x0
	s_mov_b64 s[30:31], 0
	s_wait_loadcnt 0x1
	v_add_nc_u64_e32 v[20:21], s[12:13], v[20:21]
	s_wait_loadcnt 0x0
	v_add_nc_u64_e32 v[22:23], s[22:23], v[22:23]
	s_delay_alu instid0(VALU_DEP_2) | instskip(NEXT) | instid1(VALU_DEP_2)
	v_lshl_add_u64 v[20:21], v[4:5], 3, v[20:21]
	v_lshl_add_u64 v[22:23], v[6:7], 3, v[22:23]
	s_branch .LBB523_9
.LBB523_8:                              ;   in Loop: Header=BB523_9 Depth=2
	s_wait_xcnt 0x0
	s_or_b32 exec_lo, exec_lo, s40
	s_wait_loadcnt_dscnt 0x0
	ds_store_b64 v3, v[42:43]
	s_wait_dscnt 0x0
	s_barrier_signal -1
	s_barrier_wait -1
	ds_load_b128 v[40:43], v27
	ds_load_2addr_b64 v[44:47], v25 offset1:16
	ds_load_b128 v[48:51], v27 offset:1024
	ds_load_b128 v[52:55], v27 offset:16
	;; [unrolled: 1-line block ×4, first 2 shown]
	ds_load_2addr_b64 v[64:67], v25 offset0:32 offset1:48
	ds_load_b128 v[68:71], v27 offset:1040
	s_add_nc_u64 s[30:31], s[30:31], 8
	s_delay_alu instid0(SALU_CYCLE_1)
	v_cmp_gt_i64_e64 s40, s[16:17], s[30:31]
	s_and_b32 vcc_lo, exec_lo, s40
	s_wait_dscnt 0x6
	v_dual_mul_f32 v16, v41, v45 :: v_dual_mul_f32 v29, v40, v45
	v_dual_mul_f32 v31, v41, v47 :: v_dual_mul_f32 v33, v40, v47
	s_wait_dscnt 0x5
	v_dual_mul_f32 v35, v49, v45 :: v_dual_mul_f32 v37, v48, v45
	v_dual_mul_f32 v39, v49, v47 :: v_dual_mul_f32 v45, v48, v47
	v_dual_fma_f32 v16, v40, v44, -v16 :: v_dual_fmac_f32 v29, v41, v44
	v_dual_fma_f32 v31, v40, v46, -v31 :: v_dual_fmac_f32 v33, v41, v46
	s_delay_alu instid0(VALU_DEP_4) | instskip(NEXT) | instid1(VALU_DEP_3)
	v_dual_fma_f32 v35, v48, v44, -v35 :: v_dual_fmac_f32 v37, v49, v44
	v_dual_add_f32 v16, v36, v16 :: v_dual_add_f32 v36, v38, v29
	v_fma_f32 v29, v48, v46, -v39
	s_delay_alu instid0(VALU_DEP_4) | instskip(NEXT) | instid1(VALU_DEP_4)
	v_dual_add_f32 v32, v32, v31 :: v_dual_add_f32 v33, v34, v33
	v_dual_add_f32 v34, v28, v35 :: v_dual_add_f32 v35, v30, v37
	s_wait_dscnt 0x1
	v_dual_mul_f32 v37, v43, v65 :: v_dual_fmac_f32 v45, v49, v46
	v_add_f32_e32 v24, v24, v29
	ds_load_2addr_b64 v[28:31], v25 offset0:64 offset1:80
	v_dual_mul_f32 v38, v42, v65 :: v_dual_fma_f32 v37, v42, v64, -v37
	v_dual_mul_f32 v39, v43, v67 :: v_dual_add_f32 v26, v26, v45
	s_delay_alu instid0(VALU_DEP_2) | instskip(NEXT) | instid1(VALU_DEP_2)
	v_dual_mul_f32 v40, v42, v67 :: v_dual_fmac_f32 v38, v43, v64
	v_dual_add_f32 v16, v16, v37 :: v_dual_fma_f32 v37, v42, v66, -v39
	v_mul_f32_e32 v39, v51, v65
	s_delay_alu instid0(VALU_DEP_3) | instskip(NEXT) | instid1(VALU_DEP_4)
	v_fmac_f32_e32 v40, v43, v66
	v_dual_add_f32 v36, v36, v38 :: v_dual_mul_f32 v38, v50, v65
	s_delay_alu instid0(VALU_DEP_3) | instskip(NEXT) | instid1(VALU_DEP_3)
	v_dual_add_f32 v37, v32, v37 :: v_dual_fma_f32 v32, v50, v64, -v39
	v_dual_mul_f32 v39, v51, v67 :: v_dual_add_f32 v40, v33, v40
	s_delay_alu instid0(VALU_DEP_3) | instskip(SKIP_1) | instid1(VALU_DEP_3)
	v_dual_fmac_f32 v38, v51, v64 :: v_dual_mul_f32 v41, v50, v67
	s_wait_dscnt 0x0
	v_dual_add_f32 v42, v34, v32 :: v_dual_mul_f32 v33, v53, v29
	s_delay_alu instid0(VALU_DEP_3) | instskip(NEXT) | instid1(VALU_DEP_3)
	v_fma_f32 v32, v50, v66, -v39
	v_dual_add_f32 v38, v35, v38 :: v_dual_mul_f32 v39, v52, v29
	v_fmac_f32_e32 v41, v51, v66
	s_delay_alu instid0(VALU_DEP_4) | instskip(NEXT) | instid1(VALU_DEP_4)
	v_fma_f32 v43, v52, v28, -v33
	v_dual_add_f32 v24, v24, v32 :: v_dual_mul_f32 v44, v53, v31
	ds_load_2addr_b64 v[32:35], v25 offset0:96 offset1:112
	v_dual_fmac_f32 v39, v53, v28 :: v_dual_add_f32 v26, v26, v41
	v_add_f32_e32 v16, v16, v43
	v_dual_mul_f32 v41, v52, v31 :: v_dual_fma_f32 v43, v52, v30, -v44
	s_delay_alu instid0(VALU_DEP_3) | instskip(NEXT) | instid1(VALU_DEP_2)
	v_dual_add_f32 v36, v36, v39 :: v_dual_mul_f32 v39, v69, v29
	v_dual_mul_f32 v29, v68, v29 :: v_dual_fmac_f32 v41, v53, v30
	s_delay_alu instid0(VALU_DEP_3) | instskip(NEXT) | instid1(VALU_DEP_3)
	v_add_f32_e32 v37, v37, v43
	v_dual_mul_f32 v43, v69, v31 :: v_dual_fma_f32 v39, v68, v28, -v39
	s_delay_alu instid0(VALU_DEP_3) | instskip(NEXT) | instid1(VALU_DEP_4)
	v_dual_fmac_f32 v29, v69, v28 :: v_dual_mul_f32 v44, v68, v31
	v_add_f32_e32 v40, v40, v41
	s_delay_alu instid0(VALU_DEP_3) | instskip(NEXT) | instid1(VALU_DEP_3)
	v_dual_fma_f32 v28, v68, v30, -v43 :: v_dual_add_f32 v41, v42, v39
	v_dual_add_f32 v42, v38, v29 :: v_dual_fmac_f32 v44, v69, v30
	s_wait_dscnt 0x0
	s_delay_alu instid0(VALU_DEP_2) | instskip(SKIP_2) | instid1(VALU_DEP_1)
	v_dual_mul_f32 v38, v55, v33 :: v_dual_add_f32 v24, v24, v28
	ds_load_2addr_b64 v[28:31], v25 offset0:128 offset1:144
	v_dual_mul_f32 v39, v54, v33 :: v_dual_mul_f32 v43, v55, v35
	v_dual_fma_f32 v38, v54, v32, -v38 :: v_dual_fmac_f32 v39, v55, v32
	s_delay_alu instid0(VALU_DEP_1) | instskip(NEXT) | instid1(VALU_DEP_3)
	v_dual_add_f32 v26, v26, v44 :: v_dual_add_f32 v16, v16, v38
	v_dual_mul_f32 v44, v54, v35 :: v_dual_fma_f32 v43, v54, v34, -v43
	s_delay_alu instid0(VALU_DEP_3) | instskip(NEXT) | instid1(VALU_DEP_2)
	v_dual_mul_f32 v38, v71, v33 :: v_dual_add_f32 v45, v36, v39
	v_dual_mul_f32 v33, v70, v33 :: v_dual_fmac_f32 v44, v55, v34
	s_delay_alu instid0(VALU_DEP_2)
	v_dual_add_f32 v46, v37, v43 :: v_dual_fma_f32 v43, v70, v32, -v38
	v_mul_f32_e32 v47, v71, v35
	ds_load_b128 v[36:39], v27 offset:1056
	v_add_f32_e32 v44, v40, v44
	v_dual_fmac_f32 v33, v71, v32 :: v_dual_mul_f32 v40, v70, v35
	v_dual_fma_f32 v32, v70, v34, -v47 :: v_dual_add_f32 v47, v41, v43
	s_wait_dscnt 0x1
	v_mul_f32_e32 v35, v57, v29
	s_delay_alu instid0(VALU_DEP_3) | instskip(NEXT) | instid1(VALU_DEP_3)
	v_dual_add_f32 v48, v42, v33 :: v_dual_fmac_f32 v40, v71, v34
	v_add_f32_e32 v24, v24, v32
	s_delay_alu instid0(VALU_DEP_3) | instskip(NEXT) | instid1(VALU_DEP_3)
	v_dual_mul_f32 v49, v56, v29 :: v_dual_fma_f32 v41, v56, v28, -v35
	v_dual_mul_f32 v42, v57, v31 :: v_dual_add_f32 v26, v26, v40
	ds_load_2addr_b64 v[32:35], v25 offset0:160 offset1:176
	v_dual_fmac_f32 v49, v57, v28 :: v_dual_add_f32 v16, v16, v41
	v_dual_fma_f32 v50, v56, v30, -v42 :: v_dual_mul_f32 v51, v56, v31
	ds_load_b128 v[40:43], v27 offset:1072
	s_wait_dscnt 0x2
	v_dual_mul_f32 v52, v37, v29 :: v_dual_mul_f32 v29, v36, v29
	v_dual_add_f32 v45, v45, v49 :: v_dual_add_f32 v46, v46, v50
	s_delay_alu instid0(VALU_DEP_2) | instskip(NEXT) | instid1(VALU_DEP_3)
	v_dual_fmac_f32 v51, v57, v30 :: v_dual_fma_f32 v49, v36, v28, -v52
	v_dual_mul_f32 v50, v37, v31 :: v_dual_fmac_f32 v29, v37, v28
	s_delay_alu instid0(VALU_DEP_2) | instskip(NEXT) | instid1(VALU_DEP_2)
	v_dual_add_f32 v44, v44, v51 :: v_dual_add_f32 v47, v47, v49
	v_dual_mul_f32 v51, v36, v31 :: v_dual_fma_f32 v28, v36, v30, -v50
	s_delay_alu instid0(VALU_DEP_3) | instskip(SKIP_2) | instid1(VALU_DEP_3)
	v_add_f32_e32 v36, v48, v29
	s_wait_dscnt 0x1
	v_dual_mul_f32 v48, v59, v33 :: v_dual_mul_f32 v49, v59, v35
	v_dual_fmac_f32 v51, v37, v30 :: v_dual_add_f32 v24, v24, v28
	ds_load_2addr_b64 v[28:31], v25 offset0:192 offset1:208
	v_dual_mul_f32 v37, v58, v33 :: v_dual_fma_f32 v48, v58, v32, -v48
	s_delay_alu instid0(VALU_DEP_1) | instskip(NEXT) | instid1(VALU_DEP_2)
	v_dual_mul_f32 v50, v58, v35 :: v_dual_fmac_f32 v37, v59, v32
	v_dual_add_f32 v26, v26, v51 :: v_dual_add_f32 v16, v16, v48
	s_delay_alu instid0(VALU_DEP_2) | instskip(NEXT) | instid1(VALU_DEP_3)
	v_dual_fma_f32 v48, v58, v34, -v49 :: v_dual_fmac_f32 v50, v59, v34
	v_add_f32_e32 v37, v45, v37
	v_dual_mul_f32 v45, v39, v33 :: v_dual_mul_f32 v33, v38, v33
	s_delay_alu instid0(VALU_DEP_3) | instskip(NEXT) | instid1(VALU_DEP_2)
	v_dual_add_f32 v48, v46, v48 :: v_dual_mul_f32 v46, v39, v35
	v_dual_add_f32 v49, v44, v50 :: v_dual_fma_f32 v45, v38, v32, -v45
	s_delay_alu instid0(VALU_DEP_3) | instskip(SKIP_1) | instid1(VALU_DEP_3)
	v_dual_fmac_f32 v33, v39, v32 :: v_dual_mul_f32 v32, v38, v35
	s_wait_dscnt 0x0
	v_dual_fma_f32 v35, v38, v34, -v46 :: v_dual_mul_f32 v44, v61, v29
	s_delay_alu instid0(VALU_DEP_3) | instskip(NEXT) | instid1(VALU_DEP_3)
	v_add_f32_e32 v38, v47, v45
	v_dual_fmac_f32 v32, v39, v34 :: v_dual_mul_f32 v34, v60, v29
	s_delay_alu instid0(VALU_DEP_3) | instskip(NEXT) | instid1(VALU_DEP_4)
	v_add_f32_e32 v24, v24, v35
	v_fma_f32 v35, v60, v28, -v44
	ds_load_2addr_b64 v[44:47], v25 offset0:224 offset1:240
	v_dual_add_f32 v33, v36, v33 :: v_dual_add_f32 v26, v26, v32
	v_dual_mul_f32 v32, v61, v31 :: v_dual_fmac_f32 v34, v61, v28
	v_dual_add_f32 v16, v16, v35 :: v_dual_mul_f32 v36, v41, v29
	s_delay_alu instid0(VALU_DEP_2) | instskip(NEXT) | instid1(VALU_DEP_3)
	v_dual_mul_f32 v35, v60, v31 :: v_dual_fma_f32 v32, v60, v30, -v32
	v_dual_mul_f32 v29, v40, v29 :: v_dual_add_f32 v34, v37, v34
	s_delay_alu instid0(VALU_DEP_2) | instskip(NEXT) | instid1(VALU_DEP_3)
	v_dual_fma_f32 v36, v40, v28, -v36 :: v_dual_fmac_f32 v35, v61, v30
	v_add_f32_e32 v32, v48, v32
	s_delay_alu instid0(VALU_DEP_3) | instskip(SKIP_1) | instid1(VALU_DEP_4)
	v_dual_fmac_f32 v29, v41, v28 :: v_dual_mul_f32 v28, v41, v31
	v_mul_f32_e32 v31, v40, v31
	v_dual_add_f32 v35, v49, v35 :: v_dual_add_f32 v37, v38, v36
	s_delay_alu instid0(VALU_DEP_3) | instskip(SKIP_3) | instid1(VALU_DEP_3)
	v_dual_add_f32 v29, v33, v29 :: v_dual_fma_f32 v28, v40, v30, -v28
	s_wait_dscnt 0x0
	v_dual_mul_f32 v33, v63, v45 :: v_dual_mul_f32 v38, v62, v45
	v_dual_fmac_f32 v31, v41, v30 :: v_dual_mul_f32 v30, v63, v47
	v_add_f32_e32 v24, v24, v28
	s_delay_alu instid0(VALU_DEP_3) | instskip(NEXT) | instid1(VALU_DEP_3)
	v_dual_fma_f32 v28, v62, v44, -v33 :: v_dual_fmac_f32 v38, v63, v44
	v_dual_mul_f32 v33, v62, v47 :: v_dual_fma_f32 v30, v62, v46, -v30
	s_delay_alu instid0(VALU_DEP_2) | instskip(NEXT) | instid1(VALU_DEP_3)
	v_dual_add_f32 v26, v26, v31 :: v_dual_add_f32 v36, v16, v28
	v_dual_add_f32 v38, v34, v38 :: v_dual_mul_f32 v16, v43, v45
	s_delay_alu instid0(VALU_DEP_3) | instskip(NEXT) | instid1(VALU_DEP_4)
	v_fmac_f32_e32 v33, v63, v46
	v_dual_add_f32 v32, v32, v30 :: v_dual_mul_f32 v28, v43, v47
	v_dual_mul_f32 v30, v42, v45 :: v_dual_mul_f32 v31, v42, v47
	s_delay_alu instid0(VALU_DEP_3) | instskip(NEXT) | instid1(VALU_DEP_2)
	v_dual_add_f32 v34, v35, v33 :: v_dual_fma_f32 v16, v42, v44, -v16
	v_dual_fma_f32 v33, v42, v46, -v28 :: v_dual_fmac_f32 v30, v43, v44
	s_delay_alu instid0(VALU_DEP_3) | instskip(NEXT) | instid1(VALU_DEP_2)
	v_fmac_f32_e32 v31, v43, v46
	v_dual_add_f32 v28, v37, v16 :: v_dual_add_f32 v24, v24, v33
	s_delay_alu instid0(VALU_DEP_2)
	v_dual_add_f32 v30, v29, v30 :: v_dual_add_f32 v26, v26, v31
	s_barrier_signal -1
	s_barrier_wait -1
	s_cbranch_vccz .LBB523_15
.LBB523_9:                              ;   Parent Loop BB523_6 Depth=1
                                        ; =>  This Inner Loop Header: Depth=2
	v_dual_mov_b32 v40, 0 :: v_dual_mov_b32 v41, 0
	s_and_saveexec_b32 s40, s0
	s_cbranch_execz .LBB523_13
; %bb.10:                               ;   in Loop: Header=BB523_9 Depth=2
	v_dual_mov_b32 v41, 0 :: v_dual_add_nc_u32 v16, s30, v2
	v_mov_b32_e32 v40, 0
	s_mov_b32 s41, exec_lo
	s_delay_alu instid0(VALU_DEP_2)
	v_cmpx_gt_u64_e64 s[16:17], v[16:17]
	s_cbranch_execz .LBB523_12
; %bb.11:                               ;   in Loop: Header=BB523_9 Depth=2
	v_mul_u64_e32 v[40:41], s[10:11], v[16:17]
	s_delay_alu instid0(VALU_DEP_1)
	v_lshl_add_u64 v[40:41], v[40:41], 3, v[20:21]
	flat_load_b64 v[40:41], v[40:41]
.LBB523_12:                             ;   in Loop: Header=BB523_9 Depth=2
	s_wait_xcnt 0x0
	s_or_b32 exec_lo, exec_lo, s41
.LBB523_13:                             ;   in Loop: Header=BB523_9 Depth=2
	s_delay_alu instid0(SALU_CYCLE_1)
	s_or_b32 exec_lo, exec_lo, s40
	v_dual_add_nc_u32 v16, s30, v0 :: v_dual_mov_b32 v42, 0
	v_mov_b32_e32 v43, 0
	s_wait_loadcnt_dscnt 0x0
	ds_store_b64 v1, v[40:41]
	v_cmp_gt_u64_e32 vcc_lo, s[16:17], v[16:17]
	s_and_b32 s41, vcc_lo, s1
	s_delay_alu instid0(SALU_CYCLE_1)
	s_and_saveexec_b32 s40, s41
	s_cbranch_execz .LBB523_8
; %bb.14:                               ;   in Loop: Header=BB523_9 Depth=2
	v_mul_u64_e32 v[40:41], s[20:21], v[16:17]
	s_delay_alu instid0(VALU_DEP_1)
	v_lshl_add_u64 v[40:41], v[40:41], 3, v[22:23]
	flat_load_b64 v[42:43], v[40:41]
	s_branch .LBB523_8
.LBB523_15:                             ;   in Loop: Header=BB523_6 Depth=1
	s_wait_loadcnt 0x0
	v_add_nc_u64_e32 v[18:19], s[26:27], v[18:19]
	s_delay_alu instid0(VALU_DEP_1)
	v_lshl_add_u64 v[20:21], v[10:11], 3, v[18:19]
	s_wait_xcnt 0x0
	s_and_saveexec_b32 s30, s35
	s_cbranch_execz .LBB523_20
; %bb.16:                               ;   in Loop: Header=BB523_6 Depth=1
	v_mov_b64_e32 v[22:23], s[4:5]
	v_mov_b64_e32 v[40:41], s[18:19]
	s_and_b32 vcc_lo, exec_lo, s34
	s_mov_b32 s31, -1
	s_delay_alu instid0(VALU_DEP_2) | instskip(NEXT) | instid1(VALU_DEP_1)
	v_pk_mul_f32 v[22:23], v[38:39], v[22:23] op_sel_hi:[0,1]
	v_pk_fma_f32 v[38:39], v[36:37], v[40:41], v[22:23] op_sel_hi:[0,1,1]
	v_pk_fma_f32 v[22:23], v[36:37], v[40:41], v[22:23] neg_lo:[0,0,1] neg_hi:[0,0,1]
	v_lshl_add_u64 v[36:37], v[8:9], 3, v[20:21]
	s_delay_alu instid0(VALU_DEP_3)
	v_mov_b32_e32 v23, v39
	s_cbranch_vccz .LBB523_18
; %bb.17:                               ;   in Loop: Header=BB523_6 Depth=1
	flat_load_b64 v[38:39], v[36:37]
	v_mov_b64_e32 v[40:41], s[6:7]
	v_mov_b64_e32 v[42:43], s[2:3]
	s_mov_b32 s31, 0
	s_wait_loadcnt_dscnt 0x0
	s_delay_alu instid0(VALU_DEP_2) | instskip(NEXT) | instid1(VALU_DEP_1)
	v_pk_mul_f32 v[40:41], v[38:39], v[40:41]
	v_pk_fma_f32 v[44:45], v[38:39], v[42:43], v[40:41] op_sel:[0,0,1] op_sel_hi:[1,1,0]
	v_pk_fma_f32 v[38:39], v[38:39], v[42:43], v[40:41] op_sel:[0,0,1] op_sel_hi:[1,1,0] neg_lo:[0,0,1] neg_hi:[0,0,1]
	s_delay_alu instid0(VALU_DEP_2) | instskip(NEXT) | instid1(VALU_DEP_1)
	v_mov_b32_e32 v39, v45
	v_pk_add_f32 v[38:39], v[22:23], v[38:39]
	flat_store_b64 v[36:37], v[38:39]
.LBB523_18:                             ;   in Loop: Header=BB523_6 Depth=1
	s_and_not1_b32 vcc_lo, exec_lo, s31
	s_cbranch_vccnz .LBB523_20
; %bb.19:                               ;   in Loop: Header=BB523_6 Depth=1
	flat_store_b64 v[36:37], v[22:23]
.LBB523_20:                             ;   in Loop: Header=BB523_6 Depth=1
	s_wait_xcnt 0x0
	s_or_b32 exec_lo, exec_lo, s30
	s_and_saveexec_b32 s30, s36
	s_cbranch_execz .LBB523_25
; %bb.21:                               ;   in Loop: Header=BB523_6 Depth=1
	v_mov_b64_e32 v[22:23], s[4:5]
	v_mov_b64_e32 v[36:37], s[18:19]
	v_lshl_add_u64 v[20:21], v[14:15], 3, v[20:21]
	s_and_not1_b32 vcc_lo, exec_lo, s34
	s_mov_b32 s31, -1
	s_delay_alu instid0(VALU_DEP_3) | instskip(NEXT) | instid1(VALU_DEP_1)
	v_pk_mul_f32 v[22:23], v[34:35], v[22:23] op_sel_hi:[0,1]
	v_pk_fma_f32 v[34:35], v[32:33], v[36:37], v[22:23] op_sel_hi:[0,1,1]
	v_pk_fma_f32 v[22:23], v[32:33], v[36:37], v[22:23] neg_lo:[0,0,1] neg_hi:[0,0,1]
	s_delay_alu instid0(VALU_DEP_2)
	v_mov_b32_e32 v23, v35
	s_cbranch_vccnz .LBB523_23
; %bb.22:                               ;   in Loop: Header=BB523_6 Depth=1
	flat_load_b64 v[32:33], v[20:21]
	v_mov_b64_e32 v[34:35], s[6:7]
	v_mov_b64_e32 v[36:37], s[2:3]
	s_mov_b32 s31, 0
	s_wait_loadcnt_dscnt 0x0
	s_delay_alu instid0(VALU_DEP_2) | instskip(NEXT) | instid1(VALU_DEP_1)
	v_pk_mul_f32 v[34:35], v[32:33], v[34:35]
	v_pk_fma_f32 v[38:39], v[32:33], v[36:37], v[34:35] op_sel:[0,0,1] op_sel_hi:[1,1,0]
	v_pk_fma_f32 v[32:33], v[32:33], v[36:37], v[34:35] op_sel:[0,0,1] op_sel_hi:[1,1,0] neg_lo:[0,0,1] neg_hi:[0,0,1]
	s_delay_alu instid0(VALU_DEP_2) | instskip(NEXT) | instid1(VALU_DEP_1)
	v_mov_b32_e32 v33, v39
	v_pk_add_f32 v[32:33], v[22:23], v[32:33]
	flat_store_b64 v[20:21], v[32:33]
.LBB523_23:                             ;   in Loop: Header=BB523_6 Depth=1
	s_and_not1_b32 vcc_lo, exec_lo, s31
	s_cbranch_vccnz .LBB523_25
; %bb.24:                               ;   in Loop: Header=BB523_6 Depth=1
	flat_store_b64 v[20:21], v[22:23]
.LBB523_25:                             ;   in Loop: Header=BB523_6 Depth=1
	s_wait_xcnt 0x0
	s_or_b32 exec_lo, exec_lo, s30
	v_lshl_add_u64 v[18:19], v[12:13], 3, v[18:19]
	s_and_saveexec_b32 s30, s37
	s_cbranch_execz .LBB523_30
; %bb.26:                               ;   in Loop: Header=BB523_6 Depth=1
	v_mov_b64_e32 v[20:21], s[4:5]
	v_mov_b64_e32 v[22:23], s[18:19]
	s_and_not1_b32 vcc_lo, exec_lo, s34
	s_mov_b32 s31, -1
	s_delay_alu instid0(VALU_DEP_2) | instskip(NEXT) | instid1(VALU_DEP_1)
	v_pk_mul_f32 v[20:21], v[30:31], v[20:21] op_sel_hi:[0,1]
	v_pk_fma_f32 v[30:31], v[28:29], v[22:23], v[20:21] op_sel_hi:[0,1,1]
	v_pk_fma_f32 v[20:21], v[28:29], v[22:23], v[20:21] neg_lo:[0,0,1] neg_hi:[0,0,1]
	v_lshl_add_u64 v[22:23], v[8:9], 3, v[18:19]
	s_delay_alu instid0(VALU_DEP_3)
	v_mov_b32_e32 v21, v31
	s_cbranch_vccnz .LBB523_28
; %bb.27:                               ;   in Loop: Header=BB523_6 Depth=1
	flat_load_b64 v[28:29], v[22:23]
	v_mov_b64_e32 v[30:31], s[6:7]
	v_mov_b64_e32 v[32:33], s[2:3]
	s_mov_b32 s31, 0
	s_wait_loadcnt_dscnt 0x0
	s_delay_alu instid0(VALU_DEP_2) | instskip(NEXT) | instid1(VALU_DEP_1)
	v_pk_mul_f32 v[30:31], v[28:29], v[30:31]
	v_pk_fma_f32 v[34:35], v[28:29], v[32:33], v[30:31] op_sel:[0,0,1] op_sel_hi:[1,1,0]
	v_pk_fma_f32 v[28:29], v[28:29], v[32:33], v[30:31] op_sel:[0,0,1] op_sel_hi:[1,1,0] neg_lo:[0,0,1] neg_hi:[0,0,1]
	s_delay_alu instid0(VALU_DEP_2) | instskip(NEXT) | instid1(VALU_DEP_1)
	v_mov_b32_e32 v29, v35
	v_pk_add_f32 v[28:29], v[20:21], v[28:29]
	flat_store_b64 v[22:23], v[28:29]
.LBB523_28:                             ;   in Loop: Header=BB523_6 Depth=1
	s_and_not1_b32 vcc_lo, exec_lo, s31
	s_cbranch_vccnz .LBB523_30
; %bb.29:                               ;   in Loop: Header=BB523_6 Depth=1
	flat_store_b64 v[22:23], v[20:21]
.LBB523_30:                             ;   in Loop: Header=BB523_6 Depth=1
	s_wait_xcnt 0x0
	s_or_b32 exec_lo, exec_lo, s30
	s_and_saveexec_b32 s30, s38
	s_cbranch_execz .LBB523_5
; %bb.31:                               ;   in Loop: Header=BB523_6 Depth=1
	v_mov_b64_e32 v[20:21], s[4:5]
	v_mov_b64_e32 v[22:23], s[18:19]
	v_lshl_add_u64 v[18:19], v[14:15], 3, v[18:19]
	s_and_not1_b32 vcc_lo, exec_lo, s34
	s_mov_b32 s31, -1
	s_delay_alu instid0(VALU_DEP_3) | instskip(NEXT) | instid1(VALU_DEP_1)
	v_pk_mul_f32 v[20:21], v[26:27], v[20:21] op_sel_hi:[0,1]
	v_pk_fma_f32 v[28:29], v[24:25], v[22:23], v[20:21] op_sel_hi:[0,1,1]
	v_pk_fma_f32 v[20:21], v[24:25], v[22:23], v[20:21] neg_lo:[0,0,1] neg_hi:[0,0,1]
	s_delay_alu instid0(VALU_DEP_2)
	v_mov_b32_e32 v21, v29
	s_cbranch_vccnz .LBB523_33
; %bb.32:                               ;   in Loop: Header=BB523_6 Depth=1
	flat_load_b64 v[22:23], v[18:19]
	v_mov_b64_e32 v[28:29], s[6:7]
	v_mov_b64_e32 v[30:31], s[2:3]
	s_mov_b32 s31, 0
	s_wait_loadcnt_dscnt 0x0
	s_delay_alu instid0(VALU_DEP_2) | instskip(NEXT) | instid1(VALU_DEP_1)
	v_pk_mul_f32 v[28:29], v[22:23], v[28:29]
	v_pk_fma_f32 v[32:33], v[22:23], v[30:31], v[28:29] op_sel:[0,0,1] op_sel_hi:[1,1,0]
	v_pk_fma_f32 v[22:23], v[22:23], v[30:31], v[28:29] op_sel:[0,0,1] op_sel_hi:[1,1,0] neg_lo:[0,0,1] neg_hi:[0,0,1]
	s_delay_alu instid0(VALU_DEP_2) | instskip(NEXT) | instid1(VALU_DEP_1)
	v_mov_b32_e32 v23, v33
	v_pk_add_f32 v[22:23], v[20:21], v[22:23]
	flat_store_b64 v[18:19], v[22:23]
.LBB523_33:                             ;   in Loop: Header=BB523_6 Depth=1
	s_and_not1_b32 vcc_lo, exec_lo, s31
	s_cbranch_vccnz .LBB523_5
; %bb.34:                               ;   in Loop: Header=BB523_6 Depth=1
	flat_store_b64 v[18:19], v[20:21]
	s_branch .LBB523_5
.LBB523_35:
	s_sendmsg sendmsg(MSG_DEALLOC_VGPRS)
	s_endpgm
	.section	.rodata,"a",@progbits
	.p2align	6, 0x0
	.amdhsa_kernel _ZL29rocblas_internal_gemmt_kernelIlLi16ELi32ELi8ELc78ELc84ELc85ELb0ELb0E19rocblas_complex_numIfES1_PKPKS1_PKPS1_EviT_T9_T10_S9_lSB_S9_lSA_T11_S9_li
		.amdhsa_group_segment_fixed_size 4096
		.amdhsa_private_segment_fixed_size 0
		.amdhsa_kernarg_size 108
		.amdhsa_user_sgpr_count 2
		.amdhsa_user_sgpr_dispatch_ptr 0
		.amdhsa_user_sgpr_queue_ptr 0
		.amdhsa_user_sgpr_kernarg_segment_ptr 1
		.amdhsa_user_sgpr_dispatch_id 0
		.amdhsa_user_sgpr_kernarg_preload_length 0
		.amdhsa_user_sgpr_kernarg_preload_offset 0
		.amdhsa_user_sgpr_private_segment_size 0
		.amdhsa_wavefront_size32 1
		.amdhsa_uses_dynamic_stack 0
		.amdhsa_enable_private_segment 0
		.amdhsa_system_sgpr_workgroup_id_x 1
		.amdhsa_system_sgpr_workgroup_id_y 1
		.amdhsa_system_sgpr_workgroup_id_z 1
		.amdhsa_system_sgpr_workgroup_info 0
		.amdhsa_system_vgpr_workitem_id 1
		.amdhsa_next_free_vgpr 72
		.amdhsa_next_free_sgpr 42
		.amdhsa_named_barrier_count 0
		.amdhsa_reserve_vcc 1
		.amdhsa_float_round_mode_32 0
		.amdhsa_float_round_mode_16_64 0
		.amdhsa_float_denorm_mode_32 3
		.amdhsa_float_denorm_mode_16_64 3
		.amdhsa_fp16_overflow 0
		.amdhsa_memory_ordered 1
		.amdhsa_forward_progress 1
		.amdhsa_inst_pref_size 26
		.amdhsa_round_robin_scheduling 0
		.amdhsa_exception_fp_ieee_invalid_op 0
		.amdhsa_exception_fp_denorm_src 0
		.amdhsa_exception_fp_ieee_div_zero 0
		.amdhsa_exception_fp_ieee_overflow 0
		.amdhsa_exception_fp_ieee_underflow 0
		.amdhsa_exception_fp_ieee_inexact 0
		.amdhsa_exception_int_div_zero 0
	.end_amdhsa_kernel
	.section	.text._ZL29rocblas_internal_gemmt_kernelIlLi16ELi32ELi8ELc78ELc84ELc85ELb0ELb0E19rocblas_complex_numIfES1_PKPKS1_PKPS1_EviT_T9_T10_S9_lSB_S9_lSA_T11_S9_li,"axG",@progbits,_ZL29rocblas_internal_gemmt_kernelIlLi16ELi32ELi8ELc78ELc84ELc85ELb0ELb0E19rocblas_complex_numIfES1_PKPKS1_PKPS1_EviT_T9_T10_S9_lSB_S9_lSA_T11_S9_li,comdat
.Lfunc_end523:
	.size	_ZL29rocblas_internal_gemmt_kernelIlLi16ELi32ELi8ELc78ELc84ELc85ELb0ELb0E19rocblas_complex_numIfES1_PKPKS1_PKPS1_EviT_T9_T10_S9_lSB_S9_lSA_T11_S9_li, .Lfunc_end523-_ZL29rocblas_internal_gemmt_kernelIlLi16ELi32ELi8ELc78ELc84ELc85ELb0ELb0E19rocblas_complex_numIfES1_PKPKS1_PKPS1_EviT_T9_T10_S9_lSB_S9_lSA_T11_S9_li
                                        ; -- End function
	.set _ZL29rocblas_internal_gemmt_kernelIlLi16ELi32ELi8ELc78ELc84ELc85ELb0ELb0E19rocblas_complex_numIfES1_PKPKS1_PKPS1_EviT_T9_T10_S9_lSB_S9_lSA_T11_S9_li.num_vgpr, 72
	.set _ZL29rocblas_internal_gemmt_kernelIlLi16ELi32ELi8ELc78ELc84ELc85ELb0ELb0E19rocblas_complex_numIfES1_PKPKS1_PKPS1_EviT_T9_T10_S9_lSB_S9_lSA_T11_S9_li.num_agpr, 0
	.set _ZL29rocblas_internal_gemmt_kernelIlLi16ELi32ELi8ELc78ELc84ELc85ELb0ELb0E19rocblas_complex_numIfES1_PKPKS1_PKPS1_EviT_T9_T10_S9_lSB_S9_lSA_T11_S9_li.numbered_sgpr, 42
	.set _ZL29rocblas_internal_gemmt_kernelIlLi16ELi32ELi8ELc78ELc84ELc85ELb0ELb0E19rocblas_complex_numIfES1_PKPKS1_PKPS1_EviT_T9_T10_S9_lSB_S9_lSA_T11_S9_li.num_named_barrier, 0
	.set _ZL29rocblas_internal_gemmt_kernelIlLi16ELi32ELi8ELc78ELc84ELc85ELb0ELb0E19rocblas_complex_numIfES1_PKPKS1_PKPS1_EviT_T9_T10_S9_lSB_S9_lSA_T11_S9_li.private_seg_size, 0
	.set _ZL29rocblas_internal_gemmt_kernelIlLi16ELi32ELi8ELc78ELc84ELc85ELb0ELb0E19rocblas_complex_numIfES1_PKPKS1_PKPS1_EviT_T9_T10_S9_lSB_S9_lSA_T11_S9_li.uses_vcc, 1
	.set _ZL29rocblas_internal_gemmt_kernelIlLi16ELi32ELi8ELc78ELc84ELc85ELb0ELb0E19rocblas_complex_numIfES1_PKPKS1_PKPS1_EviT_T9_T10_S9_lSB_S9_lSA_T11_S9_li.uses_flat_scratch, 0
	.set _ZL29rocblas_internal_gemmt_kernelIlLi16ELi32ELi8ELc78ELc84ELc85ELb0ELb0E19rocblas_complex_numIfES1_PKPKS1_PKPS1_EviT_T9_T10_S9_lSB_S9_lSA_T11_S9_li.has_dyn_sized_stack, 0
	.set _ZL29rocblas_internal_gemmt_kernelIlLi16ELi32ELi8ELc78ELc84ELc85ELb0ELb0E19rocblas_complex_numIfES1_PKPKS1_PKPS1_EviT_T9_T10_S9_lSB_S9_lSA_T11_S9_li.has_recursion, 0
	.set _ZL29rocblas_internal_gemmt_kernelIlLi16ELi32ELi8ELc78ELc84ELc85ELb0ELb0E19rocblas_complex_numIfES1_PKPKS1_PKPS1_EviT_T9_T10_S9_lSB_S9_lSA_T11_S9_li.has_indirect_call, 0
	.section	.AMDGPU.csdata,"",@progbits
; Kernel info:
; codeLenInByte = 3224
; TotalNumSgprs: 44
; NumVgprs: 72
; ScratchSize: 0
; MemoryBound: 0
; FloatMode: 240
; IeeeMode: 1
; LDSByteSize: 4096 bytes/workgroup (compile time only)
; SGPRBlocks: 0
; VGPRBlocks: 4
; NumSGPRsForWavesPerEU: 44
; NumVGPRsForWavesPerEU: 72
; NamedBarCnt: 0
; Occupancy: 12
; WaveLimiterHint : 1
; COMPUTE_PGM_RSRC2:SCRATCH_EN: 0
; COMPUTE_PGM_RSRC2:USER_SGPR: 2
; COMPUTE_PGM_RSRC2:TRAP_HANDLER: 0
; COMPUTE_PGM_RSRC2:TGID_X_EN: 1
; COMPUTE_PGM_RSRC2:TGID_Y_EN: 1
; COMPUTE_PGM_RSRC2:TGID_Z_EN: 1
; COMPUTE_PGM_RSRC2:TIDIG_COMP_CNT: 1
	.section	.text._ZL29rocblas_internal_gemmt_kernelIlLi16ELi32ELi8ELc78ELc67ELc85ELb0ELb1E19rocblas_complex_numIfES1_PKPKS1_PKPS1_EviT_T9_T10_S9_lSB_S9_lSA_T11_S9_li,"axG",@progbits,_ZL29rocblas_internal_gemmt_kernelIlLi16ELi32ELi8ELc78ELc67ELc85ELb0ELb1E19rocblas_complex_numIfES1_PKPKS1_PKPS1_EviT_T9_T10_S9_lSB_S9_lSA_T11_S9_li,comdat
	.globl	_ZL29rocblas_internal_gemmt_kernelIlLi16ELi32ELi8ELc78ELc67ELc85ELb0ELb1E19rocblas_complex_numIfES1_PKPKS1_PKPS1_EviT_T9_T10_S9_lSB_S9_lSA_T11_S9_li ; -- Begin function _ZL29rocblas_internal_gemmt_kernelIlLi16ELi32ELi8ELc78ELc67ELc85ELb0ELb1E19rocblas_complex_numIfES1_PKPKS1_PKPS1_EviT_T9_T10_S9_lSB_S9_lSA_T11_S9_li
	.p2align	8
	.type	_ZL29rocblas_internal_gemmt_kernelIlLi16ELi32ELi8ELc78ELc67ELc85ELb0ELb1E19rocblas_complex_numIfES1_PKPKS1_PKPS1_EviT_T9_T10_S9_lSB_S9_lSA_T11_S9_li,@function
_ZL29rocblas_internal_gemmt_kernelIlLi16ELi32ELi8ELc78ELc67ELc85ELb0ELb1E19rocblas_complex_numIfES1_PKPKS1_PKPS1_EviT_T9_T10_S9_lSB_S9_lSA_T11_S9_li: ; @_ZL29rocblas_internal_gemmt_kernelIlLi16ELi32ELi8ELc78ELc67ELc85ELb0ELb1E19rocblas_complex_numIfES1_PKPKS1_PKPS1_EviT_T9_T10_S9_lSB_S9_lSA_T11_S9_li
; %bb.0:
	s_clause 0x1
	s_load_b64 s[6:7], s[0:1], 0x48
	s_load_b128 s[16:19], s[0:1], 0x8
	s_wait_kmcnt 0x0
	s_cmp_neq_f32 s6, 1.0
	s_cselect_b32 s2, -1, 0
	s_and_b32 s4, s7, 0x7fffffff
	s_delay_alu instid0(SALU_CYCLE_1) | instskip(SKIP_3) | instid1(SALU_CYCLE_1)
	s_cmp_eq_u32 s4, 0
	s_cselect_b32 s3, -1, 0
	s_cmp_lg_u32 s4, 0
	s_cselect_b32 s4, -1, 0
	s_or_b32 s2, s2, s4
	s_delay_alu instid0(SALU_CYCLE_1)
	s_and_b32 vcc_lo, exec_lo, s2
	s_cbranch_vccnz .LBB524_2
; %bb.1:
	s_cmp_lg_u64 s[16:17], 0
	s_cselect_b32 s2, -1, 0
	s_cmp_neq_f32 s18, 0
	s_cselect_b32 s4, -1, 0
	s_cmp_neq_f32 s19, 0
	s_cselect_b32 s5, -1, 0
	s_delay_alu instid0(SALU_CYCLE_1) | instskip(NEXT) | instid1(SALU_CYCLE_1)
	s_or_b32 s4, s4, s5
	s_and_b32 s2, s2, s4
.LBB524_2:
	s_delay_alu instid0(SALU_CYCLE_1)
	s_and_not1_b32 vcc_lo, exec_lo, s2
	s_cbranch_vccnz .LBB524_37
; %bb.3:
	s_load_b32 s33, s[0:1], 0x68
	s_bfe_u32 s2, ttmp6, 0x40014
	s_lshr_b32 s4, ttmp7, 16
	s_add_co_i32 s2, s2, 1
	s_bfe_u32 s8, ttmp6, 0x40008
	s_mul_i32 s5, s4, s2
	s_getreg_b32 s2, hwreg(HW_REG_IB_STS2, 6, 4)
	s_add_co_i32 s8, s8, s5
	s_cmp_eq_u32 s2, 0
	s_mov_b32 s29, 0
	s_cselect_b32 s28, s4, s8
	s_wait_kmcnt 0x0
	s_cmp_ge_u32 s28, s33
	s_cbranch_scc1 .LBB524_37
; %bb.4:
	v_and_b32_e32 v9, 0x3ff, v0
	v_bfe_u32 v15, v0, 10, 10
	s_bfe_u32 s8, ttmp6, 0x4000c
	s_bfe_u32 s9, ttmp6, 0x40010
	s_and_b32 s20, ttmp7, 0xffff
	s_add_co_i32 s8, s8, 1
	s_add_co_i32 s9, s9, 1
	s_and_b32 s5, ttmp6, 15
	v_lshl_add_u32 v1, v15, 4, v9
	s_mul_i32 s8, ttmp9, s8
	s_mul_i32 s9, s20, s9
	s_bfe_u32 s10, ttmp6, 0x40004
	s_add_co_i32 s5, s5, s8
	s_add_co_i32 s21, s10, s9
	s_cmp_eq_u32 s2, 0
	v_dual_lshrrev_b32 v2, 5, v1 :: v_dual_bitop2_b32 v0, 7, v0 bitop3:0x40
	s_cselect_b32 s2, ttmp9, s5
	s_cselect_b32 s5, s20, s21
	v_dual_lshrrev_b32 v3, 3, v1 :: v_dual_bitop2_b32 v1, 31, v1 bitop3:0x40
	s_clause 0x1
	s_load_b128 s[20:23], s[0:1], 0x38
	s_load_b128 s[24:27], s[0:1], 0x50
	s_lshl_b32 s2, s2, 5
	s_lshl_b32 s5, s5, 5
	v_dual_lshlrev_b32 v5, 3, v0 :: v_dual_bitop2_b32 v4, s2, v1 bitop3:0x54
	v_add_nc_u32_e32 v6, s5, v3
	v_dual_add_nc_u32 v16, s5, v15 :: v_dual_lshlrev_b32 v1, 3, v1
	s_delay_alu instid0(VALU_DEP_3) | instskip(NEXT) | instid1(VALU_DEP_4)
	v_lshl_or_b32 v3, v3, 6, v5
	v_ashrrev_i32_e32 v5, 31, v4
	s_load_b32 s4, s[0:1], 0x0
	s_delay_alu instid0(VALU_DEP_3) | instskip(SKIP_3) | instid1(VALU_DEP_2)
	v_dual_add_nc_u32 v18, 16, v16 :: v_dual_ashrrev_i32 v17, 31, v16
	v_add_nc_u32_e32 v8, s2, v9
	s_cmp_neq_f32 s18, 0
	s_load_b256 s[8:15], s[0:1], 0x18
	v_ashrrev_i32_e32 v19, 31, v18
	s_load_b64 s[30:31], s[0:1], 0x60
	s_cselect_b32 s34, -1, 0
	s_cmp_neq_f32 s19, 0
	s_wait_kmcnt 0x0
	v_mul_u64_e32 v[10:11], s[26:27], v[16:17]
	v_mul_u64_e32 v[12:13], s[26:27], v[18:19]
	v_cmp_le_i32_e64 s2, v8, v16
	s_cselect_b32 s0, -1, 0
	v_add_nc_u32_e32 v14, 16, v8
	s_or_b32 s38, s34, s0
	s_cmp_neq_f32 s6, 0
	v_cmp_gt_i64_e64 s39, s[16:17], 0
	v_dual_ashrrev_i32 v7, 31, v6 :: v_dual_lshlrev_b32 v25, 3, v9
	v_cmp_gt_i32_e64 s1, s4, v16
	s_cselect_b32 s5, -1, 0
	s_xor_b32 s3, s3, -1
	v_cmp_gt_i32_e64 s0, s4, v4
	v_cmp_gt_i32_e32 vcc_lo, s4, v6
	s_or_b32 s34, s5, s3
	s_and_b32 s35, s1, s2
	v_cmp_gt_i32_e64 s3, s4, v18
	v_cmp_le_i32_e64 s4, v8, v18
	v_ashrrev_i32_e32 v9, 31, v8
	v_cmp_le_i32_e64 s2, v14, v16
	v_cmp_le_i32_e64 s5, v14, v18
	v_lshl_or_b32 v1, v2, 8, v1
	v_add_nc_u32_e32 v3, 0x800, v3
	v_lshl_add_u32 v27, v15, 6, 0x800
	v_dual_ashrrev_i32 v15, 31, v14 :: v_dual_mov_b32 v17, 0
	s_and_b32 s1, s1, s2
	s_and_b32 s36, s3, s4
	;; [unrolled: 1-line block ×3, first 2 shown]
	s_mov_b32 s2, s6
	s_mov_b32 s3, s6
	;; [unrolled: 1-line block ×5, first 2 shown]
	s_and_b32 s38, s38, s39
	s_lshl_b64 s[22:23], s[22:23], 3
	s_lshl_b64 s[12:13], s[12:13], 3
	s_xor_b32 s39, vcc_lo, -1
	s_lshl_b64 s[26:27], s[30:31], 3
	s_branch .LBB524_6
.LBB524_5:                              ;   in Loop: Header=BB524_6 Depth=1
	s_wait_xcnt 0x0
	s_or_b32 exec_lo, exec_lo, s30
	s_add_co_i32 s28, s28, 0x10000
	s_delay_alu instid0(SALU_CYCLE_1)
	s_cmp_lt_u32 s28, s33
	s_cbranch_scc0 .LBB524_37
.LBB524_6:                              ; =>This Loop Header: Depth=1
                                        ;     Child Loop BB524_9 Depth 2
	v_dual_mov_b32 v16, s28 :: v_dual_mov_b32 v36, v17
	v_dual_mov_b32 v38, v17 :: v_dual_mov_b32 v32, v17
	;; [unrolled: 1-line block ×3, first 2 shown]
	global_load_b64 v[18:19], v16, s[24:25] scale_offset
	v_dual_mov_b32 v30, v17 :: v_dual_mov_b32 v24, v17
	v_mov_b32_e32 v26, v17
	s_and_not1_b32 vcc_lo, exec_lo, s38
	s_cbranch_vccnz .LBB524_17
; %bb.7:                                ;   in Loop: Header=BB524_6 Depth=1
	s_lshl_b64 s[30:31], s[28:29], 3
	v_dual_mov_b32 v26, 0 :: v_dual_mov_b32 v24, 0
	s_add_nc_u64 s[40:41], s[8:9], s[30:31]
	s_add_nc_u64 s[30:31], s[14:15], s[30:31]
	s_clause 0x1
	global_load_b64 v[20:21], v17, s[40:41]
	global_load_b64 v[22:23], v17, s[30:31]
	v_dual_mov_b32 v30, 0 :: v_dual_mov_b32 v28, 0
	v_dual_mov_b32 v34, 0 :: v_dual_mov_b32 v32, 0
	v_dual_mov_b32 v38, 0 :: v_dual_mov_b32 v36, 0
	s_wait_xcnt 0x0
	s_mov_b64 s[30:31], 0
	s_wait_loadcnt 0x1
	v_add_nc_u64_e32 v[20:21], s[12:13], v[20:21]
	s_wait_loadcnt 0x0
	v_add_nc_u64_e32 v[22:23], s[22:23], v[22:23]
	s_delay_alu instid0(VALU_DEP_2) | instskip(NEXT) | instid1(VALU_DEP_2)
	v_lshl_add_u64 v[20:21], v[4:5], 3, v[20:21]
	v_lshl_add_u64 v[22:23], v[6:7], 3, v[22:23]
	s_branch .LBB524_9
.LBB524_8:                              ;   in Loop: Header=BB524_9 Depth=2
	s_wait_xcnt 0x0
	s_or_b32 exec_lo, exec_lo, s40
	ds_store_b32 v3, v29 offset:4
	s_wait_dscnt 0x0
	s_barrier_signal -1
	s_barrier_wait -1
	ds_load_b128 v[40:43], v27
	ds_load_2addr_b64 v[44:47], v25 offset1:16
	ds_load_b128 v[48:51], v27 offset:1024
	ds_load_b128 v[52:55], v27 offset:16
	;; [unrolled: 1-line block ×4, first 2 shown]
	ds_load_2addr_b64 v[64:67], v25 offset0:32 offset1:48
	ds_load_b128 v[68:71], v27 offset:1040
	s_add_nc_u64 s[30:31], s[30:31], 8
	s_delay_alu instid0(SALU_CYCLE_1)
	v_cmp_gt_i64_e64 s40, s[16:17], s[30:31]
	s_and_b32 vcc_lo, exec_lo, s40
	s_wait_dscnt 0x6
	v_dual_mul_f32 v16, v41, v45 :: v_dual_mul_f32 v29, v40, v45
	v_dual_mul_f32 v31, v41, v47 :: v_dual_mul_f32 v33, v40, v47
	s_wait_dscnt 0x5
	v_dual_mul_f32 v35, v49, v45 :: v_dual_mul_f32 v37, v48, v45
	v_dual_mul_f32 v39, v49, v47 :: v_dual_mul_f32 v45, v48, v47
	v_dual_fma_f32 v16, v40, v44, -v16 :: v_dual_fmac_f32 v29, v41, v44
	v_dual_fma_f32 v31, v40, v46, -v31 :: v_dual_fmac_f32 v33, v41, v46
	s_delay_alu instid0(VALU_DEP_4) | instskip(NEXT) | instid1(VALU_DEP_3)
	v_dual_fma_f32 v35, v48, v44, -v35 :: v_dual_fmac_f32 v37, v49, v44
	v_dual_add_f32 v16, v36, v16 :: v_dual_add_f32 v36, v38, v29
	v_fma_f32 v29, v48, v46, -v39
	s_delay_alu instid0(VALU_DEP_4) | instskip(NEXT) | instid1(VALU_DEP_4)
	v_dual_add_f32 v32, v32, v31 :: v_dual_add_f32 v33, v34, v33
	v_dual_add_f32 v34, v28, v35 :: v_dual_add_f32 v35, v30, v37
	s_wait_dscnt 0x1
	v_dual_mul_f32 v37, v43, v65 :: v_dual_fmac_f32 v45, v49, v46
	v_add_f32_e32 v24, v24, v29
	ds_load_2addr_b64 v[28:31], v25 offset0:64 offset1:80
	v_dual_mul_f32 v38, v42, v65 :: v_dual_fma_f32 v37, v42, v64, -v37
	v_dual_mul_f32 v39, v43, v67 :: v_dual_add_f32 v26, v26, v45
	s_delay_alu instid0(VALU_DEP_2) | instskip(NEXT) | instid1(VALU_DEP_2)
	v_dual_mul_f32 v40, v42, v67 :: v_dual_fmac_f32 v38, v43, v64
	v_dual_add_f32 v16, v16, v37 :: v_dual_fma_f32 v37, v42, v66, -v39
	v_mul_f32_e32 v39, v51, v65
	s_delay_alu instid0(VALU_DEP_3) | instskip(NEXT) | instid1(VALU_DEP_4)
	v_fmac_f32_e32 v40, v43, v66
	v_dual_add_f32 v36, v36, v38 :: v_dual_mul_f32 v38, v50, v65
	s_delay_alu instid0(VALU_DEP_3) | instskip(NEXT) | instid1(VALU_DEP_3)
	v_dual_add_f32 v37, v32, v37 :: v_dual_fma_f32 v32, v50, v64, -v39
	v_dual_mul_f32 v39, v51, v67 :: v_dual_add_f32 v40, v33, v40
	s_delay_alu instid0(VALU_DEP_3) | instskip(SKIP_1) | instid1(VALU_DEP_3)
	v_dual_fmac_f32 v38, v51, v64 :: v_dual_mul_f32 v41, v50, v67
	s_wait_dscnt 0x0
	v_dual_add_f32 v42, v34, v32 :: v_dual_mul_f32 v33, v53, v29
	s_delay_alu instid0(VALU_DEP_3) | instskip(NEXT) | instid1(VALU_DEP_3)
	v_fma_f32 v32, v50, v66, -v39
	v_dual_add_f32 v38, v35, v38 :: v_dual_mul_f32 v39, v52, v29
	v_fmac_f32_e32 v41, v51, v66
	s_delay_alu instid0(VALU_DEP_4) | instskip(NEXT) | instid1(VALU_DEP_4)
	v_fma_f32 v43, v52, v28, -v33
	v_dual_add_f32 v24, v24, v32 :: v_dual_mul_f32 v44, v53, v31
	ds_load_2addr_b64 v[32:35], v25 offset0:96 offset1:112
	v_dual_fmac_f32 v39, v53, v28 :: v_dual_add_f32 v26, v26, v41
	v_add_f32_e32 v16, v16, v43
	v_dual_mul_f32 v41, v52, v31 :: v_dual_fma_f32 v43, v52, v30, -v44
	s_delay_alu instid0(VALU_DEP_3) | instskip(NEXT) | instid1(VALU_DEP_2)
	v_dual_add_f32 v36, v36, v39 :: v_dual_mul_f32 v39, v69, v29
	v_dual_mul_f32 v29, v68, v29 :: v_dual_fmac_f32 v41, v53, v30
	s_delay_alu instid0(VALU_DEP_3) | instskip(NEXT) | instid1(VALU_DEP_3)
	v_add_f32_e32 v37, v37, v43
	v_dual_mul_f32 v43, v69, v31 :: v_dual_fma_f32 v39, v68, v28, -v39
	s_delay_alu instid0(VALU_DEP_3) | instskip(NEXT) | instid1(VALU_DEP_4)
	v_dual_fmac_f32 v29, v69, v28 :: v_dual_mul_f32 v44, v68, v31
	v_add_f32_e32 v40, v40, v41
	s_delay_alu instid0(VALU_DEP_3) | instskip(NEXT) | instid1(VALU_DEP_3)
	v_dual_fma_f32 v28, v68, v30, -v43 :: v_dual_add_f32 v41, v42, v39
	v_dual_add_f32 v42, v38, v29 :: v_dual_fmac_f32 v44, v69, v30
	s_wait_dscnt 0x0
	s_delay_alu instid0(VALU_DEP_2) | instskip(SKIP_2) | instid1(VALU_DEP_1)
	v_dual_mul_f32 v38, v55, v33 :: v_dual_add_f32 v24, v24, v28
	ds_load_2addr_b64 v[28:31], v25 offset0:128 offset1:144
	v_dual_mul_f32 v39, v54, v33 :: v_dual_mul_f32 v43, v55, v35
	v_dual_fma_f32 v38, v54, v32, -v38 :: v_dual_fmac_f32 v39, v55, v32
	s_delay_alu instid0(VALU_DEP_1) | instskip(NEXT) | instid1(VALU_DEP_3)
	v_dual_add_f32 v26, v26, v44 :: v_dual_add_f32 v16, v16, v38
	v_dual_mul_f32 v44, v54, v35 :: v_dual_fma_f32 v43, v54, v34, -v43
	s_delay_alu instid0(VALU_DEP_3) | instskip(NEXT) | instid1(VALU_DEP_2)
	v_dual_mul_f32 v38, v71, v33 :: v_dual_add_f32 v45, v36, v39
	v_dual_mul_f32 v33, v70, v33 :: v_dual_fmac_f32 v44, v55, v34
	s_delay_alu instid0(VALU_DEP_2)
	v_dual_add_f32 v46, v37, v43 :: v_dual_fma_f32 v43, v70, v32, -v38
	v_mul_f32_e32 v47, v71, v35
	ds_load_b128 v[36:39], v27 offset:1056
	v_add_f32_e32 v44, v40, v44
	v_dual_fmac_f32 v33, v71, v32 :: v_dual_mul_f32 v40, v70, v35
	v_dual_fma_f32 v32, v70, v34, -v47 :: v_dual_add_f32 v47, v41, v43
	s_wait_dscnt 0x1
	v_mul_f32_e32 v35, v57, v29
	s_delay_alu instid0(VALU_DEP_3) | instskip(NEXT) | instid1(VALU_DEP_3)
	v_dual_add_f32 v48, v42, v33 :: v_dual_fmac_f32 v40, v71, v34
	v_add_f32_e32 v24, v24, v32
	s_delay_alu instid0(VALU_DEP_3) | instskip(NEXT) | instid1(VALU_DEP_3)
	v_dual_mul_f32 v49, v56, v29 :: v_dual_fma_f32 v41, v56, v28, -v35
	v_dual_mul_f32 v42, v57, v31 :: v_dual_add_f32 v26, v26, v40
	ds_load_2addr_b64 v[32:35], v25 offset0:160 offset1:176
	v_dual_fmac_f32 v49, v57, v28 :: v_dual_add_f32 v16, v16, v41
	v_dual_fma_f32 v50, v56, v30, -v42 :: v_dual_mul_f32 v51, v56, v31
	ds_load_b128 v[40:43], v27 offset:1072
	s_wait_dscnt 0x2
	v_dual_mul_f32 v52, v37, v29 :: v_dual_mul_f32 v29, v36, v29
	v_dual_add_f32 v45, v45, v49 :: v_dual_add_f32 v46, v46, v50
	s_delay_alu instid0(VALU_DEP_2) | instskip(NEXT) | instid1(VALU_DEP_3)
	v_dual_fmac_f32 v51, v57, v30 :: v_dual_fma_f32 v49, v36, v28, -v52
	v_dual_mul_f32 v50, v37, v31 :: v_dual_fmac_f32 v29, v37, v28
	s_delay_alu instid0(VALU_DEP_2) | instskip(NEXT) | instid1(VALU_DEP_2)
	v_dual_add_f32 v44, v44, v51 :: v_dual_add_f32 v47, v47, v49
	v_dual_mul_f32 v51, v36, v31 :: v_dual_fma_f32 v28, v36, v30, -v50
	s_delay_alu instid0(VALU_DEP_3) | instskip(SKIP_2) | instid1(VALU_DEP_3)
	v_add_f32_e32 v36, v48, v29
	s_wait_dscnt 0x1
	v_dual_mul_f32 v48, v59, v33 :: v_dual_mul_f32 v49, v59, v35
	v_dual_fmac_f32 v51, v37, v30 :: v_dual_add_f32 v24, v24, v28
	ds_load_2addr_b64 v[28:31], v25 offset0:192 offset1:208
	v_dual_mul_f32 v37, v58, v33 :: v_dual_fma_f32 v48, v58, v32, -v48
	s_delay_alu instid0(VALU_DEP_1) | instskip(NEXT) | instid1(VALU_DEP_2)
	v_dual_mul_f32 v50, v58, v35 :: v_dual_fmac_f32 v37, v59, v32
	v_dual_add_f32 v26, v26, v51 :: v_dual_add_f32 v16, v16, v48
	s_delay_alu instid0(VALU_DEP_2) | instskip(NEXT) | instid1(VALU_DEP_3)
	v_dual_fma_f32 v48, v58, v34, -v49 :: v_dual_fmac_f32 v50, v59, v34
	v_add_f32_e32 v37, v45, v37
	v_dual_mul_f32 v45, v39, v33 :: v_dual_mul_f32 v33, v38, v33
	s_delay_alu instid0(VALU_DEP_3) | instskip(NEXT) | instid1(VALU_DEP_2)
	v_dual_add_f32 v48, v46, v48 :: v_dual_mul_f32 v46, v39, v35
	v_dual_add_f32 v49, v44, v50 :: v_dual_fma_f32 v45, v38, v32, -v45
	s_delay_alu instid0(VALU_DEP_3) | instskip(SKIP_1) | instid1(VALU_DEP_3)
	v_dual_fmac_f32 v33, v39, v32 :: v_dual_mul_f32 v32, v38, v35
	s_wait_dscnt 0x0
	v_dual_fma_f32 v35, v38, v34, -v46 :: v_dual_mul_f32 v44, v61, v29
	s_delay_alu instid0(VALU_DEP_3) | instskip(NEXT) | instid1(VALU_DEP_3)
	v_add_f32_e32 v38, v47, v45
	v_dual_fmac_f32 v32, v39, v34 :: v_dual_mul_f32 v34, v60, v29
	s_delay_alu instid0(VALU_DEP_3) | instskip(NEXT) | instid1(VALU_DEP_4)
	v_add_f32_e32 v24, v24, v35
	v_fma_f32 v35, v60, v28, -v44
	ds_load_2addr_b64 v[44:47], v25 offset0:224 offset1:240
	v_dual_add_f32 v33, v36, v33 :: v_dual_add_f32 v26, v26, v32
	v_dual_mul_f32 v32, v61, v31 :: v_dual_fmac_f32 v34, v61, v28
	v_dual_add_f32 v16, v16, v35 :: v_dual_mul_f32 v36, v41, v29
	s_delay_alu instid0(VALU_DEP_2) | instskip(NEXT) | instid1(VALU_DEP_3)
	v_dual_mul_f32 v35, v60, v31 :: v_dual_fma_f32 v32, v60, v30, -v32
	v_dual_mul_f32 v29, v40, v29 :: v_dual_add_f32 v34, v37, v34
	s_delay_alu instid0(VALU_DEP_2) | instskip(NEXT) | instid1(VALU_DEP_3)
	v_dual_fma_f32 v36, v40, v28, -v36 :: v_dual_fmac_f32 v35, v61, v30
	v_add_f32_e32 v32, v48, v32
	s_delay_alu instid0(VALU_DEP_3) | instskip(SKIP_1) | instid1(VALU_DEP_4)
	v_dual_fmac_f32 v29, v41, v28 :: v_dual_mul_f32 v28, v41, v31
	v_mul_f32_e32 v31, v40, v31
	v_dual_add_f32 v35, v49, v35 :: v_dual_add_f32 v37, v38, v36
	s_delay_alu instid0(VALU_DEP_3) | instskip(SKIP_3) | instid1(VALU_DEP_3)
	v_dual_add_f32 v29, v33, v29 :: v_dual_fma_f32 v28, v40, v30, -v28
	s_wait_dscnt 0x0
	v_dual_mul_f32 v33, v63, v45 :: v_dual_mul_f32 v38, v62, v45
	v_dual_fmac_f32 v31, v41, v30 :: v_dual_mul_f32 v30, v63, v47
	v_add_f32_e32 v24, v24, v28
	s_delay_alu instid0(VALU_DEP_3) | instskip(NEXT) | instid1(VALU_DEP_3)
	v_dual_fma_f32 v28, v62, v44, -v33 :: v_dual_fmac_f32 v38, v63, v44
	v_dual_mul_f32 v33, v62, v47 :: v_dual_fma_f32 v30, v62, v46, -v30
	s_delay_alu instid0(VALU_DEP_2) | instskip(NEXT) | instid1(VALU_DEP_3)
	v_dual_add_f32 v26, v26, v31 :: v_dual_add_f32 v36, v16, v28
	v_dual_add_f32 v38, v34, v38 :: v_dual_mul_f32 v16, v43, v45
	s_delay_alu instid0(VALU_DEP_3) | instskip(NEXT) | instid1(VALU_DEP_4)
	v_fmac_f32_e32 v33, v63, v46
	v_dual_add_f32 v32, v32, v30 :: v_dual_mul_f32 v28, v43, v47
	v_dual_mul_f32 v30, v42, v45 :: v_dual_mul_f32 v31, v42, v47
	s_delay_alu instid0(VALU_DEP_3) | instskip(NEXT) | instid1(VALU_DEP_2)
	v_dual_add_f32 v34, v35, v33 :: v_dual_fma_f32 v16, v42, v44, -v16
	v_dual_fma_f32 v33, v42, v46, -v28 :: v_dual_fmac_f32 v30, v43, v44
	s_delay_alu instid0(VALU_DEP_3) | instskip(NEXT) | instid1(VALU_DEP_2)
	v_fmac_f32_e32 v31, v43, v46
	v_dual_add_f32 v28, v37, v16 :: v_dual_add_f32 v24, v24, v33
	s_delay_alu instid0(VALU_DEP_2)
	v_dual_add_f32 v30, v29, v30 :: v_dual_add_f32 v26, v26, v31
	s_barrier_signal -1
	s_barrier_wait -1
	s_cbranch_vccz .LBB524_17
.LBB524_9:                              ;   Parent Loop BB524_6 Depth=1
                                        ; =>  This Inner Loop Header: Depth=2
	v_dual_mov_b32 v40, 0 :: v_dual_mov_b32 v41, 0
	s_and_saveexec_b32 s40, s0
	s_cbranch_execz .LBB524_13
; %bb.10:                               ;   in Loop: Header=BB524_9 Depth=2
	v_dual_mov_b32 v41, 0 :: v_dual_add_nc_u32 v16, s30, v2
	v_mov_b32_e32 v40, 0
	s_mov_b32 s41, exec_lo
	s_delay_alu instid0(VALU_DEP_2)
	v_cmpx_gt_u64_e64 s[16:17], v[16:17]
	s_cbranch_execz .LBB524_12
; %bb.11:                               ;   in Loop: Header=BB524_9 Depth=2
	v_mul_u64_e32 v[40:41], s[10:11], v[16:17]
	s_delay_alu instid0(VALU_DEP_1)
	v_lshl_add_u64 v[40:41], v[40:41], 3, v[20:21]
	flat_load_b64 v[40:41], v[40:41]
.LBB524_12:                             ;   in Loop: Header=BB524_9 Depth=2
	s_wait_xcnt 0x0
	s_or_b32 exec_lo, exec_lo, s41
.LBB524_13:                             ;   in Loop: Header=BB524_9 Depth=2
	s_delay_alu instid0(SALU_CYCLE_1)
	s_or_b32 exec_lo, exec_lo, s40
	v_add_nc_u32_e32 v16, s30, v0
	s_wait_loadcnt_dscnt 0x0
	ds_store_b64 v1, v[40:41]
	v_cmp_le_u64_e32 vcc_lo, s[16:17], v[16:17]
	s_or_b32 s40, vcc_lo, s39
	s_delay_alu instid0(SALU_CYCLE_1) | instskip(NEXT) | instid1(SALU_CYCLE_1)
	s_and_saveexec_b32 s41, s40
	s_xor_b32 s40, exec_lo, s41
; %bb.14:                               ;   in Loop: Header=BB524_9 Depth=2
	ds_store_b32 v3, v17
; %bb.15:                               ;   in Loop: Header=BB524_9 Depth=2
	s_or_saveexec_b32 s40, s40
	v_mov_b32_e32 v29, 0
	s_xor_b32 exec_lo, exec_lo, s40
	s_cbranch_execz .LBB524_8
; %bb.16:                               ;   in Loop: Header=BB524_9 Depth=2
	v_mul_u64_e32 v[40:41], s[20:21], v[16:17]
	s_delay_alu instid0(VALU_DEP_1)
	v_lshl_add_u64 v[40:41], v[40:41], 3, v[22:23]
	flat_load_b64 v[40:41], v[40:41]
	s_wait_loadcnt_dscnt 0x0
	v_xor_b32_e32 v29, 0x80000000, v41
	ds_store_b32 v3, v40
	s_branch .LBB524_8
.LBB524_17:                             ;   in Loop: Header=BB524_6 Depth=1
	s_wait_loadcnt 0x0
	v_add_nc_u64_e32 v[18:19], s[26:27], v[18:19]
	s_delay_alu instid0(VALU_DEP_1)
	v_lshl_add_u64 v[20:21], v[10:11], 3, v[18:19]
	s_wait_xcnt 0x0
	s_and_saveexec_b32 s30, s35
	s_cbranch_execz .LBB524_22
; %bb.18:                               ;   in Loop: Header=BB524_6 Depth=1
	v_mov_b64_e32 v[22:23], s[4:5]
	v_mov_b64_e32 v[40:41], s[18:19]
	s_and_b32 vcc_lo, exec_lo, s34
	s_mov_b32 s31, -1
	s_delay_alu instid0(VALU_DEP_2) | instskip(NEXT) | instid1(VALU_DEP_1)
	v_pk_mul_f32 v[22:23], v[38:39], v[22:23] op_sel_hi:[0,1]
	v_pk_fma_f32 v[38:39], v[36:37], v[40:41], v[22:23] op_sel_hi:[0,1,1]
	v_pk_fma_f32 v[22:23], v[36:37], v[40:41], v[22:23] neg_lo:[0,0,1] neg_hi:[0,0,1]
	v_lshl_add_u64 v[36:37], v[8:9], 3, v[20:21]
	s_delay_alu instid0(VALU_DEP_3)
	v_mov_b32_e32 v23, v39
	s_cbranch_vccz .LBB524_20
; %bb.19:                               ;   in Loop: Header=BB524_6 Depth=1
	flat_load_b64 v[38:39], v[36:37]
	v_mov_b64_e32 v[40:41], s[6:7]
	v_mov_b64_e32 v[42:43], s[2:3]
	s_mov_b32 s31, 0
	s_wait_loadcnt_dscnt 0x0
	s_delay_alu instid0(VALU_DEP_2) | instskip(NEXT) | instid1(VALU_DEP_1)
	v_pk_mul_f32 v[40:41], v[38:39], v[40:41]
	v_pk_fma_f32 v[44:45], v[38:39], v[42:43], v[40:41] op_sel:[0,0,1] op_sel_hi:[1,1,0]
	v_pk_fma_f32 v[38:39], v[38:39], v[42:43], v[40:41] op_sel:[0,0,1] op_sel_hi:[1,1,0] neg_lo:[0,0,1] neg_hi:[0,0,1]
	s_delay_alu instid0(VALU_DEP_2) | instskip(NEXT) | instid1(VALU_DEP_1)
	v_mov_b32_e32 v39, v45
	v_pk_add_f32 v[38:39], v[22:23], v[38:39]
	flat_store_b64 v[36:37], v[38:39]
.LBB524_20:                             ;   in Loop: Header=BB524_6 Depth=1
	s_and_not1_b32 vcc_lo, exec_lo, s31
	s_cbranch_vccnz .LBB524_22
; %bb.21:                               ;   in Loop: Header=BB524_6 Depth=1
	flat_store_b64 v[36:37], v[22:23]
.LBB524_22:                             ;   in Loop: Header=BB524_6 Depth=1
	s_wait_xcnt 0x0
	s_or_b32 exec_lo, exec_lo, s30
	s_and_saveexec_b32 s30, s1
	s_cbranch_execz .LBB524_27
; %bb.23:                               ;   in Loop: Header=BB524_6 Depth=1
	v_mov_b64_e32 v[22:23], s[4:5]
	v_mov_b64_e32 v[36:37], s[18:19]
	v_lshl_add_u64 v[20:21], v[14:15], 3, v[20:21]
	s_and_not1_b32 vcc_lo, exec_lo, s34
	s_mov_b32 s31, -1
	s_delay_alu instid0(VALU_DEP_3) | instskip(NEXT) | instid1(VALU_DEP_1)
	v_pk_mul_f32 v[22:23], v[34:35], v[22:23] op_sel_hi:[0,1]
	v_pk_fma_f32 v[34:35], v[32:33], v[36:37], v[22:23] op_sel_hi:[0,1,1]
	v_pk_fma_f32 v[22:23], v[32:33], v[36:37], v[22:23] neg_lo:[0,0,1] neg_hi:[0,0,1]
	s_delay_alu instid0(VALU_DEP_2)
	v_mov_b32_e32 v23, v35
	s_cbranch_vccnz .LBB524_25
; %bb.24:                               ;   in Loop: Header=BB524_6 Depth=1
	flat_load_b64 v[32:33], v[20:21]
	v_mov_b64_e32 v[34:35], s[6:7]
	v_mov_b64_e32 v[36:37], s[2:3]
	s_mov_b32 s31, 0
	s_wait_loadcnt_dscnt 0x0
	s_delay_alu instid0(VALU_DEP_2) | instskip(NEXT) | instid1(VALU_DEP_1)
	v_pk_mul_f32 v[34:35], v[32:33], v[34:35]
	v_pk_fma_f32 v[38:39], v[32:33], v[36:37], v[34:35] op_sel:[0,0,1] op_sel_hi:[1,1,0]
	v_pk_fma_f32 v[32:33], v[32:33], v[36:37], v[34:35] op_sel:[0,0,1] op_sel_hi:[1,1,0] neg_lo:[0,0,1] neg_hi:[0,0,1]
	s_delay_alu instid0(VALU_DEP_2) | instskip(NEXT) | instid1(VALU_DEP_1)
	v_mov_b32_e32 v33, v39
	v_pk_add_f32 v[32:33], v[22:23], v[32:33]
	flat_store_b64 v[20:21], v[32:33]
.LBB524_25:                             ;   in Loop: Header=BB524_6 Depth=1
	s_and_not1_b32 vcc_lo, exec_lo, s31
	s_cbranch_vccnz .LBB524_27
; %bb.26:                               ;   in Loop: Header=BB524_6 Depth=1
	flat_store_b64 v[20:21], v[22:23]
.LBB524_27:                             ;   in Loop: Header=BB524_6 Depth=1
	s_wait_xcnt 0x0
	s_or_b32 exec_lo, exec_lo, s30
	v_lshl_add_u64 v[18:19], v[12:13], 3, v[18:19]
	s_and_saveexec_b32 s30, s36
	s_cbranch_execz .LBB524_32
; %bb.28:                               ;   in Loop: Header=BB524_6 Depth=1
	v_mov_b64_e32 v[20:21], s[4:5]
	v_mov_b64_e32 v[22:23], s[18:19]
	s_and_not1_b32 vcc_lo, exec_lo, s34
	s_mov_b32 s31, -1
	s_delay_alu instid0(VALU_DEP_2) | instskip(NEXT) | instid1(VALU_DEP_1)
	v_pk_mul_f32 v[20:21], v[30:31], v[20:21] op_sel_hi:[0,1]
	v_pk_fma_f32 v[30:31], v[28:29], v[22:23], v[20:21] op_sel_hi:[0,1,1]
	v_pk_fma_f32 v[20:21], v[28:29], v[22:23], v[20:21] neg_lo:[0,0,1] neg_hi:[0,0,1]
	v_lshl_add_u64 v[22:23], v[8:9], 3, v[18:19]
	s_delay_alu instid0(VALU_DEP_3)
	v_mov_b32_e32 v21, v31
	s_cbranch_vccnz .LBB524_30
; %bb.29:                               ;   in Loop: Header=BB524_6 Depth=1
	flat_load_b64 v[28:29], v[22:23]
	v_mov_b64_e32 v[30:31], s[6:7]
	v_mov_b64_e32 v[32:33], s[2:3]
	s_mov_b32 s31, 0
	s_wait_loadcnt_dscnt 0x0
	s_delay_alu instid0(VALU_DEP_2) | instskip(NEXT) | instid1(VALU_DEP_1)
	v_pk_mul_f32 v[30:31], v[28:29], v[30:31]
	v_pk_fma_f32 v[34:35], v[28:29], v[32:33], v[30:31] op_sel:[0,0,1] op_sel_hi:[1,1,0]
	v_pk_fma_f32 v[28:29], v[28:29], v[32:33], v[30:31] op_sel:[0,0,1] op_sel_hi:[1,1,0] neg_lo:[0,0,1] neg_hi:[0,0,1]
	s_delay_alu instid0(VALU_DEP_2) | instskip(NEXT) | instid1(VALU_DEP_1)
	v_mov_b32_e32 v29, v35
	v_pk_add_f32 v[28:29], v[20:21], v[28:29]
	flat_store_b64 v[22:23], v[28:29]
.LBB524_30:                             ;   in Loop: Header=BB524_6 Depth=1
	s_and_not1_b32 vcc_lo, exec_lo, s31
	s_cbranch_vccnz .LBB524_32
; %bb.31:                               ;   in Loop: Header=BB524_6 Depth=1
	flat_store_b64 v[22:23], v[20:21]
.LBB524_32:                             ;   in Loop: Header=BB524_6 Depth=1
	s_wait_xcnt 0x0
	s_or_b32 exec_lo, exec_lo, s30
	s_and_saveexec_b32 s30, s37
	s_cbranch_execz .LBB524_5
; %bb.33:                               ;   in Loop: Header=BB524_6 Depth=1
	v_mov_b64_e32 v[20:21], s[4:5]
	v_mov_b64_e32 v[22:23], s[18:19]
	v_lshl_add_u64 v[18:19], v[14:15], 3, v[18:19]
	s_and_not1_b32 vcc_lo, exec_lo, s34
	s_mov_b32 s31, -1
	s_delay_alu instid0(VALU_DEP_3) | instskip(NEXT) | instid1(VALU_DEP_1)
	v_pk_mul_f32 v[20:21], v[26:27], v[20:21] op_sel_hi:[0,1]
	v_pk_fma_f32 v[28:29], v[24:25], v[22:23], v[20:21] op_sel_hi:[0,1,1]
	v_pk_fma_f32 v[20:21], v[24:25], v[22:23], v[20:21] neg_lo:[0,0,1] neg_hi:[0,0,1]
	s_delay_alu instid0(VALU_DEP_2)
	v_mov_b32_e32 v21, v29
	s_cbranch_vccnz .LBB524_35
; %bb.34:                               ;   in Loop: Header=BB524_6 Depth=1
	flat_load_b64 v[22:23], v[18:19]
	v_mov_b64_e32 v[28:29], s[6:7]
	v_mov_b64_e32 v[30:31], s[2:3]
	s_mov_b32 s31, 0
	s_wait_loadcnt_dscnt 0x0
	s_delay_alu instid0(VALU_DEP_2) | instskip(NEXT) | instid1(VALU_DEP_1)
	v_pk_mul_f32 v[28:29], v[22:23], v[28:29]
	v_pk_fma_f32 v[32:33], v[22:23], v[30:31], v[28:29] op_sel:[0,0,1] op_sel_hi:[1,1,0]
	v_pk_fma_f32 v[22:23], v[22:23], v[30:31], v[28:29] op_sel:[0,0,1] op_sel_hi:[1,1,0] neg_lo:[0,0,1] neg_hi:[0,0,1]
	s_delay_alu instid0(VALU_DEP_2) | instskip(NEXT) | instid1(VALU_DEP_1)
	v_mov_b32_e32 v23, v33
	v_pk_add_f32 v[22:23], v[20:21], v[22:23]
	flat_store_b64 v[18:19], v[22:23]
.LBB524_35:                             ;   in Loop: Header=BB524_6 Depth=1
	s_and_not1_b32 vcc_lo, exec_lo, s31
	s_cbranch_vccnz .LBB524_5
; %bb.36:                               ;   in Loop: Header=BB524_6 Depth=1
	flat_store_b64 v[18:19], v[20:21]
	s_branch .LBB524_5
.LBB524_37:
	s_sendmsg sendmsg(MSG_DEALLOC_VGPRS)
	s_endpgm
	.section	.rodata,"a",@progbits
	.p2align	6, 0x0
	.amdhsa_kernel _ZL29rocblas_internal_gemmt_kernelIlLi16ELi32ELi8ELc78ELc67ELc85ELb0ELb1E19rocblas_complex_numIfES1_PKPKS1_PKPS1_EviT_T9_T10_S9_lSB_S9_lSA_T11_S9_li
		.amdhsa_group_segment_fixed_size 4096
		.amdhsa_private_segment_fixed_size 0
		.amdhsa_kernarg_size 108
		.amdhsa_user_sgpr_count 2
		.amdhsa_user_sgpr_dispatch_ptr 0
		.amdhsa_user_sgpr_queue_ptr 0
		.amdhsa_user_sgpr_kernarg_segment_ptr 1
		.amdhsa_user_sgpr_dispatch_id 0
		.amdhsa_user_sgpr_kernarg_preload_length 0
		.amdhsa_user_sgpr_kernarg_preload_offset 0
		.amdhsa_user_sgpr_private_segment_size 0
		.amdhsa_wavefront_size32 1
		.amdhsa_uses_dynamic_stack 0
		.amdhsa_enable_private_segment 0
		.amdhsa_system_sgpr_workgroup_id_x 1
		.amdhsa_system_sgpr_workgroup_id_y 1
		.amdhsa_system_sgpr_workgroup_id_z 1
		.amdhsa_system_sgpr_workgroup_info 0
		.amdhsa_system_vgpr_workitem_id 1
		.amdhsa_next_free_vgpr 72
		.amdhsa_next_free_sgpr 42
		.amdhsa_named_barrier_count 0
		.amdhsa_reserve_vcc 1
		.amdhsa_float_round_mode_32 0
		.amdhsa_float_round_mode_16_64 0
		.amdhsa_float_denorm_mode_32 3
		.amdhsa_float_denorm_mode_16_64 3
		.amdhsa_fp16_overflow 0
		.amdhsa_memory_ordered 1
		.amdhsa_forward_progress 1
		.amdhsa_inst_pref_size 26
		.amdhsa_round_robin_scheduling 0
		.amdhsa_exception_fp_ieee_invalid_op 0
		.amdhsa_exception_fp_denorm_src 0
		.amdhsa_exception_fp_ieee_div_zero 0
		.amdhsa_exception_fp_ieee_overflow 0
		.amdhsa_exception_fp_ieee_underflow 0
		.amdhsa_exception_fp_ieee_inexact 0
		.amdhsa_exception_int_div_zero 0
	.end_amdhsa_kernel
	.section	.text._ZL29rocblas_internal_gemmt_kernelIlLi16ELi32ELi8ELc78ELc67ELc85ELb0ELb1E19rocblas_complex_numIfES1_PKPKS1_PKPS1_EviT_T9_T10_S9_lSB_S9_lSA_T11_S9_li,"axG",@progbits,_ZL29rocblas_internal_gemmt_kernelIlLi16ELi32ELi8ELc78ELc67ELc85ELb0ELb1E19rocblas_complex_numIfES1_PKPKS1_PKPS1_EviT_T9_T10_S9_lSB_S9_lSA_T11_S9_li,comdat
.Lfunc_end524:
	.size	_ZL29rocblas_internal_gemmt_kernelIlLi16ELi32ELi8ELc78ELc67ELc85ELb0ELb1E19rocblas_complex_numIfES1_PKPKS1_PKPS1_EviT_T9_T10_S9_lSB_S9_lSA_T11_S9_li, .Lfunc_end524-_ZL29rocblas_internal_gemmt_kernelIlLi16ELi32ELi8ELc78ELc67ELc85ELb0ELb1E19rocblas_complex_numIfES1_PKPKS1_PKPS1_EviT_T9_T10_S9_lSB_S9_lSA_T11_S9_li
                                        ; -- End function
	.set _ZL29rocblas_internal_gemmt_kernelIlLi16ELi32ELi8ELc78ELc67ELc85ELb0ELb1E19rocblas_complex_numIfES1_PKPKS1_PKPS1_EviT_T9_T10_S9_lSB_S9_lSA_T11_S9_li.num_vgpr, 72
	.set _ZL29rocblas_internal_gemmt_kernelIlLi16ELi32ELi8ELc78ELc67ELc85ELb0ELb1E19rocblas_complex_numIfES1_PKPKS1_PKPS1_EviT_T9_T10_S9_lSB_S9_lSA_T11_S9_li.num_agpr, 0
	.set _ZL29rocblas_internal_gemmt_kernelIlLi16ELi32ELi8ELc78ELc67ELc85ELb0ELb1E19rocblas_complex_numIfES1_PKPKS1_PKPS1_EviT_T9_T10_S9_lSB_S9_lSA_T11_S9_li.numbered_sgpr, 42
	.set _ZL29rocblas_internal_gemmt_kernelIlLi16ELi32ELi8ELc78ELc67ELc85ELb0ELb1E19rocblas_complex_numIfES1_PKPKS1_PKPS1_EviT_T9_T10_S9_lSB_S9_lSA_T11_S9_li.num_named_barrier, 0
	.set _ZL29rocblas_internal_gemmt_kernelIlLi16ELi32ELi8ELc78ELc67ELc85ELb0ELb1E19rocblas_complex_numIfES1_PKPKS1_PKPS1_EviT_T9_T10_S9_lSB_S9_lSA_T11_S9_li.private_seg_size, 0
	.set _ZL29rocblas_internal_gemmt_kernelIlLi16ELi32ELi8ELc78ELc67ELc85ELb0ELb1E19rocblas_complex_numIfES1_PKPKS1_PKPS1_EviT_T9_T10_S9_lSB_S9_lSA_T11_S9_li.uses_vcc, 1
	.set _ZL29rocblas_internal_gemmt_kernelIlLi16ELi32ELi8ELc78ELc67ELc85ELb0ELb1E19rocblas_complex_numIfES1_PKPKS1_PKPS1_EviT_T9_T10_S9_lSB_S9_lSA_T11_S9_li.uses_flat_scratch, 0
	.set _ZL29rocblas_internal_gemmt_kernelIlLi16ELi32ELi8ELc78ELc67ELc85ELb0ELb1E19rocblas_complex_numIfES1_PKPKS1_PKPS1_EviT_T9_T10_S9_lSB_S9_lSA_T11_S9_li.has_dyn_sized_stack, 0
	.set _ZL29rocblas_internal_gemmt_kernelIlLi16ELi32ELi8ELc78ELc67ELc85ELb0ELb1E19rocblas_complex_numIfES1_PKPKS1_PKPS1_EviT_T9_T10_S9_lSB_S9_lSA_T11_S9_li.has_recursion, 0
	.set _ZL29rocblas_internal_gemmt_kernelIlLi16ELi32ELi8ELc78ELc67ELc85ELb0ELb1E19rocblas_complex_numIfES1_PKPKS1_PKPS1_EviT_T9_T10_S9_lSB_S9_lSA_T11_S9_li.has_indirect_call, 0
	.section	.AMDGPU.csdata,"",@progbits
; Kernel info:
; codeLenInByte = 3260
; TotalNumSgprs: 44
; NumVgprs: 72
; ScratchSize: 0
; MemoryBound: 0
; FloatMode: 240
; IeeeMode: 1
; LDSByteSize: 4096 bytes/workgroup (compile time only)
; SGPRBlocks: 0
; VGPRBlocks: 4
; NumSGPRsForWavesPerEU: 44
; NumVGPRsForWavesPerEU: 72
; NamedBarCnt: 0
; Occupancy: 12
; WaveLimiterHint : 1
; COMPUTE_PGM_RSRC2:SCRATCH_EN: 0
; COMPUTE_PGM_RSRC2:USER_SGPR: 2
; COMPUTE_PGM_RSRC2:TRAP_HANDLER: 0
; COMPUTE_PGM_RSRC2:TGID_X_EN: 1
; COMPUTE_PGM_RSRC2:TGID_Y_EN: 1
; COMPUTE_PGM_RSRC2:TGID_Z_EN: 1
; COMPUTE_PGM_RSRC2:TIDIG_COMP_CNT: 1
	.section	.text._ZL29rocblas_internal_gemmt_kernelIlLi16ELi32ELi8ELc84ELc78ELc85ELb0ELb0E19rocblas_complex_numIfES1_PKPKS1_PKPS1_EviT_T9_T10_S9_lSB_S9_lSA_T11_S9_li,"axG",@progbits,_ZL29rocblas_internal_gemmt_kernelIlLi16ELi32ELi8ELc84ELc78ELc85ELb0ELb0E19rocblas_complex_numIfES1_PKPKS1_PKPS1_EviT_T9_T10_S9_lSB_S9_lSA_T11_S9_li,comdat
	.globl	_ZL29rocblas_internal_gemmt_kernelIlLi16ELi32ELi8ELc84ELc78ELc85ELb0ELb0E19rocblas_complex_numIfES1_PKPKS1_PKPS1_EviT_T9_T10_S9_lSB_S9_lSA_T11_S9_li ; -- Begin function _ZL29rocblas_internal_gemmt_kernelIlLi16ELi32ELi8ELc84ELc78ELc85ELb0ELb0E19rocblas_complex_numIfES1_PKPKS1_PKPS1_EviT_T9_T10_S9_lSB_S9_lSA_T11_S9_li
	.p2align	8
	.type	_ZL29rocblas_internal_gemmt_kernelIlLi16ELi32ELi8ELc84ELc78ELc85ELb0ELb0E19rocblas_complex_numIfES1_PKPKS1_PKPS1_EviT_T9_T10_S9_lSB_S9_lSA_T11_S9_li,@function
_ZL29rocblas_internal_gemmt_kernelIlLi16ELi32ELi8ELc84ELc78ELc85ELb0ELb0E19rocblas_complex_numIfES1_PKPKS1_PKPS1_EviT_T9_T10_S9_lSB_S9_lSA_T11_S9_li: ; @_ZL29rocblas_internal_gemmt_kernelIlLi16ELi32ELi8ELc84ELc78ELc85ELb0ELb0E19rocblas_complex_numIfES1_PKPKS1_PKPS1_EviT_T9_T10_S9_lSB_S9_lSA_T11_S9_li
; %bb.0:
	s_clause 0x1
	s_load_b64 s[24:25], s[0:1], 0x48
	s_load_b128 s[16:19], s[0:1], 0x8
	s_wait_kmcnt 0x0
	s_cmp_neq_f32 s24, 1.0
	s_cselect_b32 s2, -1, 0
	s_and_b32 s4, s25, 0x7fffffff
	s_delay_alu instid0(SALU_CYCLE_1) | instskip(SKIP_3) | instid1(SALU_CYCLE_1)
	s_cmp_eq_u32 s4, 0
	s_cselect_b32 s3, -1, 0
	s_cmp_lg_u32 s4, 0
	s_cselect_b32 s4, -1, 0
	s_or_b32 s2, s2, s4
	s_delay_alu instid0(SALU_CYCLE_1)
	s_and_b32 vcc_lo, exec_lo, s2
	s_cbranch_vccnz .LBB525_2
; %bb.1:
	s_cmp_lg_u64 s[16:17], 0
	s_cselect_b32 s2, -1, 0
	s_cmp_neq_f32 s18, 0
	s_cselect_b32 s4, -1, 0
	s_cmp_neq_f32 s19, 0
	s_cselect_b32 s5, -1, 0
	s_delay_alu instid0(SALU_CYCLE_1) | instskip(NEXT) | instid1(SALU_CYCLE_1)
	s_or_b32 s4, s4, s5
	s_and_b32 s2, s2, s4
.LBB525_2:
	s_delay_alu instid0(SALU_CYCLE_1)
	s_and_not1_b32 vcc_lo, exec_lo, s2
	s_cbranch_vccnz .LBB525_35
; %bb.3:
	s_load_b32 s30, s[0:1], 0x68
	s_bfe_u32 s2, ttmp6, 0x40014
	s_lshr_b32 s4, ttmp7, 16
	s_add_co_i32 s2, s2, 1
	s_bfe_u32 s6, ttmp6, 0x40008
	s_mul_i32 s5, s4, s2
	s_getreg_b32 s2, hwreg(HW_REG_IB_STS2, 6, 4)
	s_add_co_i32 s6, s6, s5
	s_cmp_eq_u32 s2, 0
	s_mov_b32 s27, 0
	s_cselect_b32 s26, s4, s6
	s_wait_kmcnt 0x0
	s_cmp_ge_u32 s26, s30
	s_cbranch_scc1 .LBB525_35
; %bb.4:
	s_bfe_u32 s5, ttmp6, 0x4000c
	s_bfe_u32 s7, ttmp6, 0x40010
	s_and_b32 s6, ttmp7, 0xffff
	s_add_co_i32 s5, s5, 1
	s_add_co_i32 s7, s7, 1
	s_and_b32 s4, ttmp6, 15
	s_mul_i32 s5, ttmp9, s5
	s_mul_i32 s7, s6, s7
	s_bfe_u32 s8, ttmp6, 0x40004
	v_and_b32_e32 v9, 0x3ff, v0
	v_bfe_u32 v15, v0, 10, 10
	s_add_co_i32 s4, s4, s5
	s_add_co_i32 s5, s8, s7
	s_cmp_eq_u32 s2, 0
	s_load_b32 s34, s[0:1], 0x0
	s_cselect_b32 s2, ttmp9, s4
	s_cselect_b32 s4, s6, s5
	v_lshl_add_u32 v1, v15, 4, v9
	s_load_b256 s[8:15], s[0:1], 0x18
	s_lshl_b32 s31, s4, 5
	s_clause 0x1
	s_load_b128 s[4:7], s[0:1], 0x38
	s_load_b128 s[20:23], s[0:1], 0x50
	v_dual_lshrrev_b32 v2, 5, v1 :: v_dual_bitop2_b32 v0, 7, v0 bitop3:0x40
	v_dual_lshrrev_b32 v3, 3, v1 :: v_dual_bitop2_b32 v1, 31, v1 bitop3:0x40
	s_delay_alu instid0(VALU_DEP_2) | instskip(SKIP_2) | instid1(VALU_DEP_2)
	v_dual_add_nc_u32 v16, s31, v15 :: v_dual_lshlrev_b32 v8, 3, v0
	s_lshl_b32 s2, s2, 5
	s_cmp_neq_f32 s18, 0
	v_dual_add_nc_u32 v6, s31, v3 :: v_dual_bitop2_b32 v4, s2, v1 bitop3:0x54
	s_delay_alu instid0(VALU_DEP_2) | instskip(SKIP_2) | instid1(VALU_DEP_2)
	v_add_nc_u32_e32 v18, 16, v16
	s_cselect_b32 s33, -1, 0
	s_cmp_neq_f32 s19, 0
	v_dual_lshlrev_b32 v1, 3, v1 :: v_dual_ashrrev_i32 v5, 31, v4
	v_dual_ashrrev_i32 v7, 31, v6 :: v_dual_ashrrev_i32 v17, 31, v16
	v_ashrrev_i32_e32 v19, 31, v18
	s_load_b64 s[28:29], s[0:1], 0x60
	s_wait_xcnt 0x0
	s_cselect_b32 s0, -1, 0
	s_wait_kmcnt 0x0
	v_cmp_gt_i32_e64 s1, s34, v6
	s_or_b32 s37, s33, s0
	v_cmp_gt_i32_e64 s0, s34, v4
	v_mul_u64_e32 v[4:5], s[10:11], v[4:5]
	v_mul_u64_e32 v[6:7], s[4:5], v[6:7]
	;; [unrolled: 1-line block ×4, first 2 shown]
	v_lshl_or_b32 v3, v3, 6, v8
	v_dual_add_nc_u32 v8, s2, v9 :: v_dual_lshlrev_b32 v25, 3, v9
	s_cmp_neq_f32 s24, 0
	v_cmp_gt_i32_e32 vcc_lo, s34, v16
	v_cmp_gt_i64_e64 s38, s[16:17], 0
	s_delay_alu instid0(VALU_DEP_3)
	v_cmp_le_i32_e64 s2, v8, v16
	v_dual_add_nc_u32 v14, 16, v8 :: v_dual_ashrrev_i32 v9, 31, v8
	s_cselect_b32 s4, -1, 0
	s_xor_b32 s3, s3, -1
	s_and_b32 s33, vcc_lo, s2
	s_or_b32 s31, s4, s3
	v_cmp_le_i32_e64 s2, v14, v16
	v_cmp_gt_i32_e64 s3, s34, v18
	v_cmp_le_i32_e64 s4, v8, v18
	v_cmp_le_i32_e64 s5, v14, v18
	v_lshl_or_b32 v1, v2, 8, v1
	v_add_nc_u32_e32 v3, 0x800, v3
	v_lshl_add_u32 v27, v15, 6, 0x800
	v_dual_ashrrev_i32 v15, 31, v14 :: v_dual_mov_b32 v17, 0
	s_and_b32 s34, vcc_lo, s2
	s_and_b32 s35, s3, s4
	s_and_b32 s36, s3, s5
	s_mov_b32 s2, s24
	s_mov_b32 s3, s24
	;; [unrolled: 1-line block ×5, first 2 shown]
	s_and_b32 s37, s37, s38
	s_lshl_b64 s[6:7], s[6:7], 3
	s_lshl_b64 s[10:11], s[12:13], 3
	;; [unrolled: 1-line block ×3, first 2 shown]
	s_branch .LBB525_6
.LBB525_5:                              ;   in Loop: Header=BB525_6 Depth=1
	s_wait_xcnt 0x0
	s_or_b32 exec_lo, exec_lo, s22
	s_add_co_i32 s26, s26, 0x10000
	s_delay_alu instid0(SALU_CYCLE_1)
	s_cmp_lt_u32 s26, s30
	s_cbranch_scc0 .LBB525_35
.LBB525_6:                              ; =>This Loop Header: Depth=1
                                        ;     Child Loop BB525_9 Depth 2
	v_dual_mov_b32 v16, s26 :: v_dual_mov_b32 v36, v17
	v_dual_mov_b32 v38, v17 :: v_dual_mov_b32 v32, v17
	;; [unrolled: 1-line block ×3, first 2 shown]
	global_load_b64 v[18:19], v16, s[20:21] scale_offset
	v_dual_mov_b32 v30, v17 :: v_dual_mov_b32 v24, v17
	v_mov_b32_e32 v26, v17
	s_and_not1_b32 vcc_lo, exec_lo, s37
	s_cbranch_vccnz .LBB525_15
; %bb.7:                                ;   in Loop: Header=BB525_6 Depth=1
	s_lshl_b64 s[22:23], s[26:27], 3
	v_dual_mov_b32 v26, 0 :: v_dual_mov_b32 v24, 0
	s_add_nc_u64 s[28:29], s[8:9], s[22:23]
	s_add_nc_u64 s[22:23], s[14:15], s[22:23]
	s_clause 0x1
	global_load_b64 v[20:21], v17, s[28:29]
	global_load_b64 v[22:23], v17, s[22:23]
	v_dual_mov_b32 v30, 0 :: v_dual_mov_b32 v28, 0
	v_dual_mov_b32 v34, 0 :: v_dual_mov_b32 v32, 0
	;; [unrolled: 1-line block ×3, first 2 shown]
	s_wait_xcnt 0x0
	s_mov_b64 s[22:23], 0
	s_wait_loadcnt 0x1
	v_add_nc_u64_e32 v[20:21], s[10:11], v[20:21]
	s_wait_loadcnt 0x0
	v_add_nc_u64_e32 v[22:23], s[6:7], v[22:23]
	s_delay_alu instid0(VALU_DEP_2) | instskip(NEXT) | instid1(VALU_DEP_2)
	v_lshl_add_u64 v[20:21], v[4:5], 3, v[20:21]
	v_lshl_add_u64 v[22:23], v[6:7], 3, v[22:23]
	s_branch .LBB525_9
.LBB525_8:                              ;   in Loop: Header=BB525_9 Depth=2
	s_wait_xcnt 0x0
	s_or_b32 exec_lo, exec_lo, s28
	s_wait_loadcnt_dscnt 0x0
	ds_store_b64 v3, v[42:43]
	s_wait_dscnt 0x0
	s_barrier_signal -1
	s_barrier_wait -1
	ds_load_b128 v[40:43], v27
	ds_load_2addr_b64 v[44:47], v25 offset1:16
	ds_load_b128 v[48:51], v27 offset:1024
	ds_load_b128 v[52:55], v27 offset:16
	;; [unrolled: 1-line block ×4, first 2 shown]
	ds_load_2addr_b64 v[64:67], v25 offset0:32 offset1:48
	ds_load_b128 v[68:71], v27 offset:1040
	s_add_nc_u64 s[22:23], s[22:23], 8
	s_delay_alu instid0(SALU_CYCLE_1)
	v_cmp_gt_i64_e64 s28, s[16:17], s[22:23]
	s_and_b32 vcc_lo, exec_lo, s28
	s_wait_dscnt 0x6
	v_dual_mul_f32 v16, v41, v45 :: v_dual_mul_f32 v29, v40, v45
	v_dual_mul_f32 v31, v41, v47 :: v_dual_mul_f32 v33, v40, v47
	s_wait_dscnt 0x5
	v_dual_mul_f32 v35, v49, v45 :: v_dual_mul_f32 v37, v48, v45
	v_dual_mul_f32 v39, v49, v47 :: v_dual_mul_f32 v45, v48, v47
	v_dual_fma_f32 v16, v40, v44, -v16 :: v_dual_fmac_f32 v29, v41, v44
	v_dual_fma_f32 v31, v40, v46, -v31 :: v_dual_fmac_f32 v33, v41, v46
	s_delay_alu instid0(VALU_DEP_4) | instskip(NEXT) | instid1(VALU_DEP_3)
	v_dual_fma_f32 v35, v48, v44, -v35 :: v_dual_fmac_f32 v37, v49, v44
	v_dual_add_f32 v16, v36, v16 :: v_dual_add_f32 v36, v38, v29
	v_fma_f32 v29, v48, v46, -v39
	s_delay_alu instid0(VALU_DEP_4) | instskip(NEXT) | instid1(VALU_DEP_4)
	v_dual_add_f32 v32, v32, v31 :: v_dual_add_f32 v33, v34, v33
	v_dual_add_f32 v34, v28, v35 :: v_dual_add_f32 v35, v30, v37
	s_wait_dscnt 0x1
	v_dual_mul_f32 v37, v43, v65 :: v_dual_fmac_f32 v45, v49, v46
	v_add_f32_e32 v24, v24, v29
	ds_load_2addr_b64 v[28:31], v25 offset0:64 offset1:80
	v_dual_mul_f32 v38, v42, v65 :: v_dual_fma_f32 v37, v42, v64, -v37
	v_dual_mul_f32 v39, v43, v67 :: v_dual_add_f32 v26, v26, v45
	s_delay_alu instid0(VALU_DEP_2) | instskip(NEXT) | instid1(VALU_DEP_2)
	v_dual_mul_f32 v40, v42, v67 :: v_dual_fmac_f32 v38, v43, v64
	v_dual_add_f32 v16, v16, v37 :: v_dual_fma_f32 v37, v42, v66, -v39
	v_mul_f32_e32 v39, v51, v65
	s_delay_alu instid0(VALU_DEP_3) | instskip(NEXT) | instid1(VALU_DEP_4)
	v_fmac_f32_e32 v40, v43, v66
	v_dual_add_f32 v36, v36, v38 :: v_dual_mul_f32 v38, v50, v65
	s_delay_alu instid0(VALU_DEP_3) | instskip(NEXT) | instid1(VALU_DEP_3)
	v_dual_add_f32 v37, v32, v37 :: v_dual_fma_f32 v32, v50, v64, -v39
	v_dual_mul_f32 v39, v51, v67 :: v_dual_add_f32 v40, v33, v40
	s_delay_alu instid0(VALU_DEP_3) | instskip(SKIP_1) | instid1(VALU_DEP_3)
	v_dual_fmac_f32 v38, v51, v64 :: v_dual_mul_f32 v41, v50, v67
	s_wait_dscnt 0x0
	v_dual_add_f32 v42, v34, v32 :: v_dual_mul_f32 v33, v53, v29
	s_delay_alu instid0(VALU_DEP_3) | instskip(NEXT) | instid1(VALU_DEP_3)
	v_fma_f32 v32, v50, v66, -v39
	v_dual_add_f32 v38, v35, v38 :: v_dual_mul_f32 v39, v52, v29
	v_fmac_f32_e32 v41, v51, v66
	s_delay_alu instid0(VALU_DEP_4) | instskip(NEXT) | instid1(VALU_DEP_4)
	v_fma_f32 v43, v52, v28, -v33
	v_dual_add_f32 v24, v24, v32 :: v_dual_mul_f32 v44, v53, v31
	ds_load_2addr_b64 v[32:35], v25 offset0:96 offset1:112
	v_dual_fmac_f32 v39, v53, v28 :: v_dual_add_f32 v26, v26, v41
	v_add_f32_e32 v16, v16, v43
	v_dual_mul_f32 v41, v52, v31 :: v_dual_fma_f32 v43, v52, v30, -v44
	s_delay_alu instid0(VALU_DEP_3) | instskip(NEXT) | instid1(VALU_DEP_2)
	v_dual_add_f32 v36, v36, v39 :: v_dual_mul_f32 v39, v69, v29
	v_dual_mul_f32 v29, v68, v29 :: v_dual_fmac_f32 v41, v53, v30
	s_delay_alu instid0(VALU_DEP_3) | instskip(NEXT) | instid1(VALU_DEP_3)
	v_add_f32_e32 v37, v37, v43
	v_dual_mul_f32 v43, v69, v31 :: v_dual_fma_f32 v39, v68, v28, -v39
	s_delay_alu instid0(VALU_DEP_3) | instskip(NEXT) | instid1(VALU_DEP_4)
	v_dual_fmac_f32 v29, v69, v28 :: v_dual_mul_f32 v44, v68, v31
	v_add_f32_e32 v40, v40, v41
	s_delay_alu instid0(VALU_DEP_3) | instskip(NEXT) | instid1(VALU_DEP_3)
	v_dual_fma_f32 v28, v68, v30, -v43 :: v_dual_add_f32 v41, v42, v39
	v_dual_add_f32 v42, v38, v29 :: v_dual_fmac_f32 v44, v69, v30
	s_wait_dscnt 0x0
	s_delay_alu instid0(VALU_DEP_2) | instskip(SKIP_2) | instid1(VALU_DEP_1)
	v_dual_mul_f32 v38, v55, v33 :: v_dual_add_f32 v24, v24, v28
	ds_load_2addr_b64 v[28:31], v25 offset0:128 offset1:144
	v_dual_mul_f32 v39, v54, v33 :: v_dual_mul_f32 v43, v55, v35
	v_dual_fma_f32 v38, v54, v32, -v38 :: v_dual_fmac_f32 v39, v55, v32
	s_delay_alu instid0(VALU_DEP_1) | instskip(NEXT) | instid1(VALU_DEP_3)
	v_dual_add_f32 v26, v26, v44 :: v_dual_add_f32 v16, v16, v38
	v_dual_mul_f32 v44, v54, v35 :: v_dual_fma_f32 v43, v54, v34, -v43
	s_delay_alu instid0(VALU_DEP_3) | instskip(NEXT) | instid1(VALU_DEP_2)
	v_dual_mul_f32 v38, v71, v33 :: v_dual_add_f32 v45, v36, v39
	v_dual_mul_f32 v33, v70, v33 :: v_dual_fmac_f32 v44, v55, v34
	s_delay_alu instid0(VALU_DEP_2)
	v_dual_add_f32 v46, v37, v43 :: v_dual_fma_f32 v43, v70, v32, -v38
	v_mul_f32_e32 v47, v71, v35
	ds_load_b128 v[36:39], v27 offset:1056
	v_add_f32_e32 v44, v40, v44
	v_dual_fmac_f32 v33, v71, v32 :: v_dual_mul_f32 v40, v70, v35
	v_dual_fma_f32 v32, v70, v34, -v47 :: v_dual_add_f32 v47, v41, v43
	s_wait_dscnt 0x1
	v_mul_f32_e32 v35, v57, v29
	s_delay_alu instid0(VALU_DEP_3) | instskip(NEXT) | instid1(VALU_DEP_3)
	v_dual_add_f32 v48, v42, v33 :: v_dual_fmac_f32 v40, v71, v34
	v_add_f32_e32 v24, v24, v32
	s_delay_alu instid0(VALU_DEP_3) | instskip(NEXT) | instid1(VALU_DEP_3)
	v_dual_mul_f32 v49, v56, v29 :: v_dual_fma_f32 v41, v56, v28, -v35
	v_dual_mul_f32 v42, v57, v31 :: v_dual_add_f32 v26, v26, v40
	ds_load_2addr_b64 v[32:35], v25 offset0:160 offset1:176
	v_dual_fmac_f32 v49, v57, v28 :: v_dual_add_f32 v16, v16, v41
	v_dual_fma_f32 v50, v56, v30, -v42 :: v_dual_mul_f32 v51, v56, v31
	ds_load_b128 v[40:43], v27 offset:1072
	s_wait_dscnt 0x2
	v_dual_mul_f32 v52, v37, v29 :: v_dual_mul_f32 v29, v36, v29
	v_dual_add_f32 v45, v45, v49 :: v_dual_add_f32 v46, v46, v50
	s_delay_alu instid0(VALU_DEP_2) | instskip(NEXT) | instid1(VALU_DEP_3)
	v_dual_fmac_f32 v51, v57, v30 :: v_dual_fma_f32 v49, v36, v28, -v52
	v_dual_mul_f32 v50, v37, v31 :: v_dual_fmac_f32 v29, v37, v28
	s_delay_alu instid0(VALU_DEP_2) | instskip(NEXT) | instid1(VALU_DEP_2)
	v_dual_add_f32 v44, v44, v51 :: v_dual_add_f32 v47, v47, v49
	v_dual_mul_f32 v51, v36, v31 :: v_dual_fma_f32 v28, v36, v30, -v50
	s_delay_alu instid0(VALU_DEP_3) | instskip(SKIP_2) | instid1(VALU_DEP_3)
	v_add_f32_e32 v36, v48, v29
	s_wait_dscnt 0x1
	v_dual_mul_f32 v48, v59, v33 :: v_dual_mul_f32 v49, v59, v35
	v_dual_fmac_f32 v51, v37, v30 :: v_dual_add_f32 v24, v24, v28
	ds_load_2addr_b64 v[28:31], v25 offset0:192 offset1:208
	v_dual_mul_f32 v37, v58, v33 :: v_dual_fma_f32 v48, v58, v32, -v48
	s_delay_alu instid0(VALU_DEP_1) | instskip(NEXT) | instid1(VALU_DEP_2)
	v_dual_mul_f32 v50, v58, v35 :: v_dual_fmac_f32 v37, v59, v32
	v_dual_add_f32 v26, v26, v51 :: v_dual_add_f32 v16, v16, v48
	s_delay_alu instid0(VALU_DEP_2) | instskip(NEXT) | instid1(VALU_DEP_3)
	v_dual_fma_f32 v48, v58, v34, -v49 :: v_dual_fmac_f32 v50, v59, v34
	v_add_f32_e32 v37, v45, v37
	v_dual_mul_f32 v45, v39, v33 :: v_dual_mul_f32 v33, v38, v33
	s_delay_alu instid0(VALU_DEP_3) | instskip(NEXT) | instid1(VALU_DEP_2)
	v_dual_add_f32 v48, v46, v48 :: v_dual_mul_f32 v46, v39, v35
	v_dual_add_f32 v49, v44, v50 :: v_dual_fma_f32 v45, v38, v32, -v45
	s_delay_alu instid0(VALU_DEP_3) | instskip(SKIP_1) | instid1(VALU_DEP_3)
	v_dual_fmac_f32 v33, v39, v32 :: v_dual_mul_f32 v32, v38, v35
	s_wait_dscnt 0x0
	v_dual_fma_f32 v35, v38, v34, -v46 :: v_dual_mul_f32 v44, v61, v29
	s_delay_alu instid0(VALU_DEP_3) | instskip(NEXT) | instid1(VALU_DEP_3)
	v_add_f32_e32 v38, v47, v45
	v_dual_fmac_f32 v32, v39, v34 :: v_dual_mul_f32 v34, v60, v29
	s_delay_alu instid0(VALU_DEP_3) | instskip(NEXT) | instid1(VALU_DEP_4)
	v_add_f32_e32 v24, v24, v35
	v_fma_f32 v35, v60, v28, -v44
	ds_load_2addr_b64 v[44:47], v25 offset0:224 offset1:240
	v_dual_add_f32 v33, v36, v33 :: v_dual_add_f32 v26, v26, v32
	v_dual_mul_f32 v32, v61, v31 :: v_dual_fmac_f32 v34, v61, v28
	v_dual_add_f32 v16, v16, v35 :: v_dual_mul_f32 v36, v41, v29
	s_delay_alu instid0(VALU_DEP_2) | instskip(NEXT) | instid1(VALU_DEP_3)
	v_dual_mul_f32 v35, v60, v31 :: v_dual_fma_f32 v32, v60, v30, -v32
	v_dual_mul_f32 v29, v40, v29 :: v_dual_add_f32 v34, v37, v34
	s_delay_alu instid0(VALU_DEP_2) | instskip(NEXT) | instid1(VALU_DEP_3)
	v_dual_fma_f32 v36, v40, v28, -v36 :: v_dual_fmac_f32 v35, v61, v30
	v_add_f32_e32 v32, v48, v32
	s_delay_alu instid0(VALU_DEP_3) | instskip(SKIP_1) | instid1(VALU_DEP_4)
	v_dual_fmac_f32 v29, v41, v28 :: v_dual_mul_f32 v28, v41, v31
	v_mul_f32_e32 v31, v40, v31
	v_dual_add_f32 v35, v49, v35 :: v_dual_add_f32 v37, v38, v36
	s_delay_alu instid0(VALU_DEP_3) | instskip(SKIP_3) | instid1(VALU_DEP_3)
	v_dual_add_f32 v29, v33, v29 :: v_dual_fma_f32 v28, v40, v30, -v28
	s_wait_dscnt 0x0
	v_dual_mul_f32 v33, v63, v45 :: v_dual_mul_f32 v38, v62, v45
	v_dual_fmac_f32 v31, v41, v30 :: v_dual_mul_f32 v30, v63, v47
	v_add_f32_e32 v24, v24, v28
	s_delay_alu instid0(VALU_DEP_3) | instskip(NEXT) | instid1(VALU_DEP_3)
	v_dual_fma_f32 v28, v62, v44, -v33 :: v_dual_fmac_f32 v38, v63, v44
	v_dual_mul_f32 v33, v62, v47 :: v_dual_fma_f32 v30, v62, v46, -v30
	s_delay_alu instid0(VALU_DEP_2) | instskip(NEXT) | instid1(VALU_DEP_3)
	v_dual_add_f32 v26, v26, v31 :: v_dual_add_f32 v36, v16, v28
	v_dual_add_f32 v38, v34, v38 :: v_dual_mul_f32 v16, v43, v45
	s_delay_alu instid0(VALU_DEP_3) | instskip(NEXT) | instid1(VALU_DEP_4)
	v_fmac_f32_e32 v33, v63, v46
	v_dual_add_f32 v32, v32, v30 :: v_dual_mul_f32 v28, v43, v47
	v_dual_mul_f32 v30, v42, v45 :: v_dual_mul_f32 v31, v42, v47
	s_delay_alu instid0(VALU_DEP_3) | instskip(NEXT) | instid1(VALU_DEP_2)
	v_dual_add_f32 v34, v35, v33 :: v_dual_fma_f32 v16, v42, v44, -v16
	v_dual_fma_f32 v33, v42, v46, -v28 :: v_dual_fmac_f32 v30, v43, v44
	s_delay_alu instid0(VALU_DEP_3) | instskip(NEXT) | instid1(VALU_DEP_2)
	v_fmac_f32_e32 v31, v43, v46
	v_dual_add_f32 v28, v37, v16 :: v_dual_add_f32 v24, v24, v33
	s_delay_alu instid0(VALU_DEP_2)
	v_dual_add_f32 v30, v29, v30 :: v_dual_add_f32 v26, v26, v31
	s_barrier_signal -1
	s_barrier_wait -1
	s_cbranch_vccz .LBB525_15
.LBB525_9:                              ;   Parent Loop BB525_6 Depth=1
                                        ; =>  This Inner Loop Header: Depth=2
	v_dual_mov_b32 v40, 0 :: v_dual_mov_b32 v41, 0
	s_and_saveexec_b32 s28, s0
	s_cbranch_execz .LBB525_13
; %bb.10:                               ;   in Loop: Header=BB525_9 Depth=2
	v_dual_mov_b32 v41, 0 :: v_dual_add_nc_u32 v16, s22, v2
	v_mov_b32_e32 v40, 0
	s_mov_b32 s29, exec_lo
	s_delay_alu instid0(VALU_DEP_2)
	v_cmpx_gt_u64_e64 s[16:17], v[16:17]
	s_cbranch_execz .LBB525_12
; %bb.11:                               ;   in Loop: Header=BB525_9 Depth=2
	v_lshl_add_u64 v[40:41], v[16:17], 3, v[20:21]
	flat_load_b64 v[40:41], v[40:41]
.LBB525_12:                             ;   in Loop: Header=BB525_9 Depth=2
	s_wait_xcnt 0x0
	s_or_b32 exec_lo, exec_lo, s29
.LBB525_13:                             ;   in Loop: Header=BB525_9 Depth=2
	s_delay_alu instid0(SALU_CYCLE_1)
	s_or_b32 exec_lo, exec_lo, s28
	v_dual_add_nc_u32 v16, s22, v0 :: v_dual_mov_b32 v42, 0
	v_mov_b32_e32 v43, 0
	s_wait_loadcnt_dscnt 0x0
	ds_store_b64 v1, v[40:41]
	v_cmp_gt_u64_e32 vcc_lo, s[16:17], v[16:17]
	s_and_b32 s29, vcc_lo, s1
	s_delay_alu instid0(SALU_CYCLE_1)
	s_and_saveexec_b32 s28, s29
	s_cbranch_execz .LBB525_8
; %bb.14:                               ;   in Loop: Header=BB525_9 Depth=2
	v_lshl_add_u64 v[40:41], v[16:17], 3, v[22:23]
	flat_load_b64 v[42:43], v[40:41]
	s_branch .LBB525_8
.LBB525_15:                             ;   in Loop: Header=BB525_6 Depth=1
	s_wait_loadcnt 0x0
	v_add_nc_u64_e32 v[18:19], s[12:13], v[18:19]
	s_delay_alu instid0(VALU_DEP_1)
	v_lshl_add_u64 v[20:21], v[10:11], 3, v[18:19]
	s_wait_xcnt 0x0
	s_and_saveexec_b32 s22, s33
	s_cbranch_execz .LBB525_20
; %bb.16:                               ;   in Loop: Header=BB525_6 Depth=1
	v_mov_b64_e32 v[22:23], s[4:5]
	v_mov_b64_e32 v[40:41], s[18:19]
	s_and_b32 vcc_lo, exec_lo, s31
	s_mov_b32 s23, -1
	s_delay_alu instid0(VALU_DEP_2) | instskip(NEXT) | instid1(VALU_DEP_1)
	v_pk_mul_f32 v[22:23], v[38:39], v[22:23] op_sel_hi:[0,1]
	v_pk_fma_f32 v[38:39], v[36:37], v[40:41], v[22:23] op_sel_hi:[0,1,1]
	v_pk_fma_f32 v[22:23], v[36:37], v[40:41], v[22:23] neg_lo:[0,0,1] neg_hi:[0,0,1]
	v_lshl_add_u64 v[36:37], v[8:9], 3, v[20:21]
	s_delay_alu instid0(VALU_DEP_3)
	v_mov_b32_e32 v23, v39
	s_cbranch_vccz .LBB525_18
; %bb.17:                               ;   in Loop: Header=BB525_6 Depth=1
	flat_load_b64 v[38:39], v[36:37]
	v_mov_b64_e32 v[40:41], s[24:25]
	v_mov_b64_e32 v[42:43], s[2:3]
	s_mov_b32 s23, 0
	s_wait_loadcnt_dscnt 0x0
	s_delay_alu instid0(VALU_DEP_2) | instskip(NEXT) | instid1(VALU_DEP_1)
	v_pk_mul_f32 v[40:41], v[38:39], v[40:41]
	v_pk_fma_f32 v[44:45], v[38:39], v[42:43], v[40:41] op_sel:[0,0,1] op_sel_hi:[1,1,0]
	v_pk_fma_f32 v[38:39], v[38:39], v[42:43], v[40:41] op_sel:[0,0,1] op_sel_hi:[1,1,0] neg_lo:[0,0,1] neg_hi:[0,0,1]
	s_delay_alu instid0(VALU_DEP_2) | instskip(NEXT) | instid1(VALU_DEP_1)
	v_mov_b32_e32 v39, v45
	v_pk_add_f32 v[38:39], v[22:23], v[38:39]
	flat_store_b64 v[36:37], v[38:39]
.LBB525_18:                             ;   in Loop: Header=BB525_6 Depth=1
	s_and_not1_b32 vcc_lo, exec_lo, s23
	s_cbranch_vccnz .LBB525_20
; %bb.19:                               ;   in Loop: Header=BB525_6 Depth=1
	flat_store_b64 v[36:37], v[22:23]
.LBB525_20:                             ;   in Loop: Header=BB525_6 Depth=1
	s_wait_xcnt 0x0
	s_or_b32 exec_lo, exec_lo, s22
	s_and_saveexec_b32 s22, s34
	s_cbranch_execz .LBB525_25
; %bb.21:                               ;   in Loop: Header=BB525_6 Depth=1
	v_mov_b64_e32 v[22:23], s[4:5]
	v_mov_b64_e32 v[36:37], s[18:19]
	v_lshl_add_u64 v[20:21], v[14:15], 3, v[20:21]
	s_and_not1_b32 vcc_lo, exec_lo, s31
	s_mov_b32 s23, -1
	s_delay_alu instid0(VALU_DEP_3) | instskip(NEXT) | instid1(VALU_DEP_1)
	v_pk_mul_f32 v[22:23], v[34:35], v[22:23] op_sel_hi:[0,1]
	v_pk_fma_f32 v[34:35], v[32:33], v[36:37], v[22:23] op_sel_hi:[0,1,1]
	v_pk_fma_f32 v[22:23], v[32:33], v[36:37], v[22:23] neg_lo:[0,0,1] neg_hi:[0,0,1]
	s_delay_alu instid0(VALU_DEP_2)
	v_mov_b32_e32 v23, v35
	s_cbranch_vccnz .LBB525_23
; %bb.22:                               ;   in Loop: Header=BB525_6 Depth=1
	flat_load_b64 v[32:33], v[20:21]
	v_mov_b64_e32 v[34:35], s[24:25]
	v_mov_b64_e32 v[36:37], s[2:3]
	s_mov_b32 s23, 0
	s_wait_loadcnt_dscnt 0x0
	s_delay_alu instid0(VALU_DEP_2) | instskip(NEXT) | instid1(VALU_DEP_1)
	v_pk_mul_f32 v[34:35], v[32:33], v[34:35]
	v_pk_fma_f32 v[38:39], v[32:33], v[36:37], v[34:35] op_sel:[0,0,1] op_sel_hi:[1,1,0]
	v_pk_fma_f32 v[32:33], v[32:33], v[36:37], v[34:35] op_sel:[0,0,1] op_sel_hi:[1,1,0] neg_lo:[0,0,1] neg_hi:[0,0,1]
	s_delay_alu instid0(VALU_DEP_2) | instskip(NEXT) | instid1(VALU_DEP_1)
	v_mov_b32_e32 v33, v39
	v_pk_add_f32 v[32:33], v[22:23], v[32:33]
	flat_store_b64 v[20:21], v[32:33]
.LBB525_23:                             ;   in Loop: Header=BB525_6 Depth=1
	s_and_not1_b32 vcc_lo, exec_lo, s23
	s_cbranch_vccnz .LBB525_25
; %bb.24:                               ;   in Loop: Header=BB525_6 Depth=1
	flat_store_b64 v[20:21], v[22:23]
.LBB525_25:                             ;   in Loop: Header=BB525_6 Depth=1
	s_wait_xcnt 0x0
	s_or_b32 exec_lo, exec_lo, s22
	v_lshl_add_u64 v[18:19], v[12:13], 3, v[18:19]
	s_and_saveexec_b32 s22, s35
	s_cbranch_execz .LBB525_30
; %bb.26:                               ;   in Loop: Header=BB525_6 Depth=1
	v_mov_b64_e32 v[20:21], s[4:5]
	v_mov_b64_e32 v[22:23], s[18:19]
	s_and_not1_b32 vcc_lo, exec_lo, s31
	s_mov_b32 s23, -1
	s_delay_alu instid0(VALU_DEP_2) | instskip(NEXT) | instid1(VALU_DEP_1)
	v_pk_mul_f32 v[20:21], v[30:31], v[20:21] op_sel_hi:[0,1]
	v_pk_fma_f32 v[30:31], v[28:29], v[22:23], v[20:21] op_sel_hi:[0,1,1]
	v_pk_fma_f32 v[20:21], v[28:29], v[22:23], v[20:21] neg_lo:[0,0,1] neg_hi:[0,0,1]
	v_lshl_add_u64 v[22:23], v[8:9], 3, v[18:19]
	s_delay_alu instid0(VALU_DEP_3)
	v_mov_b32_e32 v21, v31
	s_cbranch_vccnz .LBB525_28
; %bb.27:                               ;   in Loop: Header=BB525_6 Depth=1
	flat_load_b64 v[28:29], v[22:23]
	v_mov_b64_e32 v[30:31], s[24:25]
	v_mov_b64_e32 v[32:33], s[2:3]
	s_mov_b32 s23, 0
	s_wait_loadcnt_dscnt 0x0
	s_delay_alu instid0(VALU_DEP_2) | instskip(NEXT) | instid1(VALU_DEP_1)
	v_pk_mul_f32 v[30:31], v[28:29], v[30:31]
	v_pk_fma_f32 v[34:35], v[28:29], v[32:33], v[30:31] op_sel:[0,0,1] op_sel_hi:[1,1,0]
	v_pk_fma_f32 v[28:29], v[28:29], v[32:33], v[30:31] op_sel:[0,0,1] op_sel_hi:[1,1,0] neg_lo:[0,0,1] neg_hi:[0,0,1]
	s_delay_alu instid0(VALU_DEP_2) | instskip(NEXT) | instid1(VALU_DEP_1)
	v_mov_b32_e32 v29, v35
	v_pk_add_f32 v[28:29], v[20:21], v[28:29]
	flat_store_b64 v[22:23], v[28:29]
.LBB525_28:                             ;   in Loop: Header=BB525_6 Depth=1
	s_and_not1_b32 vcc_lo, exec_lo, s23
	s_cbranch_vccnz .LBB525_30
; %bb.29:                               ;   in Loop: Header=BB525_6 Depth=1
	flat_store_b64 v[22:23], v[20:21]
.LBB525_30:                             ;   in Loop: Header=BB525_6 Depth=1
	s_wait_xcnt 0x0
	s_or_b32 exec_lo, exec_lo, s22
	s_and_saveexec_b32 s22, s36
	s_cbranch_execz .LBB525_5
; %bb.31:                               ;   in Loop: Header=BB525_6 Depth=1
	v_mov_b64_e32 v[20:21], s[4:5]
	v_mov_b64_e32 v[22:23], s[18:19]
	v_lshl_add_u64 v[18:19], v[14:15], 3, v[18:19]
	s_and_not1_b32 vcc_lo, exec_lo, s31
	s_mov_b32 s23, -1
	s_delay_alu instid0(VALU_DEP_3) | instskip(NEXT) | instid1(VALU_DEP_1)
	v_pk_mul_f32 v[20:21], v[26:27], v[20:21] op_sel_hi:[0,1]
	v_pk_fma_f32 v[28:29], v[24:25], v[22:23], v[20:21] op_sel_hi:[0,1,1]
	v_pk_fma_f32 v[20:21], v[24:25], v[22:23], v[20:21] neg_lo:[0,0,1] neg_hi:[0,0,1]
	s_delay_alu instid0(VALU_DEP_2)
	v_mov_b32_e32 v21, v29
	s_cbranch_vccnz .LBB525_33
; %bb.32:                               ;   in Loop: Header=BB525_6 Depth=1
	flat_load_b64 v[22:23], v[18:19]
	v_mov_b64_e32 v[28:29], s[24:25]
	v_mov_b64_e32 v[30:31], s[2:3]
	s_mov_b32 s23, 0
	s_wait_loadcnt_dscnt 0x0
	s_delay_alu instid0(VALU_DEP_2) | instskip(NEXT) | instid1(VALU_DEP_1)
	v_pk_mul_f32 v[28:29], v[22:23], v[28:29]
	v_pk_fma_f32 v[32:33], v[22:23], v[30:31], v[28:29] op_sel:[0,0,1] op_sel_hi:[1,1,0]
	v_pk_fma_f32 v[22:23], v[22:23], v[30:31], v[28:29] op_sel:[0,0,1] op_sel_hi:[1,1,0] neg_lo:[0,0,1] neg_hi:[0,0,1]
	s_delay_alu instid0(VALU_DEP_2) | instskip(NEXT) | instid1(VALU_DEP_1)
	v_mov_b32_e32 v23, v33
	v_pk_add_f32 v[22:23], v[20:21], v[22:23]
	flat_store_b64 v[18:19], v[22:23]
.LBB525_33:                             ;   in Loop: Header=BB525_6 Depth=1
	s_and_not1_b32 vcc_lo, exec_lo, s23
	s_cbranch_vccnz .LBB525_5
; %bb.34:                               ;   in Loop: Header=BB525_6 Depth=1
	flat_store_b64 v[18:19], v[20:21]
	s_branch .LBB525_5
.LBB525_35:
	s_sendmsg sendmsg(MSG_DEALLOC_VGPRS)
	s_endpgm
	.section	.rodata,"a",@progbits
	.p2align	6, 0x0
	.amdhsa_kernel _ZL29rocblas_internal_gemmt_kernelIlLi16ELi32ELi8ELc84ELc78ELc85ELb0ELb0E19rocblas_complex_numIfES1_PKPKS1_PKPS1_EviT_T9_T10_S9_lSB_S9_lSA_T11_S9_li
		.amdhsa_group_segment_fixed_size 4096
		.amdhsa_private_segment_fixed_size 0
		.amdhsa_kernarg_size 108
		.amdhsa_user_sgpr_count 2
		.amdhsa_user_sgpr_dispatch_ptr 0
		.amdhsa_user_sgpr_queue_ptr 0
		.amdhsa_user_sgpr_kernarg_segment_ptr 1
		.amdhsa_user_sgpr_dispatch_id 0
		.amdhsa_user_sgpr_kernarg_preload_length 0
		.amdhsa_user_sgpr_kernarg_preload_offset 0
		.amdhsa_user_sgpr_private_segment_size 0
		.amdhsa_wavefront_size32 1
		.amdhsa_uses_dynamic_stack 0
		.amdhsa_enable_private_segment 0
		.amdhsa_system_sgpr_workgroup_id_x 1
		.amdhsa_system_sgpr_workgroup_id_y 1
		.amdhsa_system_sgpr_workgroup_id_z 1
		.amdhsa_system_sgpr_workgroup_info 0
		.amdhsa_system_vgpr_workitem_id 1
		.amdhsa_next_free_vgpr 72
		.amdhsa_next_free_sgpr 39
		.amdhsa_named_barrier_count 0
		.amdhsa_reserve_vcc 1
		.amdhsa_float_round_mode_32 0
		.amdhsa_float_round_mode_16_64 0
		.amdhsa_float_denorm_mode_32 3
		.amdhsa_float_denorm_mode_16_64 3
		.amdhsa_fp16_overflow 0
		.amdhsa_memory_ordered 1
		.amdhsa_forward_progress 1
		.amdhsa_inst_pref_size 26
		.amdhsa_round_robin_scheduling 0
		.amdhsa_exception_fp_ieee_invalid_op 0
		.amdhsa_exception_fp_denorm_src 0
		.amdhsa_exception_fp_ieee_div_zero 0
		.amdhsa_exception_fp_ieee_overflow 0
		.amdhsa_exception_fp_ieee_underflow 0
		.amdhsa_exception_fp_ieee_inexact 0
		.amdhsa_exception_int_div_zero 0
	.end_amdhsa_kernel
	.section	.text._ZL29rocblas_internal_gemmt_kernelIlLi16ELi32ELi8ELc84ELc78ELc85ELb0ELb0E19rocblas_complex_numIfES1_PKPKS1_PKPS1_EviT_T9_T10_S9_lSB_S9_lSA_T11_S9_li,"axG",@progbits,_ZL29rocblas_internal_gemmt_kernelIlLi16ELi32ELi8ELc84ELc78ELc85ELb0ELb0E19rocblas_complex_numIfES1_PKPKS1_PKPS1_EviT_T9_T10_S9_lSB_S9_lSA_T11_S9_li,comdat
.Lfunc_end525:
	.size	_ZL29rocblas_internal_gemmt_kernelIlLi16ELi32ELi8ELc84ELc78ELc85ELb0ELb0E19rocblas_complex_numIfES1_PKPKS1_PKPS1_EviT_T9_T10_S9_lSB_S9_lSA_T11_S9_li, .Lfunc_end525-_ZL29rocblas_internal_gemmt_kernelIlLi16ELi32ELi8ELc84ELc78ELc85ELb0ELb0E19rocblas_complex_numIfES1_PKPKS1_PKPS1_EviT_T9_T10_S9_lSB_S9_lSA_T11_S9_li
                                        ; -- End function
	.set _ZL29rocblas_internal_gemmt_kernelIlLi16ELi32ELi8ELc84ELc78ELc85ELb0ELb0E19rocblas_complex_numIfES1_PKPKS1_PKPS1_EviT_T9_T10_S9_lSB_S9_lSA_T11_S9_li.num_vgpr, 72
	.set _ZL29rocblas_internal_gemmt_kernelIlLi16ELi32ELi8ELc84ELc78ELc85ELb0ELb0E19rocblas_complex_numIfES1_PKPKS1_PKPS1_EviT_T9_T10_S9_lSB_S9_lSA_T11_S9_li.num_agpr, 0
	.set _ZL29rocblas_internal_gemmt_kernelIlLi16ELi32ELi8ELc84ELc78ELc85ELb0ELb0E19rocblas_complex_numIfES1_PKPKS1_PKPS1_EviT_T9_T10_S9_lSB_S9_lSA_T11_S9_li.numbered_sgpr, 39
	.set _ZL29rocblas_internal_gemmt_kernelIlLi16ELi32ELi8ELc84ELc78ELc85ELb0ELb0E19rocblas_complex_numIfES1_PKPKS1_PKPS1_EviT_T9_T10_S9_lSB_S9_lSA_T11_S9_li.num_named_barrier, 0
	.set _ZL29rocblas_internal_gemmt_kernelIlLi16ELi32ELi8ELc84ELc78ELc85ELb0ELb0E19rocblas_complex_numIfES1_PKPKS1_PKPS1_EviT_T9_T10_S9_lSB_S9_lSA_T11_S9_li.private_seg_size, 0
	.set _ZL29rocblas_internal_gemmt_kernelIlLi16ELi32ELi8ELc84ELc78ELc85ELb0ELb0E19rocblas_complex_numIfES1_PKPKS1_PKPS1_EviT_T9_T10_S9_lSB_S9_lSA_T11_S9_li.uses_vcc, 1
	.set _ZL29rocblas_internal_gemmt_kernelIlLi16ELi32ELi8ELc84ELc78ELc85ELb0ELb0E19rocblas_complex_numIfES1_PKPKS1_PKPS1_EviT_T9_T10_S9_lSB_S9_lSA_T11_S9_li.uses_flat_scratch, 0
	.set _ZL29rocblas_internal_gemmt_kernelIlLi16ELi32ELi8ELc84ELc78ELc85ELb0ELb0E19rocblas_complex_numIfES1_PKPKS1_PKPS1_EviT_T9_T10_S9_lSB_S9_lSA_T11_S9_li.has_dyn_sized_stack, 0
	.set _ZL29rocblas_internal_gemmt_kernelIlLi16ELi32ELi8ELc84ELc78ELc85ELb0ELb0E19rocblas_complex_numIfES1_PKPKS1_PKPS1_EviT_T9_T10_S9_lSB_S9_lSA_T11_S9_li.has_recursion, 0
	.set _ZL29rocblas_internal_gemmt_kernelIlLi16ELi32ELi8ELc84ELc78ELc85ELb0ELb0E19rocblas_complex_numIfES1_PKPKS1_PKPS1_EviT_T9_T10_S9_lSB_S9_lSA_T11_S9_li.has_indirect_call, 0
	.section	.AMDGPU.csdata,"",@progbits
; Kernel info:
; codeLenInByte = 3236
; TotalNumSgprs: 41
; NumVgprs: 72
; ScratchSize: 0
; MemoryBound: 0
; FloatMode: 240
; IeeeMode: 1
; LDSByteSize: 4096 bytes/workgroup (compile time only)
; SGPRBlocks: 0
; VGPRBlocks: 4
; NumSGPRsForWavesPerEU: 41
; NumVGPRsForWavesPerEU: 72
; NamedBarCnt: 0
; Occupancy: 12
; WaveLimiterHint : 1
; COMPUTE_PGM_RSRC2:SCRATCH_EN: 0
; COMPUTE_PGM_RSRC2:USER_SGPR: 2
; COMPUTE_PGM_RSRC2:TRAP_HANDLER: 0
; COMPUTE_PGM_RSRC2:TGID_X_EN: 1
; COMPUTE_PGM_RSRC2:TGID_Y_EN: 1
; COMPUTE_PGM_RSRC2:TGID_Z_EN: 1
; COMPUTE_PGM_RSRC2:TIDIG_COMP_CNT: 1
	.section	.text._ZL29rocblas_internal_gemmt_kernelIlLi16ELi32ELi8ELc84ELc84ELc85ELb0ELb0E19rocblas_complex_numIfES1_PKPKS1_PKPS1_EviT_T9_T10_S9_lSB_S9_lSA_T11_S9_li,"axG",@progbits,_ZL29rocblas_internal_gemmt_kernelIlLi16ELi32ELi8ELc84ELc84ELc85ELb0ELb0E19rocblas_complex_numIfES1_PKPKS1_PKPS1_EviT_T9_T10_S9_lSB_S9_lSA_T11_S9_li,comdat
	.globl	_ZL29rocblas_internal_gemmt_kernelIlLi16ELi32ELi8ELc84ELc84ELc85ELb0ELb0E19rocblas_complex_numIfES1_PKPKS1_PKPS1_EviT_T9_T10_S9_lSB_S9_lSA_T11_S9_li ; -- Begin function _ZL29rocblas_internal_gemmt_kernelIlLi16ELi32ELi8ELc84ELc84ELc85ELb0ELb0E19rocblas_complex_numIfES1_PKPKS1_PKPS1_EviT_T9_T10_S9_lSB_S9_lSA_T11_S9_li
	.p2align	8
	.type	_ZL29rocblas_internal_gemmt_kernelIlLi16ELi32ELi8ELc84ELc84ELc85ELb0ELb0E19rocblas_complex_numIfES1_PKPKS1_PKPS1_EviT_T9_T10_S9_lSB_S9_lSA_T11_S9_li,@function
_ZL29rocblas_internal_gemmt_kernelIlLi16ELi32ELi8ELc84ELc84ELc85ELb0ELb0E19rocblas_complex_numIfES1_PKPKS1_PKPS1_EviT_T9_T10_S9_lSB_S9_lSA_T11_S9_li: ; @_ZL29rocblas_internal_gemmt_kernelIlLi16ELi32ELi8ELc84ELc84ELc85ELb0ELb0E19rocblas_complex_numIfES1_PKPKS1_PKPS1_EviT_T9_T10_S9_lSB_S9_lSA_T11_S9_li
; %bb.0:
	s_clause 0x1
	s_load_b64 s[6:7], s[0:1], 0x48
	s_load_b128 s[16:19], s[0:1], 0x8
	s_wait_kmcnt 0x0
	s_cmp_neq_f32 s6, 1.0
	s_cselect_b32 s2, -1, 0
	s_and_b32 s4, s7, 0x7fffffff
	s_delay_alu instid0(SALU_CYCLE_1) | instskip(SKIP_3) | instid1(SALU_CYCLE_1)
	s_cmp_eq_u32 s4, 0
	s_cselect_b32 s3, -1, 0
	s_cmp_lg_u32 s4, 0
	s_cselect_b32 s4, -1, 0
	s_or_b32 s2, s2, s4
	s_delay_alu instid0(SALU_CYCLE_1)
	s_and_b32 vcc_lo, exec_lo, s2
	s_cbranch_vccnz .LBB526_2
; %bb.1:
	s_cmp_lg_u64 s[16:17], 0
	s_cselect_b32 s2, -1, 0
	s_cmp_neq_f32 s18, 0
	s_cselect_b32 s4, -1, 0
	s_cmp_neq_f32 s19, 0
	s_cselect_b32 s5, -1, 0
	s_delay_alu instid0(SALU_CYCLE_1) | instskip(NEXT) | instid1(SALU_CYCLE_1)
	s_or_b32 s4, s4, s5
	s_and_b32 s2, s2, s4
.LBB526_2:
	s_delay_alu instid0(SALU_CYCLE_1)
	s_and_not1_b32 vcc_lo, exec_lo, s2
	s_cbranch_vccnz .LBB526_35
; %bb.3:
	s_load_b32 s30, s[0:1], 0x68
	s_bfe_u32 s2, ttmp6, 0x40014
	s_lshr_b32 s4, ttmp7, 16
	s_add_co_i32 s2, s2, 1
	s_bfe_u32 s8, ttmp6, 0x40008
	s_mul_i32 s5, s4, s2
	s_getreg_b32 s2, hwreg(HW_REG_IB_STS2, 6, 4)
	s_add_co_i32 s8, s8, s5
	s_cmp_eq_u32 s2, 0
	s_mov_b32 s29, 0
	s_cselect_b32 s28, s4, s8
	s_wait_kmcnt 0x0
	s_cmp_ge_u32 s28, s30
	s_cbranch_scc1 .LBB526_35
; %bb.4:
	v_and_b32_e32 v9, 0x3ff, v0
	v_bfe_u32 v15, v0, 10, 10
	s_bfe_u32 s8, ttmp6, 0x4000c
	s_bfe_u32 s9, ttmp6, 0x40010
	s_and_b32 s20, ttmp7, 0xffff
	s_add_co_i32 s8, s8, 1
	s_add_co_i32 s9, s9, 1
	s_and_b32 s5, ttmp6, 15
	v_lshl_add_u32 v1, v15, 4, v9
	s_mul_i32 s8, ttmp9, s8
	s_mul_i32 s9, s20, s9
	s_bfe_u32 s10, ttmp6, 0x40004
	s_add_co_i32 s5, s5, s8
	s_add_co_i32 s21, s10, s9
	s_cmp_eq_u32 s2, 0
	v_dual_lshrrev_b32 v2, 5, v1 :: v_dual_bitop2_b32 v0, 7, v0 bitop3:0x40
	s_clause 0x1
	s_load_b32 s4, s[0:1], 0x0
	s_load_b256 s[8:15], s[0:1], 0x18
	s_cselect_b32 s2, ttmp9, s5
	s_cselect_b32 s5, s20, s21
	v_dual_lshrrev_b32 v3, 3, v1 :: v_dual_bitop2_b32 v1, 31, v1 bitop3:0x40
	s_clause 0x1
	s_load_b128 s[20:23], s[0:1], 0x38
	s_load_b128 s[24:27], s[0:1], 0x50
	s_lshl_b32 s2, s2, 5
	s_lshl_b32 s5, s5, 5
	s_cmp_neq_f32 s18, 0
	v_dual_add_nc_u32 v4, s5, v3 :: v_dual_bitop2_b32 v6, s2, v1 bitop3:0x54
	v_dual_lshlrev_b32 v1, 3, v1 :: v_dual_add_nc_u32 v16, s5, v15
	s_cselect_b32 s31, -1, 0
	s_cmp_neq_f32 s19, 0
	s_delay_alu instid0(VALU_DEP_2) | instskip(NEXT) | instid1(VALU_DEP_2)
	v_dual_lshlrev_b32 v5, 3, v0 :: v_dual_ashrrev_i32 v7, 31, v6
	v_dual_add_nc_u32 v18, 16, v16 :: v_dual_ashrrev_i32 v17, 31, v16
	s_load_b64 s[38:39], s[0:1], 0x60
	s_wait_xcnt 0x0
	s_cselect_b32 s0, -1, 0
	s_delay_alu instid0(VALU_DEP_1)
	v_dual_add_nc_u32 v8, s2, v9 :: v_dual_ashrrev_i32 v19, 31, v18
	s_or_b32 s37, s31, s0
	s_wait_kmcnt 0x0
	v_cmp_gt_i32_e64 s0, s4, v6
	v_mul_u64_e32 v[6:7], s[10:11], v[6:7]
	v_mul_u64_e32 v[10:11], s[26:27], v[16:17]
	;; [unrolled: 1-line block ×3, first 2 shown]
	s_cmp_neq_f32 s6, 0
	v_cmp_gt_i32_e32 vcc_lo, s4, v16
	v_cmp_le_i32_e64 s2, v8, v16
	v_add_nc_u32_e32 v14, 16, v8
	v_lshl_or_b32 v3, v3, 6, v5
	v_cmp_gt_i64_e64 s40, s[16:17], 0
	s_cselect_b32 s5, -1, 0
	s_xor_b32 s3, s3, -1
	v_cmp_gt_i32_e64 s1, s4, v4
	v_dual_ashrrev_i32 v5, 31, v4 :: v_dual_lshlrev_b32 v25, 3, v9
	s_or_b32 s31, s5, s3
	s_and_b32 s33, vcc_lo, s2
	v_cmp_gt_i32_e64 s3, s4, v18
	v_cmp_le_i32_e64 s4, v8, v18
	v_ashrrev_i32_e32 v9, 31, v8
	v_cmp_le_i32_e64 s2, v14, v16
	v_cmp_le_i32_e64 s5, v14, v18
	v_lshl_or_b32 v1, v2, 8, v1
	v_add_nc_u32_e32 v3, 0x800, v3
	v_lshl_add_u32 v27, v15, 6, 0x800
	v_dual_ashrrev_i32 v15, 31, v14 :: v_dual_mov_b32 v17, 0
	s_and_b32 s34, vcc_lo, s2
	s_and_b32 s35, s3, s4
	s_and_b32 s36, s3, s5
	s_mov_b32 s2, s6
	s_mov_b32 s3, s6
	s_mov_b32 s6, s7
	s_mov_b32 s4, s19
	s_mov_b32 s5, s18
	s_and_b32 s37, s37, s40
	s_lshl_b64 s[10:11], s[22:23], 3
	s_lshl_b64 s[12:13], s[12:13], 3
	;; [unrolled: 1-line block ×3, first 2 shown]
	s_branch .LBB526_6
.LBB526_5:                              ;   in Loop: Header=BB526_6 Depth=1
	s_wait_xcnt 0x0
	s_or_b32 exec_lo, exec_lo, s26
	s_add_co_i32 s28, s28, 0x10000
	s_delay_alu instid0(SALU_CYCLE_1)
	s_cmp_lt_u32 s28, s30
	s_cbranch_scc0 .LBB526_35
.LBB526_6:                              ; =>This Loop Header: Depth=1
                                        ;     Child Loop BB526_9 Depth 2
	v_dual_mov_b32 v16, s28 :: v_dual_mov_b32 v36, v17
	v_dual_mov_b32 v38, v17 :: v_dual_mov_b32 v32, v17
	;; [unrolled: 1-line block ×3, first 2 shown]
	global_load_b64 v[18:19], v16, s[24:25] scale_offset
	v_dual_mov_b32 v30, v17 :: v_dual_mov_b32 v24, v17
	v_mov_b32_e32 v26, v17
	s_and_not1_b32 vcc_lo, exec_lo, s37
	s_cbranch_vccnz .LBB526_15
; %bb.7:                                ;   in Loop: Header=BB526_6 Depth=1
	s_lshl_b64 s[26:27], s[28:29], 3
	v_dual_mov_b32 v26, 0 :: v_dual_mov_b32 v24, 0
	s_add_nc_u64 s[38:39], s[8:9], s[26:27]
	s_add_nc_u64 s[26:27], s[14:15], s[26:27]
	s_clause 0x1
	global_load_b64 v[20:21], v17, s[38:39]
	global_load_b64 v[22:23], v17, s[26:27]
	v_dual_mov_b32 v30, 0 :: v_dual_mov_b32 v28, 0
	v_dual_mov_b32 v34, 0 :: v_dual_mov_b32 v32, 0
	;; [unrolled: 1-line block ×3, first 2 shown]
	s_wait_xcnt 0x0
	s_mov_b64 s[26:27], 0
	s_wait_loadcnt 0x1
	v_add_nc_u64_e32 v[20:21], s[12:13], v[20:21]
	s_wait_loadcnt 0x0
	v_add_nc_u64_e32 v[22:23], s[10:11], v[22:23]
	s_delay_alu instid0(VALU_DEP_2) | instskip(NEXT) | instid1(VALU_DEP_2)
	v_lshl_add_u64 v[20:21], v[6:7], 3, v[20:21]
	v_lshl_add_u64 v[22:23], v[4:5], 3, v[22:23]
	s_branch .LBB526_9
.LBB526_8:                              ;   in Loop: Header=BB526_9 Depth=2
	s_wait_xcnt 0x0
	s_or_b32 exec_lo, exec_lo, s38
	s_wait_loadcnt_dscnt 0x0
	ds_store_b64 v3, v[42:43]
	s_wait_dscnt 0x0
	s_barrier_signal -1
	s_barrier_wait -1
	ds_load_b128 v[40:43], v27
	ds_load_2addr_b64 v[44:47], v25 offset1:16
	ds_load_b128 v[48:51], v27 offset:1024
	ds_load_b128 v[52:55], v27 offset:16
	;; [unrolled: 1-line block ×4, first 2 shown]
	ds_load_2addr_b64 v[64:67], v25 offset0:32 offset1:48
	ds_load_b128 v[68:71], v27 offset:1040
	s_add_nc_u64 s[26:27], s[26:27], 8
	s_delay_alu instid0(SALU_CYCLE_1)
	v_cmp_gt_i64_e64 s38, s[16:17], s[26:27]
	s_and_b32 vcc_lo, exec_lo, s38
	s_wait_dscnt 0x6
	v_dual_mul_f32 v16, v41, v45 :: v_dual_mul_f32 v29, v40, v45
	v_dual_mul_f32 v31, v41, v47 :: v_dual_mul_f32 v33, v40, v47
	s_wait_dscnt 0x5
	v_dual_mul_f32 v35, v49, v45 :: v_dual_mul_f32 v37, v48, v45
	v_dual_mul_f32 v39, v49, v47 :: v_dual_mul_f32 v45, v48, v47
	v_dual_fma_f32 v16, v40, v44, -v16 :: v_dual_fmac_f32 v29, v41, v44
	v_dual_fma_f32 v31, v40, v46, -v31 :: v_dual_fmac_f32 v33, v41, v46
	s_delay_alu instid0(VALU_DEP_4) | instskip(NEXT) | instid1(VALU_DEP_3)
	v_dual_fma_f32 v35, v48, v44, -v35 :: v_dual_fmac_f32 v37, v49, v44
	v_dual_add_f32 v16, v36, v16 :: v_dual_add_f32 v36, v38, v29
	v_fma_f32 v29, v48, v46, -v39
	s_delay_alu instid0(VALU_DEP_4) | instskip(NEXT) | instid1(VALU_DEP_4)
	v_dual_add_f32 v32, v32, v31 :: v_dual_add_f32 v33, v34, v33
	v_dual_add_f32 v34, v28, v35 :: v_dual_add_f32 v35, v30, v37
	s_wait_dscnt 0x1
	v_dual_mul_f32 v37, v43, v65 :: v_dual_fmac_f32 v45, v49, v46
	v_add_f32_e32 v24, v24, v29
	ds_load_2addr_b64 v[28:31], v25 offset0:64 offset1:80
	v_dual_mul_f32 v38, v42, v65 :: v_dual_fma_f32 v37, v42, v64, -v37
	v_dual_mul_f32 v39, v43, v67 :: v_dual_add_f32 v26, v26, v45
	s_delay_alu instid0(VALU_DEP_2) | instskip(NEXT) | instid1(VALU_DEP_2)
	v_dual_mul_f32 v40, v42, v67 :: v_dual_fmac_f32 v38, v43, v64
	v_dual_add_f32 v16, v16, v37 :: v_dual_fma_f32 v37, v42, v66, -v39
	v_mul_f32_e32 v39, v51, v65
	s_delay_alu instid0(VALU_DEP_3) | instskip(NEXT) | instid1(VALU_DEP_4)
	v_fmac_f32_e32 v40, v43, v66
	v_dual_add_f32 v36, v36, v38 :: v_dual_mul_f32 v38, v50, v65
	s_delay_alu instid0(VALU_DEP_3) | instskip(NEXT) | instid1(VALU_DEP_3)
	v_dual_add_f32 v37, v32, v37 :: v_dual_fma_f32 v32, v50, v64, -v39
	v_dual_mul_f32 v39, v51, v67 :: v_dual_add_f32 v40, v33, v40
	s_delay_alu instid0(VALU_DEP_3) | instskip(SKIP_1) | instid1(VALU_DEP_3)
	v_dual_fmac_f32 v38, v51, v64 :: v_dual_mul_f32 v41, v50, v67
	s_wait_dscnt 0x0
	v_dual_add_f32 v42, v34, v32 :: v_dual_mul_f32 v33, v53, v29
	s_delay_alu instid0(VALU_DEP_3) | instskip(NEXT) | instid1(VALU_DEP_3)
	v_fma_f32 v32, v50, v66, -v39
	v_dual_add_f32 v38, v35, v38 :: v_dual_mul_f32 v39, v52, v29
	v_fmac_f32_e32 v41, v51, v66
	s_delay_alu instid0(VALU_DEP_4) | instskip(NEXT) | instid1(VALU_DEP_4)
	v_fma_f32 v43, v52, v28, -v33
	v_dual_add_f32 v24, v24, v32 :: v_dual_mul_f32 v44, v53, v31
	ds_load_2addr_b64 v[32:35], v25 offset0:96 offset1:112
	v_dual_fmac_f32 v39, v53, v28 :: v_dual_add_f32 v26, v26, v41
	v_add_f32_e32 v16, v16, v43
	v_dual_mul_f32 v41, v52, v31 :: v_dual_fma_f32 v43, v52, v30, -v44
	s_delay_alu instid0(VALU_DEP_3) | instskip(NEXT) | instid1(VALU_DEP_2)
	v_dual_add_f32 v36, v36, v39 :: v_dual_mul_f32 v39, v69, v29
	v_dual_mul_f32 v29, v68, v29 :: v_dual_fmac_f32 v41, v53, v30
	s_delay_alu instid0(VALU_DEP_3) | instskip(NEXT) | instid1(VALU_DEP_3)
	v_add_f32_e32 v37, v37, v43
	v_dual_mul_f32 v43, v69, v31 :: v_dual_fma_f32 v39, v68, v28, -v39
	s_delay_alu instid0(VALU_DEP_3) | instskip(NEXT) | instid1(VALU_DEP_4)
	v_dual_fmac_f32 v29, v69, v28 :: v_dual_mul_f32 v44, v68, v31
	v_add_f32_e32 v40, v40, v41
	s_delay_alu instid0(VALU_DEP_3) | instskip(NEXT) | instid1(VALU_DEP_3)
	v_dual_fma_f32 v28, v68, v30, -v43 :: v_dual_add_f32 v41, v42, v39
	v_dual_add_f32 v42, v38, v29 :: v_dual_fmac_f32 v44, v69, v30
	s_wait_dscnt 0x0
	s_delay_alu instid0(VALU_DEP_2) | instskip(SKIP_2) | instid1(VALU_DEP_1)
	v_dual_mul_f32 v38, v55, v33 :: v_dual_add_f32 v24, v24, v28
	ds_load_2addr_b64 v[28:31], v25 offset0:128 offset1:144
	v_dual_mul_f32 v39, v54, v33 :: v_dual_mul_f32 v43, v55, v35
	v_dual_fma_f32 v38, v54, v32, -v38 :: v_dual_fmac_f32 v39, v55, v32
	s_delay_alu instid0(VALU_DEP_1) | instskip(NEXT) | instid1(VALU_DEP_3)
	v_dual_add_f32 v26, v26, v44 :: v_dual_add_f32 v16, v16, v38
	v_dual_mul_f32 v44, v54, v35 :: v_dual_fma_f32 v43, v54, v34, -v43
	s_delay_alu instid0(VALU_DEP_3) | instskip(NEXT) | instid1(VALU_DEP_2)
	v_dual_mul_f32 v38, v71, v33 :: v_dual_add_f32 v45, v36, v39
	v_dual_mul_f32 v33, v70, v33 :: v_dual_fmac_f32 v44, v55, v34
	s_delay_alu instid0(VALU_DEP_2)
	v_dual_add_f32 v46, v37, v43 :: v_dual_fma_f32 v43, v70, v32, -v38
	v_mul_f32_e32 v47, v71, v35
	ds_load_b128 v[36:39], v27 offset:1056
	v_add_f32_e32 v44, v40, v44
	v_dual_fmac_f32 v33, v71, v32 :: v_dual_mul_f32 v40, v70, v35
	v_dual_fma_f32 v32, v70, v34, -v47 :: v_dual_add_f32 v47, v41, v43
	s_wait_dscnt 0x1
	v_mul_f32_e32 v35, v57, v29
	s_delay_alu instid0(VALU_DEP_3) | instskip(NEXT) | instid1(VALU_DEP_3)
	v_dual_add_f32 v48, v42, v33 :: v_dual_fmac_f32 v40, v71, v34
	v_add_f32_e32 v24, v24, v32
	s_delay_alu instid0(VALU_DEP_3) | instskip(NEXT) | instid1(VALU_DEP_3)
	v_dual_mul_f32 v49, v56, v29 :: v_dual_fma_f32 v41, v56, v28, -v35
	v_dual_mul_f32 v42, v57, v31 :: v_dual_add_f32 v26, v26, v40
	ds_load_2addr_b64 v[32:35], v25 offset0:160 offset1:176
	v_dual_fmac_f32 v49, v57, v28 :: v_dual_add_f32 v16, v16, v41
	v_dual_fma_f32 v50, v56, v30, -v42 :: v_dual_mul_f32 v51, v56, v31
	ds_load_b128 v[40:43], v27 offset:1072
	s_wait_dscnt 0x2
	v_dual_mul_f32 v52, v37, v29 :: v_dual_mul_f32 v29, v36, v29
	v_dual_add_f32 v45, v45, v49 :: v_dual_add_f32 v46, v46, v50
	s_delay_alu instid0(VALU_DEP_2) | instskip(NEXT) | instid1(VALU_DEP_3)
	v_dual_fmac_f32 v51, v57, v30 :: v_dual_fma_f32 v49, v36, v28, -v52
	v_dual_mul_f32 v50, v37, v31 :: v_dual_fmac_f32 v29, v37, v28
	s_delay_alu instid0(VALU_DEP_2) | instskip(NEXT) | instid1(VALU_DEP_2)
	v_dual_add_f32 v44, v44, v51 :: v_dual_add_f32 v47, v47, v49
	v_dual_mul_f32 v51, v36, v31 :: v_dual_fma_f32 v28, v36, v30, -v50
	s_delay_alu instid0(VALU_DEP_3) | instskip(SKIP_2) | instid1(VALU_DEP_3)
	v_add_f32_e32 v36, v48, v29
	s_wait_dscnt 0x1
	v_dual_mul_f32 v48, v59, v33 :: v_dual_mul_f32 v49, v59, v35
	v_dual_fmac_f32 v51, v37, v30 :: v_dual_add_f32 v24, v24, v28
	ds_load_2addr_b64 v[28:31], v25 offset0:192 offset1:208
	v_dual_mul_f32 v37, v58, v33 :: v_dual_fma_f32 v48, v58, v32, -v48
	s_delay_alu instid0(VALU_DEP_1) | instskip(NEXT) | instid1(VALU_DEP_2)
	v_dual_mul_f32 v50, v58, v35 :: v_dual_fmac_f32 v37, v59, v32
	v_dual_add_f32 v26, v26, v51 :: v_dual_add_f32 v16, v16, v48
	s_delay_alu instid0(VALU_DEP_2) | instskip(NEXT) | instid1(VALU_DEP_3)
	v_dual_fma_f32 v48, v58, v34, -v49 :: v_dual_fmac_f32 v50, v59, v34
	v_add_f32_e32 v37, v45, v37
	v_dual_mul_f32 v45, v39, v33 :: v_dual_mul_f32 v33, v38, v33
	s_delay_alu instid0(VALU_DEP_3) | instskip(NEXT) | instid1(VALU_DEP_2)
	v_dual_add_f32 v48, v46, v48 :: v_dual_mul_f32 v46, v39, v35
	v_dual_add_f32 v49, v44, v50 :: v_dual_fma_f32 v45, v38, v32, -v45
	s_delay_alu instid0(VALU_DEP_3) | instskip(SKIP_1) | instid1(VALU_DEP_3)
	v_dual_fmac_f32 v33, v39, v32 :: v_dual_mul_f32 v32, v38, v35
	s_wait_dscnt 0x0
	v_dual_fma_f32 v35, v38, v34, -v46 :: v_dual_mul_f32 v44, v61, v29
	s_delay_alu instid0(VALU_DEP_3) | instskip(NEXT) | instid1(VALU_DEP_3)
	v_add_f32_e32 v38, v47, v45
	v_dual_fmac_f32 v32, v39, v34 :: v_dual_mul_f32 v34, v60, v29
	s_delay_alu instid0(VALU_DEP_3) | instskip(NEXT) | instid1(VALU_DEP_4)
	v_add_f32_e32 v24, v24, v35
	v_fma_f32 v35, v60, v28, -v44
	ds_load_2addr_b64 v[44:47], v25 offset0:224 offset1:240
	v_dual_add_f32 v33, v36, v33 :: v_dual_add_f32 v26, v26, v32
	v_dual_mul_f32 v32, v61, v31 :: v_dual_fmac_f32 v34, v61, v28
	v_dual_add_f32 v16, v16, v35 :: v_dual_mul_f32 v36, v41, v29
	s_delay_alu instid0(VALU_DEP_2) | instskip(NEXT) | instid1(VALU_DEP_3)
	v_dual_mul_f32 v35, v60, v31 :: v_dual_fma_f32 v32, v60, v30, -v32
	v_dual_mul_f32 v29, v40, v29 :: v_dual_add_f32 v34, v37, v34
	s_delay_alu instid0(VALU_DEP_2) | instskip(NEXT) | instid1(VALU_DEP_3)
	v_dual_fma_f32 v36, v40, v28, -v36 :: v_dual_fmac_f32 v35, v61, v30
	v_add_f32_e32 v32, v48, v32
	s_delay_alu instid0(VALU_DEP_3) | instskip(SKIP_1) | instid1(VALU_DEP_4)
	v_dual_fmac_f32 v29, v41, v28 :: v_dual_mul_f32 v28, v41, v31
	v_mul_f32_e32 v31, v40, v31
	v_dual_add_f32 v35, v49, v35 :: v_dual_add_f32 v37, v38, v36
	s_delay_alu instid0(VALU_DEP_3) | instskip(SKIP_3) | instid1(VALU_DEP_3)
	v_dual_add_f32 v29, v33, v29 :: v_dual_fma_f32 v28, v40, v30, -v28
	s_wait_dscnt 0x0
	v_dual_mul_f32 v33, v63, v45 :: v_dual_mul_f32 v38, v62, v45
	v_dual_fmac_f32 v31, v41, v30 :: v_dual_mul_f32 v30, v63, v47
	v_add_f32_e32 v24, v24, v28
	s_delay_alu instid0(VALU_DEP_3) | instskip(NEXT) | instid1(VALU_DEP_3)
	v_dual_fma_f32 v28, v62, v44, -v33 :: v_dual_fmac_f32 v38, v63, v44
	v_dual_mul_f32 v33, v62, v47 :: v_dual_fma_f32 v30, v62, v46, -v30
	s_delay_alu instid0(VALU_DEP_2) | instskip(NEXT) | instid1(VALU_DEP_3)
	v_dual_add_f32 v26, v26, v31 :: v_dual_add_f32 v36, v16, v28
	v_dual_add_f32 v38, v34, v38 :: v_dual_mul_f32 v16, v43, v45
	s_delay_alu instid0(VALU_DEP_3) | instskip(NEXT) | instid1(VALU_DEP_4)
	v_fmac_f32_e32 v33, v63, v46
	v_dual_add_f32 v32, v32, v30 :: v_dual_mul_f32 v28, v43, v47
	v_dual_mul_f32 v30, v42, v45 :: v_dual_mul_f32 v31, v42, v47
	s_delay_alu instid0(VALU_DEP_3) | instskip(NEXT) | instid1(VALU_DEP_2)
	v_dual_add_f32 v34, v35, v33 :: v_dual_fma_f32 v16, v42, v44, -v16
	v_dual_fma_f32 v33, v42, v46, -v28 :: v_dual_fmac_f32 v30, v43, v44
	s_delay_alu instid0(VALU_DEP_3) | instskip(NEXT) | instid1(VALU_DEP_2)
	v_fmac_f32_e32 v31, v43, v46
	v_dual_add_f32 v28, v37, v16 :: v_dual_add_f32 v24, v24, v33
	s_delay_alu instid0(VALU_DEP_2)
	v_dual_add_f32 v30, v29, v30 :: v_dual_add_f32 v26, v26, v31
	s_barrier_signal -1
	s_barrier_wait -1
	s_cbranch_vccz .LBB526_15
.LBB526_9:                              ;   Parent Loop BB526_6 Depth=1
                                        ; =>  This Inner Loop Header: Depth=2
	v_dual_mov_b32 v40, 0 :: v_dual_mov_b32 v41, 0
	s_and_saveexec_b32 s38, s0
	s_cbranch_execz .LBB526_13
; %bb.10:                               ;   in Loop: Header=BB526_9 Depth=2
	v_dual_mov_b32 v41, 0 :: v_dual_add_nc_u32 v16, s26, v2
	v_mov_b32_e32 v40, 0
	s_mov_b32 s39, exec_lo
	s_delay_alu instid0(VALU_DEP_2)
	v_cmpx_gt_u64_e64 s[16:17], v[16:17]
	s_cbranch_execz .LBB526_12
; %bb.11:                               ;   in Loop: Header=BB526_9 Depth=2
	v_lshl_add_u64 v[40:41], v[16:17], 3, v[20:21]
	flat_load_b64 v[40:41], v[40:41]
.LBB526_12:                             ;   in Loop: Header=BB526_9 Depth=2
	s_wait_xcnt 0x0
	s_or_b32 exec_lo, exec_lo, s39
.LBB526_13:                             ;   in Loop: Header=BB526_9 Depth=2
	s_delay_alu instid0(SALU_CYCLE_1)
	s_or_b32 exec_lo, exec_lo, s38
	v_dual_add_nc_u32 v16, s26, v0 :: v_dual_mov_b32 v42, 0
	v_mov_b32_e32 v43, 0
	s_wait_loadcnt_dscnt 0x0
	ds_store_b64 v1, v[40:41]
	v_cmp_gt_u64_e32 vcc_lo, s[16:17], v[16:17]
	s_and_b32 s39, vcc_lo, s1
	s_delay_alu instid0(SALU_CYCLE_1)
	s_and_saveexec_b32 s38, s39
	s_cbranch_execz .LBB526_8
; %bb.14:                               ;   in Loop: Header=BB526_9 Depth=2
	v_mul_u64_e32 v[40:41], s[20:21], v[16:17]
	s_delay_alu instid0(VALU_DEP_1)
	v_lshl_add_u64 v[40:41], v[40:41], 3, v[22:23]
	flat_load_b64 v[42:43], v[40:41]
	s_branch .LBB526_8
.LBB526_15:                             ;   in Loop: Header=BB526_6 Depth=1
	s_wait_loadcnt 0x0
	v_add_nc_u64_e32 v[18:19], s[22:23], v[18:19]
	s_delay_alu instid0(VALU_DEP_1)
	v_lshl_add_u64 v[20:21], v[10:11], 3, v[18:19]
	s_wait_xcnt 0x0
	s_and_saveexec_b32 s26, s33
	s_cbranch_execz .LBB526_20
; %bb.16:                               ;   in Loop: Header=BB526_6 Depth=1
	v_mov_b64_e32 v[22:23], s[4:5]
	v_mov_b64_e32 v[40:41], s[18:19]
	s_and_b32 vcc_lo, exec_lo, s31
	s_mov_b32 s27, -1
	s_delay_alu instid0(VALU_DEP_2) | instskip(NEXT) | instid1(VALU_DEP_1)
	v_pk_mul_f32 v[22:23], v[38:39], v[22:23] op_sel_hi:[0,1]
	v_pk_fma_f32 v[38:39], v[36:37], v[40:41], v[22:23] op_sel_hi:[0,1,1]
	v_pk_fma_f32 v[22:23], v[36:37], v[40:41], v[22:23] neg_lo:[0,0,1] neg_hi:[0,0,1]
	v_lshl_add_u64 v[36:37], v[8:9], 3, v[20:21]
	s_delay_alu instid0(VALU_DEP_3)
	v_mov_b32_e32 v23, v39
	s_cbranch_vccz .LBB526_18
; %bb.17:                               ;   in Loop: Header=BB526_6 Depth=1
	flat_load_b64 v[38:39], v[36:37]
	v_mov_b64_e32 v[40:41], s[6:7]
	v_mov_b64_e32 v[42:43], s[2:3]
	s_mov_b32 s27, 0
	s_wait_loadcnt_dscnt 0x0
	s_delay_alu instid0(VALU_DEP_2) | instskip(NEXT) | instid1(VALU_DEP_1)
	v_pk_mul_f32 v[40:41], v[38:39], v[40:41]
	v_pk_fma_f32 v[44:45], v[38:39], v[42:43], v[40:41] op_sel:[0,0,1] op_sel_hi:[1,1,0]
	v_pk_fma_f32 v[38:39], v[38:39], v[42:43], v[40:41] op_sel:[0,0,1] op_sel_hi:[1,1,0] neg_lo:[0,0,1] neg_hi:[0,0,1]
	s_delay_alu instid0(VALU_DEP_2) | instskip(NEXT) | instid1(VALU_DEP_1)
	v_mov_b32_e32 v39, v45
	v_pk_add_f32 v[38:39], v[22:23], v[38:39]
	flat_store_b64 v[36:37], v[38:39]
.LBB526_18:                             ;   in Loop: Header=BB526_6 Depth=1
	s_and_not1_b32 vcc_lo, exec_lo, s27
	s_cbranch_vccnz .LBB526_20
; %bb.19:                               ;   in Loop: Header=BB526_6 Depth=1
	flat_store_b64 v[36:37], v[22:23]
.LBB526_20:                             ;   in Loop: Header=BB526_6 Depth=1
	s_wait_xcnt 0x0
	s_or_b32 exec_lo, exec_lo, s26
	s_and_saveexec_b32 s26, s34
	s_cbranch_execz .LBB526_25
; %bb.21:                               ;   in Loop: Header=BB526_6 Depth=1
	v_mov_b64_e32 v[22:23], s[4:5]
	v_mov_b64_e32 v[36:37], s[18:19]
	v_lshl_add_u64 v[20:21], v[14:15], 3, v[20:21]
	s_and_not1_b32 vcc_lo, exec_lo, s31
	s_mov_b32 s27, -1
	s_delay_alu instid0(VALU_DEP_3) | instskip(NEXT) | instid1(VALU_DEP_1)
	v_pk_mul_f32 v[22:23], v[34:35], v[22:23] op_sel_hi:[0,1]
	v_pk_fma_f32 v[34:35], v[32:33], v[36:37], v[22:23] op_sel_hi:[0,1,1]
	v_pk_fma_f32 v[22:23], v[32:33], v[36:37], v[22:23] neg_lo:[0,0,1] neg_hi:[0,0,1]
	s_delay_alu instid0(VALU_DEP_2)
	v_mov_b32_e32 v23, v35
	s_cbranch_vccnz .LBB526_23
; %bb.22:                               ;   in Loop: Header=BB526_6 Depth=1
	flat_load_b64 v[32:33], v[20:21]
	v_mov_b64_e32 v[34:35], s[6:7]
	v_mov_b64_e32 v[36:37], s[2:3]
	s_mov_b32 s27, 0
	s_wait_loadcnt_dscnt 0x0
	s_delay_alu instid0(VALU_DEP_2) | instskip(NEXT) | instid1(VALU_DEP_1)
	v_pk_mul_f32 v[34:35], v[32:33], v[34:35]
	v_pk_fma_f32 v[38:39], v[32:33], v[36:37], v[34:35] op_sel:[0,0,1] op_sel_hi:[1,1,0]
	v_pk_fma_f32 v[32:33], v[32:33], v[36:37], v[34:35] op_sel:[0,0,1] op_sel_hi:[1,1,0] neg_lo:[0,0,1] neg_hi:[0,0,1]
	s_delay_alu instid0(VALU_DEP_2) | instskip(NEXT) | instid1(VALU_DEP_1)
	v_mov_b32_e32 v33, v39
	v_pk_add_f32 v[32:33], v[22:23], v[32:33]
	flat_store_b64 v[20:21], v[32:33]
.LBB526_23:                             ;   in Loop: Header=BB526_6 Depth=1
	s_and_not1_b32 vcc_lo, exec_lo, s27
	s_cbranch_vccnz .LBB526_25
; %bb.24:                               ;   in Loop: Header=BB526_6 Depth=1
	flat_store_b64 v[20:21], v[22:23]
.LBB526_25:                             ;   in Loop: Header=BB526_6 Depth=1
	s_wait_xcnt 0x0
	s_or_b32 exec_lo, exec_lo, s26
	v_lshl_add_u64 v[18:19], v[12:13], 3, v[18:19]
	s_and_saveexec_b32 s26, s35
	s_cbranch_execz .LBB526_30
; %bb.26:                               ;   in Loop: Header=BB526_6 Depth=1
	v_mov_b64_e32 v[20:21], s[4:5]
	v_mov_b64_e32 v[22:23], s[18:19]
	s_and_not1_b32 vcc_lo, exec_lo, s31
	s_mov_b32 s27, -1
	s_delay_alu instid0(VALU_DEP_2) | instskip(NEXT) | instid1(VALU_DEP_1)
	v_pk_mul_f32 v[20:21], v[30:31], v[20:21] op_sel_hi:[0,1]
	v_pk_fma_f32 v[30:31], v[28:29], v[22:23], v[20:21] op_sel_hi:[0,1,1]
	v_pk_fma_f32 v[20:21], v[28:29], v[22:23], v[20:21] neg_lo:[0,0,1] neg_hi:[0,0,1]
	v_lshl_add_u64 v[22:23], v[8:9], 3, v[18:19]
	s_delay_alu instid0(VALU_DEP_3)
	v_mov_b32_e32 v21, v31
	s_cbranch_vccnz .LBB526_28
; %bb.27:                               ;   in Loop: Header=BB526_6 Depth=1
	flat_load_b64 v[28:29], v[22:23]
	v_mov_b64_e32 v[30:31], s[6:7]
	v_mov_b64_e32 v[32:33], s[2:3]
	s_mov_b32 s27, 0
	s_wait_loadcnt_dscnt 0x0
	s_delay_alu instid0(VALU_DEP_2) | instskip(NEXT) | instid1(VALU_DEP_1)
	v_pk_mul_f32 v[30:31], v[28:29], v[30:31]
	v_pk_fma_f32 v[34:35], v[28:29], v[32:33], v[30:31] op_sel:[0,0,1] op_sel_hi:[1,1,0]
	v_pk_fma_f32 v[28:29], v[28:29], v[32:33], v[30:31] op_sel:[0,0,1] op_sel_hi:[1,1,0] neg_lo:[0,0,1] neg_hi:[0,0,1]
	s_delay_alu instid0(VALU_DEP_2) | instskip(NEXT) | instid1(VALU_DEP_1)
	v_mov_b32_e32 v29, v35
	v_pk_add_f32 v[28:29], v[20:21], v[28:29]
	flat_store_b64 v[22:23], v[28:29]
.LBB526_28:                             ;   in Loop: Header=BB526_6 Depth=1
	s_and_not1_b32 vcc_lo, exec_lo, s27
	s_cbranch_vccnz .LBB526_30
; %bb.29:                               ;   in Loop: Header=BB526_6 Depth=1
	flat_store_b64 v[22:23], v[20:21]
.LBB526_30:                             ;   in Loop: Header=BB526_6 Depth=1
	s_wait_xcnt 0x0
	s_or_b32 exec_lo, exec_lo, s26
	s_and_saveexec_b32 s26, s36
	s_cbranch_execz .LBB526_5
; %bb.31:                               ;   in Loop: Header=BB526_6 Depth=1
	v_mov_b64_e32 v[20:21], s[4:5]
	v_mov_b64_e32 v[22:23], s[18:19]
	v_lshl_add_u64 v[18:19], v[14:15], 3, v[18:19]
	s_and_not1_b32 vcc_lo, exec_lo, s31
	s_mov_b32 s27, -1
	s_delay_alu instid0(VALU_DEP_3) | instskip(NEXT) | instid1(VALU_DEP_1)
	v_pk_mul_f32 v[20:21], v[26:27], v[20:21] op_sel_hi:[0,1]
	v_pk_fma_f32 v[28:29], v[24:25], v[22:23], v[20:21] op_sel_hi:[0,1,1]
	v_pk_fma_f32 v[20:21], v[24:25], v[22:23], v[20:21] neg_lo:[0,0,1] neg_hi:[0,0,1]
	s_delay_alu instid0(VALU_DEP_2)
	v_mov_b32_e32 v21, v29
	s_cbranch_vccnz .LBB526_33
; %bb.32:                               ;   in Loop: Header=BB526_6 Depth=1
	flat_load_b64 v[22:23], v[18:19]
	v_mov_b64_e32 v[28:29], s[6:7]
	v_mov_b64_e32 v[30:31], s[2:3]
	s_mov_b32 s27, 0
	s_wait_loadcnt_dscnt 0x0
	s_delay_alu instid0(VALU_DEP_2) | instskip(NEXT) | instid1(VALU_DEP_1)
	v_pk_mul_f32 v[28:29], v[22:23], v[28:29]
	v_pk_fma_f32 v[32:33], v[22:23], v[30:31], v[28:29] op_sel:[0,0,1] op_sel_hi:[1,1,0]
	v_pk_fma_f32 v[22:23], v[22:23], v[30:31], v[28:29] op_sel:[0,0,1] op_sel_hi:[1,1,0] neg_lo:[0,0,1] neg_hi:[0,0,1]
	s_delay_alu instid0(VALU_DEP_2) | instskip(NEXT) | instid1(VALU_DEP_1)
	v_mov_b32_e32 v23, v33
	v_pk_add_f32 v[22:23], v[20:21], v[22:23]
	flat_store_b64 v[18:19], v[22:23]
.LBB526_33:                             ;   in Loop: Header=BB526_6 Depth=1
	s_and_not1_b32 vcc_lo, exec_lo, s27
	s_cbranch_vccnz .LBB526_5
; %bb.34:                               ;   in Loop: Header=BB526_6 Depth=1
	flat_store_b64 v[18:19], v[20:21]
	s_branch .LBB526_5
.LBB526_35:
	s_sendmsg sendmsg(MSG_DEALLOC_VGPRS)
	s_endpgm
	.section	.rodata,"a",@progbits
	.p2align	6, 0x0
	.amdhsa_kernel _ZL29rocblas_internal_gemmt_kernelIlLi16ELi32ELi8ELc84ELc84ELc85ELb0ELb0E19rocblas_complex_numIfES1_PKPKS1_PKPS1_EviT_T9_T10_S9_lSB_S9_lSA_T11_S9_li
		.amdhsa_group_segment_fixed_size 4096
		.amdhsa_private_segment_fixed_size 0
		.amdhsa_kernarg_size 108
		.amdhsa_user_sgpr_count 2
		.amdhsa_user_sgpr_dispatch_ptr 0
		.amdhsa_user_sgpr_queue_ptr 0
		.amdhsa_user_sgpr_kernarg_segment_ptr 1
		.amdhsa_user_sgpr_dispatch_id 0
		.amdhsa_user_sgpr_kernarg_preload_length 0
		.amdhsa_user_sgpr_kernarg_preload_offset 0
		.amdhsa_user_sgpr_private_segment_size 0
		.amdhsa_wavefront_size32 1
		.amdhsa_uses_dynamic_stack 0
		.amdhsa_enable_private_segment 0
		.amdhsa_system_sgpr_workgroup_id_x 1
		.amdhsa_system_sgpr_workgroup_id_y 1
		.amdhsa_system_sgpr_workgroup_id_z 1
		.amdhsa_system_sgpr_workgroup_info 0
		.amdhsa_system_vgpr_workitem_id 1
		.amdhsa_next_free_vgpr 72
		.amdhsa_next_free_sgpr 41
		.amdhsa_named_barrier_count 0
		.amdhsa_reserve_vcc 1
		.amdhsa_float_round_mode_32 0
		.amdhsa_float_round_mode_16_64 0
		.amdhsa_float_denorm_mode_32 3
		.amdhsa_float_denorm_mode_16_64 3
		.amdhsa_fp16_overflow 0
		.amdhsa_memory_ordered 1
		.amdhsa_forward_progress 1
		.amdhsa_inst_pref_size 26
		.amdhsa_round_robin_scheduling 0
		.amdhsa_exception_fp_ieee_invalid_op 0
		.amdhsa_exception_fp_denorm_src 0
		.amdhsa_exception_fp_ieee_div_zero 0
		.amdhsa_exception_fp_ieee_overflow 0
		.amdhsa_exception_fp_ieee_underflow 0
		.amdhsa_exception_fp_ieee_inexact 0
		.amdhsa_exception_int_div_zero 0
	.end_amdhsa_kernel
	.section	.text._ZL29rocblas_internal_gemmt_kernelIlLi16ELi32ELi8ELc84ELc84ELc85ELb0ELb0E19rocblas_complex_numIfES1_PKPKS1_PKPS1_EviT_T9_T10_S9_lSB_S9_lSA_T11_S9_li,"axG",@progbits,_ZL29rocblas_internal_gemmt_kernelIlLi16ELi32ELi8ELc84ELc84ELc85ELb0ELb0E19rocblas_complex_numIfES1_PKPKS1_PKPS1_EviT_T9_T10_S9_lSB_S9_lSA_T11_S9_li,comdat
.Lfunc_end526:
	.size	_ZL29rocblas_internal_gemmt_kernelIlLi16ELi32ELi8ELc84ELc84ELc85ELb0ELb0E19rocblas_complex_numIfES1_PKPKS1_PKPS1_EviT_T9_T10_S9_lSB_S9_lSA_T11_S9_li, .Lfunc_end526-_ZL29rocblas_internal_gemmt_kernelIlLi16ELi32ELi8ELc84ELc84ELc85ELb0ELb0E19rocblas_complex_numIfES1_PKPKS1_PKPS1_EviT_T9_T10_S9_lSB_S9_lSA_T11_S9_li
                                        ; -- End function
	.set _ZL29rocblas_internal_gemmt_kernelIlLi16ELi32ELi8ELc84ELc84ELc85ELb0ELb0E19rocblas_complex_numIfES1_PKPKS1_PKPS1_EviT_T9_T10_S9_lSB_S9_lSA_T11_S9_li.num_vgpr, 72
	.set _ZL29rocblas_internal_gemmt_kernelIlLi16ELi32ELi8ELc84ELc84ELc85ELb0ELb0E19rocblas_complex_numIfES1_PKPKS1_PKPS1_EviT_T9_T10_S9_lSB_S9_lSA_T11_S9_li.num_agpr, 0
	.set _ZL29rocblas_internal_gemmt_kernelIlLi16ELi32ELi8ELc84ELc84ELc85ELb0ELb0E19rocblas_complex_numIfES1_PKPKS1_PKPS1_EviT_T9_T10_S9_lSB_S9_lSA_T11_S9_li.numbered_sgpr, 41
	.set _ZL29rocblas_internal_gemmt_kernelIlLi16ELi32ELi8ELc84ELc84ELc85ELb0ELb0E19rocblas_complex_numIfES1_PKPKS1_PKPS1_EviT_T9_T10_S9_lSB_S9_lSA_T11_S9_li.num_named_barrier, 0
	.set _ZL29rocblas_internal_gemmt_kernelIlLi16ELi32ELi8ELc84ELc84ELc85ELb0ELb0E19rocblas_complex_numIfES1_PKPKS1_PKPS1_EviT_T9_T10_S9_lSB_S9_lSA_T11_S9_li.private_seg_size, 0
	.set _ZL29rocblas_internal_gemmt_kernelIlLi16ELi32ELi8ELc84ELc84ELc85ELb0ELb0E19rocblas_complex_numIfES1_PKPKS1_PKPS1_EviT_T9_T10_S9_lSB_S9_lSA_T11_S9_li.uses_vcc, 1
	.set _ZL29rocblas_internal_gemmt_kernelIlLi16ELi32ELi8ELc84ELc84ELc85ELb0ELb0E19rocblas_complex_numIfES1_PKPKS1_PKPS1_EviT_T9_T10_S9_lSB_S9_lSA_T11_S9_li.uses_flat_scratch, 0
	.set _ZL29rocblas_internal_gemmt_kernelIlLi16ELi32ELi8ELc84ELc84ELc85ELb0ELb0E19rocblas_complex_numIfES1_PKPKS1_PKPS1_EviT_T9_T10_S9_lSB_S9_lSA_T11_S9_li.has_dyn_sized_stack, 0
	.set _ZL29rocblas_internal_gemmt_kernelIlLi16ELi32ELi8ELc84ELc84ELc85ELb0ELb0E19rocblas_complex_numIfES1_PKPKS1_PKPS1_EviT_T9_T10_S9_lSB_S9_lSA_T11_S9_li.has_recursion, 0
	.set _ZL29rocblas_internal_gemmt_kernelIlLi16ELi32ELi8ELc84ELc84ELc85ELb0ELb0E19rocblas_complex_numIfES1_PKPKS1_PKPS1_EviT_T9_T10_S9_lSB_S9_lSA_T11_S9_li.has_indirect_call, 0
	.section	.AMDGPU.csdata,"",@progbits
; Kernel info:
; codeLenInByte = 3240
; TotalNumSgprs: 43
; NumVgprs: 72
; ScratchSize: 0
; MemoryBound: 0
; FloatMode: 240
; IeeeMode: 1
; LDSByteSize: 4096 bytes/workgroup (compile time only)
; SGPRBlocks: 0
; VGPRBlocks: 4
; NumSGPRsForWavesPerEU: 43
; NumVGPRsForWavesPerEU: 72
; NamedBarCnt: 0
; Occupancy: 12
; WaveLimiterHint : 1
; COMPUTE_PGM_RSRC2:SCRATCH_EN: 0
; COMPUTE_PGM_RSRC2:USER_SGPR: 2
; COMPUTE_PGM_RSRC2:TRAP_HANDLER: 0
; COMPUTE_PGM_RSRC2:TGID_X_EN: 1
; COMPUTE_PGM_RSRC2:TGID_Y_EN: 1
; COMPUTE_PGM_RSRC2:TGID_Z_EN: 1
; COMPUTE_PGM_RSRC2:TIDIG_COMP_CNT: 1
	.section	.text._ZL29rocblas_internal_gemmt_kernelIlLi16ELi32ELi8ELc84ELc67ELc85ELb0ELb1E19rocblas_complex_numIfES1_PKPKS1_PKPS1_EviT_T9_T10_S9_lSB_S9_lSA_T11_S9_li,"axG",@progbits,_ZL29rocblas_internal_gemmt_kernelIlLi16ELi32ELi8ELc84ELc67ELc85ELb0ELb1E19rocblas_complex_numIfES1_PKPKS1_PKPS1_EviT_T9_T10_S9_lSB_S9_lSA_T11_S9_li,comdat
	.globl	_ZL29rocblas_internal_gemmt_kernelIlLi16ELi32ELi8ELc84ELc67ELc85ELb0ELb1E19rocblas_complex_numIfES1_PKPKS1_PKPS1_EviT_T9_T10_S9_lSB_S9_lSA_T11_S9_li ; -- Begin function _ZL29rocblas_internal_gemmt_kernelIlLi16ELi32ELi8ELc84ELc67ELc85ELb0ELb1E19rocblas_complex_numIfES1_PKPKS1_PKPS1_EviT_T9_T10_S9_lSB_S9_lSA_T11_S9_li
	.p2align	8
	.type	_ZL29rocblas_internal_gemmt_kernelIlLi16ELi32ELi8ELc84ELc67ELc85ELb0ELb1E19rocblas_complex_numIfES1_PKPKS1_PKPS1_EviT_T9_T10_S9_lSB_S9_lSA_T11_S9_li,@function
_ZL29rocblas_internal_gemmt_kernelIlLi16ELi32ELi8ELc84ELc67ELc85ELb0ELb1E19rocblas_complex_numIfES1_PKPKS1_PKPS1_EviT_T9_T10_S9_lSB_S9_lSA_T11_S9_li: ; @_ZL29rocblas_internal_gemmt_kernelIlLi16ELi32ELi8ELc84ELc67ELc85ELb0ELb1E19rocblas_complex_numIfES1_PKPKS1_PKPS1_EviT_T9_T10_S9_lSB_S9_lSA_T11_S9_li
; %bb.0:
	s_clause 0x1
	s_load_b64 s[6:7], s[0:1], 0x48
	s_load_b128 s[16:19], s[0:1], 0x8
	s_wait_kmcnt 0x0
	s_cmp_neq_f32 s6, 1.0
	s_cselect_b32 s2, -1, 0
	s_and_b32 s4, s7, 0x7fffffff
	s_delay_alu instid0(SALU_CYCLE_1) | instskip(SKIP_3) | instid1(SALU_CYCLE_1)
	s_cmp_eq_u32 s4, 0
	s_cselect_b32 s3, -1, 0
	s_cmp_lg_u32 s4, 0
	s_cselect_b32 s4, -1, 0
	s_or_b32 s2, s2, s4
	s_delay_alu instid0(SALU_CYCLE_1)
	s_and_b32 vcc_lo, exec_lo, s2
	s_cbranch_vccnz .LBB527_2
; %bb.1:
	s_cmp_lg_u64 s[16:17], 0
	s_cselect_b32 s2, -1, 0
	s_cmp_neq_f32 s18, 0
	s_cselect_b32 s4, -1, 0
	s_cmp_neq_f32 s19, 0
	s_cselect_b32 s5, -1, 0
	s_delay_alu instid0(SALU_CYCLE_1) | instskip(NEXT) | instid1(SALU_CYCLE_1)
	s_or_b32 s4, s4, s5
	s_and_b32 s2, s2, s4
.LBB527_2:
	s_delay_alu instid0(SALU_CYCLE_1)
	s_and_not1_b32 vcc_lo, exec_lo, s2
	s_cbranch_vccnz .LBB527_37
; %bb.3:
	s_load_b32 s33, s[0:1], 0x68
	s_bfe_u32 s2, ttmp6, 0x40014
	s_lshr_b32 s4, ttmp7, 16
	s_add_co_i32 s2, s2, 1
	s_bfe_u32 s8, ttmp6, 0x40008
	s_mul_i32 s5, s4, s2
	s_getreg_b32 s2, hwreg(HW_REG_IB_STS2, 6, 4)
	s_add_co_i32 s8, s8, s5
	s_cmp_eq_u32 s2, 0
	s_mov_b32 s29, 0
	s_cselect_b32 s28, s4, s8
	s_wait_kmcnt 0x0
	s_cmp_ge_u32 s28, s33
	s_cbranch_scc1 .LBB527_37
; %bb.4:
	v_and_b32_e32 v9, 0x3ff, v0
	v_bfe_u32 v15, v0, 10, 10
	s_bfe_u32 s8, ttmp6, 0x4000c
	s_bfe_u32 s9, ttmp6, 0x40010
	s_and_b32 s20, ttmp7, 0xffff
	s_add_co_i32 s8, s8, 1
	s_add_co_i32 s9, s9, 1
	s_and_b32 s5, ttmp6, 15
	v_lshl_add_u32 v1, v15, 4, v9
	s_mul_i32 s8, ttmp9, s8
	s_mul_i32 s9, s20, s9
	s_bfe_u32 s10, ttmp6, 0x40004
	s_add_co_i32 s5, s5, s8
	s_add_co_i32 s21, s10, s9
	s_cmp_eq_u32 s2, 0
	v_dual_lshrrev_b32 v2, 5, v1 :: v_dual_bitop2_b32 v0, 7, v0 bitop3:0x40
	s_clause 0x1
	s_load_b32 s4, s[0:1], 0x0
	s_load_b256 s[8:15], s[0:1], 0x18
	s_cselect_b32 s2, ttmp9, s5
	s_cselect_b32 s5, s20, s21
	v_dual_lshrrev_b32 v3, 3, v1 :: v_dual_bitop2_b32 v1, 31, v1 bitop3:0x40
	s_clause 0x1
	s_load_b128 s[20:23], s[0:1], 0x38
	s_load_b128 s[24:27], s[0:1], 0x50
	s_lshl_b32 s2, s2, 5
	s_lshl_b32 s5, s5, 5
	s_cmp_neq_f32 s18, 0
	v_dual_add_nc_u32 v4, s5, v3 :: v_dual_bitop2_b32 v6, s2, v1 bitop3:0x54
	v_add_nc_u32_e32 v16, s5, v15
	s_cselect_b32 s34, -1, 0
	s_cmp_neq_f32 s19, 0
	s_delay_alu instid0(VALU_DEP_2) | instskip(NEXT) | instid1(VALU_DEP_2)
	v_dual_ashrrev_i32 v7, 31, v6 :: v_dual_lshlrev_b32 v5, 3, v0
	v_dual_lshlrev_b32 v1, 3, v1 :: v_dual_add_nc_u32 v18, 16, v16
	v_ashrrev_i32_e32 v17, 31, v16
	s_load_b64 s[30:31], s[0:1], 0x60
	s_wait_xcnt 0x0
	s_cselect_b32 s0, -1, 0
	v_lshl_or_b32 v3, v3, 6, v5
	v_dual_ashrrev_i32 v19, 31, v18 :: v_dual_ashrrev_i32 v5, 31, v4
	s_or_b32 s38, s34, s0
	s_wait_kmcnt 0x0
	v_cmp_gt_i32_e64 s0, s4, v6
	v_mul_u64_e32 v[6:7], s[10:11], v[6:7]
	v_mul_u64_e32 v[10:11], s[26:27], v[16:17]
	;; [unrolled: 1-line block ×3, first 2 shown]
	v_dual_add_nc_u32 v8, s2, v9 :: v_dual_lshlrev_b32 v25, 3, v9
	s_cmp_neq_f32 s6, 0
	v_cmp_gt_i32_e64 s1, s4, v16
	v_cmp_gt_i64_e64 s39, s[16:17], 0
	s_delay_alu instid0(VALU_DEP_3)
	v_cmp_le_i32_e64 s2, v8, v16
	v_dual_add_nc_u32 v14, 16, v8 :: v_dual_ashrrev_i32 v9, 31, v8
	s_cselect_b32 s5, -1, 0
	s_xor_b32 s3, s3, -1
	v_cmp_gt_i32_e32 vcc_lo, s4, v4
	s_or_b32 s34, s5, s3
	s_and_b32 s35, s1, s2
	v_cmp_le_i32_e64 s2, v14, v16
	v_cmp_gt_i32_e64 s3, s4, v18
	v_cmp_le_i32_e64 s4, v8, v18
	v_cmp_le_i32_e64 s5, v14, v18
	v_lshl_or_b32 v1, v2, 8, v1
	v_add_nc_u32_e32 v3, 0x800, v3
	v_lshl_add_u32 v27, v15, 6, 0x800
	v_dual_ashrrev_i32 v15, 31, v14 :: v_dual_mov_b32 v17, 0
	s_and_b32 s1, s1, s2
	s_and_b32 s36, s3, s4
	;; [unrolled: 1-line block ×3, first 2 shown]
	s_mov_b32 s2, s6
	s_mov_b32 s3, s6
	;; [unrolled: 1-line block ×5, first 2 shown]
	s_and_b32 s38, s38, s39
	s_lshl_b64 s[10:11], s[22:23], 3
	s_lshl_b64 s[12:13], s[12:13], 3
	s_xor_b32 s39, vcc_lo, -1
	s_lshl_b64 s[22:23], s[30:31], 3
	s_branch .LBB527_6
.LBB527_5:                              ;   in Loop: Header=BB527_6 Depth=1
	s_wait_xcnt 0x0
	s_or_b32 exec_lo, exec_lo, s26
	s_add_co_i32 s28, s28, 0x10000
	s_delay_alu instid0(SALU_CYCLE_1)
	s_cmp_lt_u32 s28, s33
	s_cbranch_scc0 .LBB527_37
.LBB527_6:                              ; =>This Loop Header: Depth=1
                                        ;     Child Loop BB527_9 Depth 2
	v_dual_mov_b32 v16, s28 :: v_dual_mov_b32 v36, v17
	v_dual_mov_b32 v38, v17 :: v_dual_mov_b32 v32, v17
	;; [unrolled: 1-line block ×3, first 2 shown]
	global_load_b64 v[18:19], v16, s[24:25] scale_offset
	v_dual_mov_b32 v30, v17 :: v_dual_mov_b32 v24, v17
	v_mov_b32_e32 v26, v17
	s_and_not1_b32 vcc_lo, exec_lo, s38
	s_cbranch_vccnz .LBB527_17
; %bb.7:                                ;   in Loop: Header=BB527_6 Depth=1
	s_lshl_b64 s[26:27], s[28:29], 3
	v_dual_mov_b32 v26, 0 :: v_dual_mov_b32 v24, 0
	s_add_nc_u64 s[30:31], s[8:9], s[26:27]
	s_add_nc_u64 s[26:27], s[14:15], s[26:27]
	s_clause 0x1
	global_load_b64 v[20:21], v17, s[30:31]
	global_load_b64 v[22:23], v17, s[26:27]
	v_dual_mov_b32 v30, 0 :: v_dual_mov_b32 v28, 0
	v_dual_mov_b32 v34, 0 :: v_dual_mov_b32 v32, 0
	;; [unrolled: 1-line block ×3, first 2 shown]
	s_wait_xcnt 0x0
	s_mov_b64 s[26:27], 0
	s_wait_loadcnt 0x1
	v_add_nc_u64_e32 v[20:21], s[12:13], v[20:21]
	s_wait_loadcnt 0x0
	v_add_nc_u64_e32 v[22:23], s[10:11], v[22:23]
	s_delay_alu instid0(VALU_DEP_2) | instskip(NEXT) | instid1(VALU_DEP_2)
	v_lshl_add_u64 v[20:21], v[6:7], 3, v[20:21]
	v_lshl_add_u64 v[22:23], v[4:5], 3, v[22:23]
	s_branch .LBB527_9
.LBB527_8:                              ;   in Loop: Header=BB527_9 Depth=2
	s_wait_xcnt 0x0
	s_or_b32 exec_lo, exec_lo, s30
	ds_store_b32 v3, v29 offset:4
	s_wait_dscnt 0x0
	s_barrier_signal -1
	s_barrier_wait -1
	ds_load_b128 v[40:43], v27
	ds_load_2addr_b64 v[44:47], v25 offset1:16
	ds_load_b128 v[48:51], v27 offset:1024
	ds_load_b128 v[52:55], v27 offset:16
	;; [unrolled: 1-line block ×4, first 2 shown]
	ds_load_2addr_b64 v[64:67], v25 offset0:32 offset1:48
	ds_load_b128 v[68:71], v27 offset:1040
	s_add_nc_u64 s[26:27], s[26:27], 8
	s_delay_alu instid0(SALU_CYCLE_1)
	v_cmp_gt_i64_e64 s30, s[16:17], s[26:27]
	s_and_b32 vcc_lo, exec_lo, s30
	s_wait_dscnt 0x6
	v_dual_mul_f32 v16, v41, v45 :: v_dual_mul_f32 v29, v40, v45
	v_dual_mul_f32 v31, v41, v47 :: v_dual_mul_f32 v33, v40, v47
	s_wait_dscnt 0x5
	v_dual_mul_f32 v35, v49, v45 :: v_dual_mul_f32 v37, v48, v45
	v_dual_mul_f32 v39, v49, v47 :: v_dual_mul_f32 v45, v48, v47
	v_dual_fma_f32 v16, v40, v44, -v16 :: v_dual_fmac_f32 v29, v41, v44
	v_dual_fma_f32 v31, v40, v46, -v31 :: v_dual_fmac_f32 v33, v41, v46
	s_delay_alu instid0(VALU_DEP_4) | instskip(NEXT) | instid1(VALU_DEP_3)
	v_dual_fma_f32 v35, v48, v44, -v35 :: v_dual_fmac_f32 v37, v49, v44
	v_dual_add_f32 v16, v36, v16 :: v_dual_add_f32 v36, v38, v29
	v_fma_f32 v29, v48, v46, -v39
	s_delay_alu instid0(VALU_DEP_4) | instskip(NEXT) | instid1(VALU_DEP_4)
	v_dual_add_f32 v32, v32, v31 :: v_dual_add_f32 v33, v34, v33
	v_dual_add_f32 v34, v28, v35 :: v_dual_add_f32 v35, v30, v37
	s_wait_dscnt 0x1
	v_dual_mul_f32 v37, v43, v65 :: v_dual_fmac_f32 v45, v49, v46
	v_add_f32_e32 v24, v24, v29
	ds_load_2addr_b64 v[28:31], v25 offset0:64 offset1:80
	v_dual_mul_f32 v38, v42, v65 :: v_dual_fma_f32 v37, v42, v64, -v37
	v_dual_mul_f32 v39, v43, v67 :: v_dual_add_f32 v26, v26, v45
	s_delay_alu instid0(VALU_DEP_2) | instskip(NEXT) | instid1(VALU_DEP_2)
	v_dual_mul_f32 v40, v42, v67 :: v_dual_fmac_f32 v38, v43, v64
	v_dual_add_f32 v16, v16, v37 :: v_dual_fma_f32 v37, v42, v66, -v39
	v_mul_f32_e32 v39, v51, v65
	s_delay_alu instid0(VALU_DEP_3) | instskip(NEXT) | instid1(VALU_DEP_4)
	v_fmac_f32_e32 v40, v43, v66
	v_dual_add_f32 v36, v36, v38 :: v_dual_mul_f32 v38, v50, v65
	s_delay_alu instid0(VALU_DEP_3) | instskip(NEXT) | instid1(VALU_DEP_3)
	v_dual_add_f32 v37, v32, v37 :: v_dual_fma_f32 v32, v50, v64, -v39
	v_dual_mul_f32 v39, v51, v67 :: v_dual_add_f32 v40, v33, v40
	s_delay_alu instid0(VALU_DEP_3) | instskip(SKIP_1) | instid1(VALU_DEP_3)
	v_dual_fmac_f32 v38, v51, v64 :: v_dual_mul_f32 v41, v50, v67
	s_wait_dscnt 0x0
	v_dual_add_f32 v42, v34, v32 :: v_dual_mul_f32 v33, v53, v29
	s_delay_alu instid0(VALU_DEP_3) | instskip(NEXT) | instid1(VALU_DEP_3)
	v_fma_f32 v32, v50, v66, -v39
	v_dual_add_f32 v38, v35, v38 :: v_dual_mul_f32 v39, v52, v29
	v_fmac_f32_e32 v41, v51, v66
	s_delay_alu instid0(VALU_DEP_4) | instskip(NEXT) | instid1(VALU_DEP_4)
	v_fma_f32 v43, v52, v28, -v33
	v_dual_add_f32 v24, v24, v32 :: v_dual_mul_f32 v44, v53, v31
	ds_load_2addr_b64 v[32:35], v25 offset0:96 offset1:112
	v_dual_fmac_f32 v39, v53, v28 :: v_dual_add_f32 v26, v26, v41
	v_add_f32_e32 v16, v16, v43
	v_dual_mul_f32 v41, v52, v31 :: v_dual_fma_f32 v43, v52, v30, -v44
	s_delay_alu instid0(VALU_DEP_3) | instskip(NEXT) | instid1(VALU_DEP_2)
	v_dual_add_f32 v36, v36, v39 :: v_dual_mul_f32 v39, v69, v29
	v_dual_mul_f32 v29, v68, v29 :: v_dual_fmac_f32 v41, v53, v30
	s_delay_alu instid0(VALU_DEP_3) | instskip(NEXT) | instid1(VALU_DEP_3)
	v_add_f32_e32 v37, v37, v43
	v_dual_mul_f32 v43, v69, v31 :: v_dual_fma_f32 v39, v68, v28, -v39
	s_delay_alu instid0(VALU_DEP_3) | instskip(NEXT) | instid1(VALU_DEP_4)
	v_dual_fmac_f32 v29, v69, v28 :: v_dual_mul_f32 v44, v68, v31
	v_add_f32_e32 v40, v40, v41
	s_delay_alu instid0(VALU_DEP_3) | instskip(NEXT) | instid1(VALU_DEP_3)
	v_dual_fma_f32 v28, v68, v30, -v43 :: v_dual_add_f32 v41, v42, v39
	v_dual_add_f32 v42, v38, v29 :: v_dual_fmac_f32 v44, v69, v30
	s_wait_dscnt 0x0
	s_delay_alu instid0(VALU_DEP_2) | instskip(SKIP_2) | instid1(VALU_DEP_1)
	v_dual_mul_f32 v38, v55, v33 :: v_dual_add_f32 v24, v24, v28
	ds_load_2addr_b64 v[28:31], v25 offset0:128 offset1:144
	v_dual_mul_f32 v39, v54, v33 :: v_dual_mul_f32 v43, v55, v35
	v_dual_fma_f32 v38, v54, v32, -v38 :: v_dual_fmac_f32 v39, v55, v32
	s_delay_alu instid0(VALU_DEP_1) | instskip(NEXT) | instid1(VALU_DEP_3)
	v_dual_add_f32 v26, v26, v44 :: v_dual_add_f32 v16, v16, v38
	v_dual_mul_f32 v44, v54, v35 :: v_dual_fma_f32 v43, v54, v34, -v43
	s_delay_alu instid0(VALU_DEP_3) | instskip(NEXT) | instid1(VALU_DEP_2)
	v_dual_mul_f32 v38, v71, v33 :: v_dual_add_f32 v45, v36, v39
	v_dual_mul_f32 v33, v70, v33 :: v_dual_fmac_f32 v44, v55, v34
	s_delay_alu instid0(VALU_DEP_2)
	v_dual_add_f32 v46, v37, v43 :: v_dual_fma_f32 v43, v70, v32, -v38
	v_mul_f32_e32 v47, v71, v35
	ds_load_b128 v[36:39], v27 offset:1056
	v_add_f32_e32 v44, v40, v44
	v_dual_fmac_f32 v33, v71, v32 :: v_dual_mul_f32 v40, v70, v35
	v_dual_fma_f32 v32, v70, v34, -v47 :: v_dual_add_f32 v47, v41, v43
	s_wait_dscnt 0x1
	v_mul_f32_e32 v35, v57, v29
	s_delay_alu instid0(VALU_DEP_3) | instskip(NEXT) | instid1(VALU_DEP_3)
	v_dual_add_f32 v48, v42, v33 :: v_dual_fmac_f32 v40, v71, v34
	v_add_f32_e32 v24, v24, v32
	s_delay_alu instid0(VALU_DEP_3) | instskip(NEXT) | instid1(VALU_DEP_3)
	v_dual_mul_f32 v49, v56, v29 :: v_dual_fma_f32 v41, v56, v28, -v35
	v_dual_mul_f32 v42, v57, v31 :: v_dual_add_f32 v26, v26, v40
	ds_load_2addr_b64 v[32:35], v25 offset0:160 offset1:176
	v_dual_fmac_f32 v49, v57, v28 :: v_dual_add_f32 v16, v16, v41
	v_dual_fma_f32 v50, v56, v30, -v42 :: v_dual_mul_f32 v51, v56, v31
	ds_load_b128 v[40:43], v27 offset:1072
	s_wait_dscnt 0x2
	v_dual_mul_f32 v52, v37, v29 :: v_dual_mul_f32 v29, v36, v29
	v_dual_add_f32 v45, v45, v49 :: v_dual_add_f32 v46, v46, v50
	s_delay_alu instid0(VALU_DEP_2) | instskip(NEXT) | instid1(VALU_DEP_3)
	v_dual_fmac_f32 v51, v57, v30 :: v_dual_fma_f32 v49, v36, v28, -v52
	v_dual_mul_f32 v50, v37, v31 :: v_dual_fmac_f32 v29, v37, v28
	s_delay_alu instid0(VALU_DEP_2) | instskip(NEXT) | instid1(VALU_DEP_2)
	v_dual_add_f32 v44, v44, v51 :: v_dual_add_f32 v47, v47, v49
	v_dual_mul_f32 v51, v36, v31 :: v_dual_fma_f32 v28, v36, v30, -v50
	s_delay_alu instid0(VALU_DEP_3) | instskip(SKIP_2) | instid1(VALU_DEP_3)
	v_add_f32_e32 v36, v48, v29
	s_wait_dscnt 0x1
	v_dual_mul_f32 v48, v59, v33 :: v_dual_mul_f32 v49, v59, v35
	v_dual_fmac_f32 v51, v37, v30 :: v_dual_add_f32 v24, v24, v28
	ds_load_2addr_b64 v[28:31], v25 offset0:192 offset1:208
	v_dual_mul_f32 v37, v58, v33 :: v_dual_fma_f32 v48, v58, v32, -v48
	s_delay_alu instid0(VALU_DEP_1) | instskip(NEXT) | instid1(VALU_DEP_2)
	v_dual_mul_f32 v50, v58, v35 :: v_dual_fmac_f32 v37, v59, v32
	v_dual_add_f32 v26, v26, v51 :: v_dual_add_f32 v16, v16, v48
	s_delay_alu instid0(VALU_DEP_2) | instskip(NEXT) | instid1(VALU_DEP_3)
	v_dual_fma_f32 v48, v58, v34, -v49 :: v_dual_fmac_f32 v50, v59, v34
	v_add_f32_e32 v37, v45, v37
	v_dual_mul_f32 v45, v39, v33 :: v_dual_mul_f32 v33, v38, v33
	s_delay_alu instid0(VALU_DEP_3) | instskip(NEXT) | instid1(VALU_DEP_2)
	v_dual_add_f32 v48, v46, v48 :: v_dual_mul_f32 v46, v39, v35
	v_dual_add_f32 v49, v44, v50 :: v_dual_fma_f32 v45, v38, v32, -v45
	s_delay_alu instid0(VALU_DEP_3) | instskip(SKIP_1) | instid1(VALU_DEP_3)
	v_dual_fmac_f32 v33, v39, v32 :: v_dual_mul_f32 v32, v38, v35
	s_wait_dscnt 0x0
	v_dual_fma_f32 v35, v38, v34, -v46 :: v_dual_mul_f32 v44, v61, v29
	s_delay_alu instid0(VALU_DEP_3) | instskip(NEXT) | instid1(VALU_DEP_3)
	v_add_f32_e32 v38, v47, v45
	v_dual_fmac_f32 v32, v39, v34 :: v_dual_mul_f32 v34, v60, v29
	s_delay_alu instid0(VALU_DEP_3) | instskip(NEXT) | instid1(VALU_DEP_4)
	v_add_f32_e32 v24, v24, v35
	v_fma_f32 v35, v60, v28, -v44
	ds_load_2addr_b64 v[44:47], v25 offset0:224 offset1:240
	v_dual_add_f32 v33, v36, v33 :: v_dual_add_f32 v26, v26, v32
	v_dual_mul_f32 v32, v61, v31 :: v_dual_fmac_f32 v34, v61, v28
	v_dual_add_f32 v16, v16, v35 :: v_dual_mul_f32 v36, v41, v29
	s_delay_alu instid0(VALU_DEP_2) | instskip(NEXT) | instid1(VALU_DEP_3)
	v_dual_mul_f32 v35, v60, v31 :: v_dual_fma_f32 v32, v60, v30, -v32
	v_dual_mul_f32 v29, v40, v29 :: v_dual_add_f32 v34, v37, v34
	s_delay_alu instid0(VALU_DEP_2) | instskip(NEXT) | instid1(VALU_DEP_3)
	v_dual_fma_f32 v36, v40, v28, -v36 :: v_dual_fmac_f32 v35, v61, v30
	v_add_f32_e32 v32, v48, v32
	s_delay_alu instid0(VALU_DEP_3) | instskip(SKIP_1) | instid1(VALU_DEP_4)
	v_dual_fmac_f32 v29, v41, v28 :: v_dual_mul_f32 v28, v41, v31
	v_mul_f32_e32 v31, v40, v31
	v_dual_add_f32 v35, v49, v35 :: v_dual_add_f32 v37, v38, v36
	s_delay_alu instid0(VALU_DEP_3) | instskip(SKIP_3) | instid1(VALU_DEP_3)
	v_dual_add_f32 v29, v33, v29 :: v_dual_fma_f32 v28, v40, v30, -v28
	s_wait_dscnt 0x0
	v_dual_mul_f32 v33, v63, v45 :: v_dual_mul_f32 v38, v62, v45
	v_dual_fmac_f32 v31, v41, v30 :: v_dual_mul_f32 v30, v63, v47
	v_add_f32_e32 v24, v24, v28
	s_delay_alu instid0(VALU_DEP_3) | instskip(NEXT) | instid1(VALU_DEP_3)
	v_dual_fma_f32 v28, v62, v44, -v33 :: v_dual_fmac_f32 v38, v63, v44
	v_dual_mul_f32 v33, v62, v47 :: v_dual_fma_f32 v30, v62, v46, -v30
	s_delay_alu instid0(VALU_DEP_2) | instskip(NEXT) | instid1(VALU_DEP_3)
	v_dual_add_f32 v26, v26, v31 :: v_dual_add_f32 v36, v16, v28
	v_dual_add_f32 v38, v34, v38 :: v_dual_mul_f32 v16, v43, v45
	s_delay_alu instid0(VALU_DEP_3) | instskip(NEXT) | instid1(VALU_DEP_4)
	v_fmac_f32_e32 v33, v63, v46
	v_dual_add_f32 v32, v32, v30 :: v_dual_mul_f32 v28, v43, v47
	v_dual_mul_f32 v30, v42, v45 :: v_dual_mul_f32 v31, v42, v47
	s_delay_alu instid0(VALU_DEP_3) | instskip(NEXT) | instid1(VALU_DEP_2)
	v_dual_add_f32 v34, v35, v33 :: v_dual_fma_f32 v16, v42, v44, -v16
	v_dual_fma_f32 v33, v42, v46, -v28 :: v_dual_fmac_f32 v30, v43, v44
	s_delay_alu instid0(VALU_DEP_3) | instskip(NEXT) | instid1(VALU_DEP_2)
	v_fmac_f32_e32 v31, v43, v46
	v_dual_add_f32 v28, v37, v16 :: v_dual_add_f32 v24, v24, v33
	s_delay_alu instid0(VALU_DEP_2)
	v_dual_add_f32 v30, v29, v30 :: v_dual_add_f32 v26, v26, v31
	s_barrier_signal -1
	s_barrier_wait -1
	s_cbranch_vccz .LBB527_17
.LBB527_9:                              ;   Parent Loop BB527_6 Depth=1
                                        ; =>  This Inner Loop Header: Depth=2
	v_dual_mov_b32 v40, 0 :: v_dual_mov_b32 v41, 0
	s_and_saveexec_b32 s30, s0
	s_cbranch_execz .LBB527_13
; %bb.10:                               ;   in Loop: Header=BB527_9 Depth=2
	v_dual_mov_b32 v41, 0 :: v_dual_add_nc_u32 v16, s26, v2
	v_mov_b32_e32 v40, 0
	s_mov_b32 s31, exec_lo
	s_delay_alu instid0(VALU_DEP_2)
	v_cmpx_gt_u64_e64 s[16:17], v[16:17]
	s_cbranch_execz .LBB527_12
; %bb.11:                               ;   in Loop: Header=BB527_9 Depth=2
	v_lshl_add_u64 v[40:41], v[16:17], 3, v[20:21]
	flat_load_b64 v[40:41], v[40:41]
.LBB527_12:                             ;   in Loop: Header=BB527_9 Depth=2
	s_wait_xcnt 0x0
	s_or_b32 exec_lo, exec_lo, s31
.LBB527_13:                             ;   in Loop: Header=BB527_9 Depth=2
	s_delay_alu instid0(SALU_CYCLE_1)
	s_or_b32 exec_lo, exec_lo, s30
	v_add_nc_u32_e32 v16, s26, v0
	s_wait_loadcnt_dscnt 0x0
	ds_store_b64 v1, v[40:41]
	v_cmp_le_u64_e32 vcc_lo, s[16:17], v[16:17]
	s_or_b32 s30, vcc_lo, s39
	s_delay_alu instid0(SALU_CYCLE_1) | instskip(NEXT) | instid1(SALU_CYCLE_1)
	s_and_saveexec_b32 s31, s30
	s_xor_b32 s30, exec_lo, s31
; %bb.14:                               ;   in Loop: Header=BB527_9 Depth=2
	ds_store_b32 v3, v17
; %bb.15:                               ;   in Loop: Header=BB527_9 Depth=2
	s_or_saveexec_b32 s30, s30
	v_mov_b32_e32 v29, 0
	s_xor_b32 exec_lo, exec_lo, s30
	s_cbranch_execz .LBB527_8
; %bb.16:                               ;   in Loop: Header=BB527_9 Depth=2
	v_mul_u64_e32 v[40:41], s[20:21], v[16:17]
	s_delay_alu instid0(VALU_DEP_1)
	v_lshl_add_u64 v[40:41], v[40:41], 3, v[22:23]
	flat_load_b64 v[40:41], v[40:41]
	s_wait_loadcnt_dscnt 0x0
	v_xor_b32_e32 v29, 0x80000000, v41
	ds_store_b32 v3, v40
	s_branch .LBB527_8
.LBB527_17:                             ;   in Loop: Header=BB527_6 Depth=1
	s_wait_loadcnt 0x0
	v_add_nc_u64_e32 v[18:19], s[22:23], v[18:19]
	s_delay_alu instid0(VALU_DEP_1)
	v_lshl_add_u64 v[20:21], v[10:11], 3, v[18:19]
	s_wait_xcnt 0x0
	s_and_saveexec_b32 s26, s35
	s_cbranch_execz .LBB527_22
; %bb.18:                               ;   in Loop: Header=BB527_6 Depth=1
	v_mov_b64_e32 v[22:23], s[4:5]
	v_mov_b64_e32 v[40:41], s[18:19]
	s_and_b32 vcc_lo, exec_lo, s34
	s_mov_b32 s27, -1
	s_delay_alu instid0(VALU_DEP_2) | instskip(NEXT) | instid1(VALU_DEP_1)
	v_pk_mul_f32 v[22:23], v[38:39], v[22:23] op_sel_hi:[0,1]
	v_pk_fma_f32 v[38:39], v[36:37], v[40:41], v[22:23] op_sel_hi:[0,1,1]
	v_pk_fma_f32 v[22:23], v[36:37], v[40:41], v[22:23] neg_lo:[0,0,1] neg_hi:[0,0,1]
	v_lshl_add_u64 v[36:37], v[8:9], 3, v[20:21]
	s_delay_alu instid0(VALU_DEP_3)
	v_mov_b32_e32 v23, v39
	s_cbranch_vccz .LBB527_20
; %bb.19:                               ;   in Loop: Header=BB527_6 Depth=1
	flat_load_b64 v[38:39], v[36:37]
	v_mov_b64_e32 v[40:41], s[6:7]
	v_mov_b64_e32 v[42:43], s[2:3]
	s_mov_b32 s27, 0
	s_wait_loadcnt_dscnt 0x0
	s_delay_alu instid0(VALU_DEP_2) | instskip(NEXT) | instid1(VALU_DEP_1)
	v_pk_mul_f32 v[40:41], v[38:39], v[40:41]
	v_pk_fma_f32 v[44:45], v[38:39], v[42:43], v[40:41] op_sel:[0,0,1] op_sel_hi:[1,1,0]
	v_pk_fma_f32 v[38:39], v[38:39], v[42:43], v[40:41] op_sel:[0,0,1] op_sel_hi:[1,1,0] neg_lo:[0,0,1] neg_hi:[0,0,1]
	s_delay_alu instid0(VALU_DEP_2) | instskip(NEXT) | instid1(VALU_DEP_1)
	v_mov_b32_e32 v39, v45
	v_pk_add_f32 v[38:39], v[22:23], v[38:39]
	flat_store_b64 v[36:37], v[38:39]
.LBB527_20:                             ;   in Loop: Header=BB527_6 Depth=1
	s_and_not1_b32 vcc_lo, exec_lo, s27
	s_cbranch_vccnz .LBB527_22
; %bb.21:                               ;   in Loop: Header=BB527_6 Depth=1
	flat_store_b64 v[36:37], v[22:23]
.LBB527_22:                             ;   in Loop: Header=BB527_6 Depth=1
	s_wait_xcnt 0x0
	s_or_b32 exec_lo, exec_lo, s26
	s_and_saveexec_b32 s26, s1
	s_cbranch_execz .LBB527_27
; %bb.23:                               ;   in Loop: Header=BB527_6 Depth=1
	v_mov_b64_e32 v[22:23], s[4:5]
	v_mov_b64_e32 v[36:37], s[18:19]
	v_lshl_add_u64 v[20:21], v[14:15], 3, v[20:21]
	s_and_not1_b32 vcc_lo, exec_lo, s34
	s_mov_b32 s27, -1
	s_delay_alu instid0(VALU_DEP_3) | instskip(NEXT) | instid1(VALU_DEP_1)
	v_pk_mul_f32 v[22:23], v[34:35], v[22:23] op_sel_hi:[0,1]
	v_pk_fma_f32 v[34:35], v[32:33], v[36:37], v[22:23] op_sel_hi:[0,1,1]
	v_pk_fma_f32 v[22:23], v[32:33], v[36:37], v[22:23] neg_lo:[0,0,1] neg_hi:[0,0,1]
	s_delay_alu instid0(VALU_DEP_2)
	v_mov_b32_e32 v23, v35
	s_cbranch_vccnz .LBB527_25
; %bb.24:                               ;   in Loop: Header=BB527_6 Depth=1
	flat_load_b64 v[32:33], v[20:21]
	v_mov_b64_e32 v[34:35], s[6:7]
	v_mov_b64_e32 v[36:37], s[2:3]
	s_mov_b32 s27, 0
	s_wait_loadcnt_dscnt 0x0
	s_delay_alu instid0(VALU_DEP_2) | instskip(NEXT) | instid1(VALU_DEP_1)
	v_pk_mul_f32 v[34:35], v[32:33], v[34:35]
	v_pk_fma_f32 v[38:39], v[32:33], v[36:37], v[34:35] op_sel:[0,0,1] op_sel_hi:[1,1,0]
	v_pk_fma_f32 v[32:33], v[32:33], v[36:37], v[34:35] op_sel:[0,0,1] op_sel_hi:[1,1,0] neg_lo:[0,0,1] neg_hi:[0,0,1]
	s_delay_alu instid0(VALU_DEP_2) | instskip(NEXT) | instid1(VALU_DEP_1)
	v_mov_b32_e32 v33, v39
	v_pk_add_f32 v[32:33], v[22:23], v[32:33]
	flat_store_b64 v[20:21], v[32:33]
.LBB527_25:                             ;   in Loop: Header=BB527_6 Depth=1
	s_and_not1_b32 vcc_lo, exec_lo, s27
	s_cbranch_vccnz .LBB527_27
; %bb.26:                               ;   in Loop: Header=BB527_6 Depth=1
	flat_store_b64 v[20:21], v[22:23]
.LBB527_27:                             ;   in Loop: Header=BB527_6 Depth=1
	s_wait_xcnt 0x0
	s_or_b32 exec_lo, exec_lo, s26
	v_lshl_add_u64 v[18:19], v[12:13], 3, v[18:19]
	s_and_saveexec_b32 s26, s36
	s_cbranch_execz .LBB527_32
; %bb.28:                               ;   in Loop: Header=BB527_6 Depth=1
	v_mov_b64_e32 v[20:21], s[4:5]
	v_mov_b64_e32 v[22:23], s[18:19]
	s_and_not1_b32 vcc_lo, exec_lo, s34
	s_mov_b32 s27, -1
	s_delay_alu instid0(VALU_DEP_2) | instskip(NEXT) | instid1(VALU_DEP_1)
	v_pk_mul_f32 v[20:21], v[30:31], v[20:21] op_sel_hi:[0,1]
	v_pk_fma_f32 v[30:31], v[28:29], v[22:23], v[20:21] op_sel_hi:[0,1,1]
	v_pk_fma_f32 v[20:21], v[28:29], v[22:23], v[20:21] neg_lo:[0,0,1] neg_hi:[0,0,1]
	v_lshl_add_u64 v[22:23], v[8:9], 3, v[18:19]
	s_delay_alu instid0(VALU_DEP_3)
	v_mov_b32_e32 v21, v31
	s_cbranch_vccnz .LBB527_30
; %bb.29:                               ;   in Loop: Header=BB527_6 Depth=1
	flat_load_b64 v[28:29], v[22:23]
	v_mov_b64_e32 v[30:31], s[6:7]
	v_mov_b64_e32 v[32:33], s[2:3]
	s_mov_b32 s27, 0
	s_wait_loadcnt_dscnt 0x0
	s_delay_alu instid0(VALU_DEP_2) | instskip(NEXT) | instid1(VALU_DEP_1)
	v_pk_mul_f32 v[30:31], v[28:29], v[30:31]
	v_pk_fma_f32 v[34:35], v[28:29], v[32:33], v[30:31] op_sel:[0,0,1] op_sel_hi:[1,1,0]
	v_pk_fma_f32 v[28:29], v[28:29], v[32:33], v[30:31] op_sel:[0,0,1] op_sel_hi:[1,1,0] neg_lo:[0,0,1] neg_hi:[0,0,1]
	s_delay_alu instid0(VALU_DEP_2) | instskip(NEXT) | instid1(VALU_DEP_1)
	v_mov_b32_e32 v29, v35
	v_pk_add_f32 v[28:29], v[20:21], v[28:29]
	flat_store_b64 v[22:23], v[28:29]
.LBB527_30:                             ;   in Loop: Header=BB527_6 Depth=1
	s_and_not1_b32 vcc_lo, exec_lo, s27
	s_cbranch_vccnz .LBB527_32
; %bb.31:                               ;   in Loop: Header=BB527_6 Depth=1
	flat_store_b64 v[22:23], v[20:21]
.LBB527_32:                             ;   in Loop: Header=BB527_6 Depth=1
	s_wait_xcnt 0x0
	s_or_b32 exec_lo, exec_lo, s26
	s_and_saveexec_b32 s26, s37
	s_cbranch_execz .LBB527_5
; %bb.33:                               ;   in Loop: Header=BB527_6 Depth=1
	v_mov_b64_e32 v[20:21], s[4:5]
	v_mov_b64_e32 v[22:23], s[18:19]
	v_lshl_add_u64 v[18:19], v[14:15], 3, v[18:19]
	s_and_not1_b32 vcc_lo, exec_lo, s34
	s_mov_b32 s27, -1
	s_delay_alu instid0(VALU_DEP_3) | instskip(NEXT) | instid1(VALU_DEP_1)
	v_pk_mul_f32 v[20:21], v[26:27], v[20:21] op_sel_hi:[0,1]
	v_pk_fma_f32 v[28:29], v[24:25], v[22:23], v[20:21] op_sel_hi:[0,1,1]
	v_pk_fma_f32 v[20:21], v[24:25], v[22:23], v[20:21] neg_lo:[0,0,1] neg_hi:[0,0,1]
	s_delay_alu instid0(VALU_DEP_2)
	v_mov_b32_e32 v21, v29
	s_cbranch_vccnz .LBB527_35
; %bb.34:                               ;   in Loop: Header=BB527_6 Depth=1
	flat_load_b64 v[22:23], v[18:19]
	v_mov_b64_e32 v[28:29], s[6:7]
	v_mov_b64_e32 v[30:31], s[2:3]
	s_mov_b32 s27, 0
	s_wait_loadcnt_dscnt 0x0
	s_delay_alu instid0(VALU_DEP_2) | instskip(NEXT) | instid1(VALU_DEP_1)
	v_pk_mul_f32 v[28:29], v[22:23], v[28:29]
	v_pk_fma_f32 v[32:33], v[22:23], v[30:31], v[28:29] op_sel:[0,0,1] op_sel_hi:[1,1,0]
	v_pk_fma_f32 v[22:23], v[22:23], v[30:31], v[28:29] op_sel:[0,0,1] op_sel_hi:[1,1,0] neg_lo:[0,0,1] neg_hi:[0,0,1]
	s_delay_alu instid0(VALU_DEP_2) | instskip(NEXT) | instid1(VALU_DEP_1)
	v_mov_b32_e32 v23, v33
	v_pk_add_f32 v[22:23], v[20:21], v[22:23]
	flat_store_b64 v[18:19], v[22:23]
.LBB527_35:                             ;   in Loop: Header=BB527_6 Depth=1
	s_and_not1_b32 vcc_lo, exec_lo, s27
	s_cbranch_vccnz .LBB527_5
; %bb.36:                               ;   in Loop: Header=BB527_6 Depth=1
	flat_store_b64 v[18:19], v[20:21]
	s_branch .LBB527_5
.LBB527_37:
	s_sendmsg sendmsg(MSG_DEALLOC_VGPRS)
	s_endpgm
	.section	.rodata,"a",@progbits
	.p2align	6, 0x0
	.amdhsa_kernel _ZL29rocblas_internal_gemmt_kernelIlLi16ELi32ELi8ELc84ELc67ELc85ELb0ELb1E19rocblas_complex_numIfES1_PKPKS1_PKPS1_EviT_T9_T10_S9_lSB_S9_lSA_T11_S9_li
		.amdhsa_group_segment_fixed_size 4096
		.amdhsa_private_segment_fixed_size 0
		.amdhsa_kernarg_size 108
		.amdhsa_user_sgpr_count 2
		.amdhsa_user_sgpr_dispatch_ptr 0
		.amdhsa_user_sgpr_queue_ptr 0
		.amdhsa_user_sgpr_kernarg_segment_ptr 1
		.amdhsa_user_sgpr_dispatch_id 0
		.amdhsa_user_sgpr_kernarg_preload_length 0
		.amdhsa_user_sgpr_kernarg_preload_offset 0
		.amdhsa_user_sgpr_private_segment_size 0
		.amdhsa_wavefront_size32 1
		.amdhsa_uses_dynamic_stack 0
		.amdhsa_enable_private_segment 0
		.amdhsa_system_sgpr_workgroup_id_x 1
		.amdhsa_system_sgpr_workgroup_id_y 1
		.amdhsa_system_sgpr_workgroup_id_z 1
		.amdhsa_system_sgpr_workgroup_info 0
		.amdhsa_system_vgpr_workitem_id 1
		.amdhsa_next_free_vgpr 72
		.amdhsa_next_free_sgpr 40
		.amdhsa_named_barrier_count 0
		.amdhsa_reserve_vcc 1
		.amdhsa_float_round_mode_32 0
		.amdhsa_float_round_mode_16_64 0
		.amdhsa_float_denorm_mode_32 3
		.amdhsa_float_denorm_mode_16_64 3
		.amdhsa_fp16_overflow 0
		.amdhsa_memory_ordered 1
		.amdhsa_forward_progress 1
		.amdhsa_inst_pref_size 26
		.amdhsa_round_robin_scheduling 0
		.amdhsa_exception_fp_ieee_invalid_op 0
		.amdhsa_exception_fp_denorm_src 0
		.amdhsa_exception_fp_ieee_div_zero 0
		.amdhsa_exception_fp_ieee_overflow 0
		.amdhsa_exception_fp_ieee_underflow 0
		.amdhsa_exception_fp_ieee_inexact 0
		.amdhsa_exception_int_div_zero 0
	.end_amdhsa_kernel
	.section	.text._ZL29rocblas_internal_gemmt_kernelIlLi16ELi32ELi8ELc84ELc67ELc85ELb0ELb1E19rocblas_complex_numIfES1_PKPKS1_PKPS1_EviT_T9_T10_S9_lSB_S9_lSA_T11_S9_li,"axG",@progbits,_ZL29rocblas_internal_gemmt_kernelIlLi16ELi32ELi8ELc84ELc67ELc85ELb0ELb1E19rocblas_complex_numIfES1_PKPKS1_PKPS1_EviT_T9_T10_S9_lSB_S9_lSA_T11_S9_li,comdat
.Lfunc_end527:
	.size	_ZL29rocblas_internal_gemmt_kernelIlLi16ELi32ELi8ELc84ELc67ELc85ELb0ELb1E19rocblas_complex_numIfES1_PKPKS1_PKPS1_EviT_T9_T10_S9_lSB_S9_lSA_T11_S9_li, .Lfunc_end527-_ZL29rocblas_internal_gemmt_kernelIlLi16ELi32ELi8ELc84ELc67ELc85ELb0ELb1E19rocblas_complex_numIfES1_PKPKS1_PKPS1_EviT_T9_T10_S9_lSB_S9_lSA_T11_S9_li
                                        ; -- End function
	.set _ZL29rocblas_internal_gemmt_kernelIlLi16ELi32ELi8ELc84ELc67ELc85ELb0ELb1E19rocblas_complex_numIfES1_PKPKS1_PKPS1_EviT_T9_T10_S9_lSB_S9_lSA_T11_S9_li.num_vgpr, 72
	.set _ZL29rocblas_internal_gemmt_kernelIlLi16ELi32ELi8ELc84ELc67ELc85ELb0ELb1E19rocblas_complex_numIfES1_PKPKS1_PKPS1_EviT_T9_T10_S9_lSB_S9_lSA_T11_S9_li.num_agpr, 0
	.set _ZL29rocblas_internal_gemmt_kernelIlLi16ELi32ELi8ELc84ELc67ELc85ELb0ELb1E19rocblas_complex_numIfES1_PKPKS1_PKPS1_EviT_T9_T10_S9_lSB_S9_lSA_T11_S9_li.numbered_sgpr, 40
	.set _ZL29rocblas_internal_gemmt_kernelIlLi16ELi32ELi8ELc84ELc67ELc85ELb0ELb1E19rocblas_complex_numIfES1_PKPKS1_PKPS1_EviT_T9_T10_S9_lSB_S9_lSA_T11_S9_li.num_named_barrier, 0
	.set _ZL29rocblas_internal_gemmt_kernelIlLi16ELi32ELi8ELc84ELc67ELc85ELb0ELb1E19rocblas_complex_numIfES1_PKPKS1_PKPS1_EviT_T9_T10_S9_lSB_S9_lSA_T11_S9_li.private_seg_size, 0
	.set _ZL29rocblas_internal_gemmt_kernelIlLi16ELi32ELi8ELc84ELc67ELc85ELb0ELb1E19rocblas_complex_numIfES1_PKPKS1_PKPS1_EviT_T9_T10_S9_lSB_S9_lSA_T11_S9_li.uses_vcc, 1
	.set _ZL29rocblas_internal_gemmt_kernelIlLi16ELi32ELi8ELc84ELc67ELc85ELb0ELb1E19rocblas_complex_numIfES1_PKPKS1_PKPS1_EviT_T9_T10_S9_lSB_S9_lSA_T11_S9_li.uses_flat_scratch, 0
	.set _ZL29rocblas_internal_gemmt_kernelIlLi16ELi32ELi8ELc84ELc67ELc85ELb0ELb1E19rocblas_complex_numIfES1_PKPKS1_PKPS1_EviT_T9_T10_S9_lSB_S9_lSA_T11_S9_li.has_dyn_sized_stack, 0
	.set _ZL29rocblas_internal_gemmt_kernelIlLi16ELi32ELi8ELc84ELc67ELc85ELb0ELb1E19rocblas_complex_numIfES1_PKPKS1_PKPS1_EviT_T9_T10_S9_lSB_S9_lSA_T11_S9_li.has_recursion, 0
	.set _ZL29rocblas_internal_gemmt_kernelIlLi16ELi32ELi8ELc84ELc67ELc85ELb0ELb1E19rocblas_complex_numIfES1_PKPKS1_PKPS1_EviT_T9_T10_S9_lSB_S9_lSA_T11_S9_li.has_indirect_call, 0
	.section	.AMDGPU.csdata,"",@progbits
; Kernel info:
; codeLenInByte = 3272
; TotalNumSgprs: 42
; NumVgprs: 72
; ScratchSize: 0
; MemoryBound: 0
; FloatMode: 240
; IeeeMode: 1
; LDSByteSize: 4096 bytes/workgroup (compile time only)
; SGPRBlocks: 0
; VGPRBlocks: 4
; NumSGPRsForWavesPerEU: 42
; NumVGPRsForWavesPerEU: 72
; NamedBarCnt: 0
; Occupancy: 12
; WaveLimiterHint : 1
; COMPUTE_PGM_RSRC2:SCRATCH_EN: 0
; COMPUTE_PGM_RSRC2:USER_SGPR: 2
; COMPUTE_PGM_RSRC2:TRAP_HANDLER: 0
; COMPUTE_PGM_RSRC2:TGID_X_EN: 1
; COMPUTE_PGM_RSRC2:TGID_Y_EN: 1
; COMPUTE_PGM_RSRC2:TGID_Z_EN: 1
; COMPUTE_PGM_RSRC2:TIDIG_COMP_CNT: 1
	.section	.text._ZL29rocblas_internal_gemmt_kernelIlLi16ELi32ELi8ELc67ELc78ELc85ELb1ELb0E19rocblas_complex_numIfES1_PKPKS1_PKPS1_EviT_T9_T10_S9_lSB_S9_lSA_T11_S9_li,"axG",@progbits,_ZL29rocblas_internal_gemmt_kernelIlLi16ELi32ELi8ELc67ELc78ELc85ELb1ELb0E19rocblas_complex_numIfES1_PKPKS1_PKPS1_EviT_T9_T10_S9_lSB_S9_lSA_T11_S9_li,comdat
	.globl	_ZL29rocblas_internal_gemmt_kernelIlLi16ELi32ELi8ELc67ELc78ELc85ELb1ELb0E19rocblas_complex_numIfES1_PKPKS1_PKPS1_EviT_T9_T10_S9_lSB_S9_lSA_T11_S9_li ; -- Begin function _ZL29rocblas_internal_gemmt_kernelIlLi16ELi32ELi8ELc67ELc78ELc85ELb1ELb0E19rocblas_complex_numIfES1_PKPKS1_PKPS1_EviT_T9_T10_S9_lSB_S9_lSA_T11_S9_li
	.p2align	8
	.type	_ZL29rocblas_internal_gemmt_kernelIlLi16ELi32ELi8ELc67ELc78ELc85ELb1ELb0E19rocblas_complex_numIfES1_PKPKS1_PKPS1_EviT_T9_T10_S9_lSB_S9_lSA_T11_S9_li,@function
_ZL29rocblas_internal_gemmt_kernelIlLi16ELi32ELi8ELc67ELc78ELc85ELb1ELb0E19rocblas_complex_numIfES1_PKPKS1_PKPS1_EviT_T9_T10_S9_lSB_S9_lSA_T11_S9_li: ; @_ZL29rocblas_internal_gemmt_kernelIlLi16ELi32ELi8ELc67ELc78ELc85ELb1ELb0E19rocblas_complex_numIfES1_PKPKS1_PKPS1_EviT_T9_T10_S9_lSB_S9_lSA_T11_S9_li
; %bb.0:
	s_clause 0x1
	s_load_b64 s[24:25], s[0:1], 0x48
	s_load_b128 s[16:19], s[0:1], 0x8
	s_wait_kmcnt 0x0
	s_cmp_neq_f32 s24, 1.0
	s_cselect_b32 s2, -1, 0
	s_and_b32 s4, s25, 0x7fffffff
	s_delay_alu instid0(SALU_CYCLE_1) | instskip(SKIP_3) | instid1(SALU_CYCLE_1)
	s_cmp_eq_u32 s4, 0
	s_cselect_b32 s3, -1, 0
	s_cmp_lg_u32 s4, 0
	s_cselect_b32 s4, -1, 0
	s_or_b32 s2, s2, s4
	s_delay_alu instid0(SALU_CYCLE_1)
	s_and_b32 vcc_lo, exec_lo, s2
	s_cbranch_vccnz .LBB528_2
; %bb.1:
	s_cmp_lg_u64 s[16:17], 0
	s_cselect_b32 s2, -1, 0
	s_cmp_neq_f32 s18, 0
	s_cselect_b32 s4, -1, 0
	s_cmp_neq_f32 s19, 0
	s_cselect_b32 s5, -1, 0
	s_delay_alu instid0(SALU_CYCLE_1) | instskip(NEXT) | instid1(SALU_CYCLE_1)
	s_or_b32 s4, s4, s5
	s_and_b32 s2, s2, s4
.LBB528_2:
	s_delay_alu instid0(SALU_CYCLE_1)
	s_and_not1_b32 vcc_lo, exec_lo, s2
	s_cbranch_vccnz .LBB528_38
; %bb.3:
	s_load_b32 s30, s[0:1], 0x68
	s_bfe_u32 s2, ttmp6, 0x40014
	s_lshr_b32 s4, ttmp7, 16
	s_add_co_i32 s2, s2, 1
	s_bfe_u32 s6, ttmp6, 0x40008
	s_mul_i32 s5, s4, s2
	s_getreg_b32 s2, hwreg(HW_REG_IB_STS2, 6, 4)
	s_add_co_i32 s6, s6, s5
	s_cmp_eq_u32 s2, 0
	s_mov_b32 s27, 0
	s_cselect_b32 s26, s4, s6
	s_wait_kmcnt 0x0
	s_cmp_ge_u32 s26, s30
	s_cbranch_scc1 .LBB528_38
; %bb.4:
	s_bfe_u32 s5, ttmp6, 0x4000c
	s_bfe_u32 s7, ttmp6, 0x40010
	s_and_b32 s6, ttmp7, 0xffff
	s_add_co_i32 s5, s5, 1
	s_add_co_i32 s7, s7, 1
	s_and_b32 s4, ttmp6, 15
	s_mul_i32 s5, ttmp9, s5
	s_mul_i32 s7, s6, s7
	s_bfe_u32 s8, ttmp6, 0x40004
	v_and_b32_e32 v9, 0x3ff, v0
	v_bfe_u32 v15, v0, 10, 10
	s_add_co_i32 s4, s4, s5
	s_add_co_i32 s5, s8, s7
	s_cmp_eq_u32 s2, 0
	s_load_b32 s35, s[0:1], 0x0
	s_cselect_b32 s2, ttmp9, s4
	s_cselect_b32 s4, s6, s5
	v_lshl_add_u32 v1, v15, 4, v9
	s_load_b256 s[8:15], s[0:1], 0x18
	s_lshl_b32 s31, s4, 5
	s_clause 0x1
	s_load_b128 s[4:7], s[0:1], 0x38
	s_load_b128 s[20:23], s[0:1], 0x50
	v_dual_lshrrev_b32 v2, 5, v1 :: v_dual_bitop2_b32 v0, 7, v0 bitop3:0x40
	v_dual_lshrrev_b32 v3, 3, v1 :: v_dual_bitop2_b32 v1, 31, v1 bitop3:0x40
	s_delay_alu instid0(VALU_DEP_2) | instskip(SKIP_2) | instid1(VALU_DEP_2)
	v_dual_add_nc_u32 v16, s31, v15 :: v_dual_lshlrev_b32 v8, 3, v0
	s_lshl_b32 s2, s2, 5
	s_cmp_neq_f32 s18, 0
	v_dual_add_nc_u32 v6, s31, v3 :: v_dual_bitop2_b32 v4, s2, v1 bitop3:0x54
	s_delay_alu instid0(VALU_DEP_2) | instskip(SKIP_2) | instid1(VALU_DEP_2)
	v_add_nc_u32_e32 v18, 16, v16
	s_cselect_b32 s33, -1, 0
	s_cmp_neq_f32 s19, 0
	v_dual_lshlrev_b32 v1, 3, v1 :: v_dual_ashrrev_i32 v5, 31, v4
	v_dual_ashrrev_i32 v7, 31, v6 :: v_dual_ashrrev_i32 v17, 31, v16
	v_ashrrev_i32_e32 v19, 31, v18
	s_load_b64 s[28:29], s[0:1], 0x60
	s_wait_xcnt 0x0
	s_cselect_b32 s0, -1, 0
	s_wait_kmcnt 0x0
	v_cmp_le_i32_e64 s31, s35, v4
	s_or_b32 s38, s33, s0
	v_cmp_gt_i32_e64 s0, s35, v4
	v_mul_u64_e32 v[4:5], s[10:11], v[4:5]
	v_cmp_gt_i32_e64 s1, s35, v6
	v_mul_u64_e32 v[6:7], s[4:5], v[6:7]
	v_mul_u64_e32 v[10:11], s[22:23], v[16:17]
	;; [unrolled: 1-line block ×3, first 2 shown]
	v_lshl_or_b32 v3, v3, 6, v8
	v_dual_add_nc_u32 v8, s2, v9 :: v_dual_lshlrev_b32 v27, 3, v9
	s_cmp_neq_f32 s24, 0
	v_cmp_gt_i32_e32 vcc_lo, s35, v16
	v_cmp_gt_i64_e64 s39, s[16:17], 0
	s_delay_alu instid0(VALU_DEP_3)
	v_cmp_le_i32_e64 s2, v8, v16
	v_dual_add_nc_u32 v14, 16, v8 :: v_dual_ashrrev_i32 v9, 31, v8
	s_cselect_b32 s4, -1, 0
	s_xor_b32 s3, s3, -1
	s_and_b32 s34, vcc_lo, s2
	s_or_b32 s33, s4, s3
	v_cmp_le_i32_e64 s2, v14, v16
	v_cmp_gt_i32_e64 s3, s35, v18
	v_cmp_le_i32_e64 s4, v8, v18
	v_cmp_le_i32_e64 s5, v14, v18
	v_lshl_or_b32 v1, v2, 8, v1
	v_add_nc_u32_e32 v3, 0x800, v3
	v_lshl_add_u32 v29, v15, 6, 0x800
	v_dual_ashrrev_i32 v15, 31, v14 :: v_dual_mov_b32 v17, 0
	s_and_b32 s35, vcc_lo, s2
	s_and_b32 s36, s3, s4
	s_and_b32 s37, s3, s5
	s_mov_b32 s2, s24
	s_mov_b32 s3, s24
	;; [unrolled: 1-line block ×5, first 2 shown]
	s_and_b32 s38, s38, s39
	s_lshl_b64 s[6:7], s[6:7], 3
	s_lshl_b64 s[10:11], s[12:13], 3
	;; [unrolled: 1-line block ×3, first 2 shown]
                                        ; implicit-def: $vgpr18_vgpr19
	s_branch .LBB528_6
.LBB528_5:                              ;   in Loop: Header=BB528_6 Depth=1
	s_wait_xcnt 0x0
	s_or_b32 exec_lo, exec_lo, s22
	s_add_co_i32 s26, s26, 0x10000
	s_delay_alu instid0(SALU_CYCLE_1)
	s_cmp_lt_u32 s26, s30
	s_cbranch_scc0 .LBB528_38
.LBB528_6:                              ; =>This Loop Header: Depth=1
                                        ;     Child Loop BB528_9 Depth 2
	v_mov_b32_e32 v16, s26
	s_and_not1_b32 vcc_lo, exec_lo, s38
	global_load_b64 v[20:21], v16, s[20:21] scale_offset
	s_cbranch_vccnz .LBB528_17
; %bb.7:                                ;   in Loop: Header=BB528_6 Depth=1
	s_lshl_b64 s[22:23], s[26:27], 3
	v_dual_mov_b32 v26, 0 :: v_dual_mov_b32 v28, 0
	s_add_nc_u64 s[28:29], s[8:9], s[22:23]
	s_add_nc_u64 s[22:23], s[14:15], s[22:23]
	s_clause 0x1
	global_load_b64 v[22:23], v17, s[28:29]
	global_load_b64 v[24:25], v17, s[22:23]
	v_dual_mov_b32 v32, 0 :: v_dual_mov_b32 v30, 0
	v_dual_mov_b32 v36, 0 :: v_dual_mov_b32 v34, 0
	;; [unrolled: 1-line block ×3, first 2 shown]
	s_wait_xcnt 0x0
	s_mov_b64 s[22:23], 0
	s_wait_loadcnt 0x1
	v_add_nc_u64_e32 v[22:23], s[10:11], v[22:23]
	s_wait_loadcnt 0x0
	v_add_nc_u64_e32 v[24:25], s[6:7], v[24:25]
	s_delay_alu instid0(VALU_DEP_2) | instskip(NEXT) | instid1(VALU_DEP_2)
	v_lshl_add_u64 v[22:23], v[4:5], 3, v[22:23]
	v_lshl_add_u64 v[24:25], v[6:7], 3, v[24:25]
	s_branch .LBB528_9
.LBB528_8:                              ;   in Loop: Header=BB528_9 Depth=2
	s_wait_xcnt 0x0
	s_or_b32 exec_lo, exec_lo, s28
	s_wait_loadcnt_dscnt 0x0
	ds_store_b64 v3, v[42:43]
	s_wait_dscnt 0x0
	s_barrier_signal -1
	s_barrier_wait -1
	ds_load_b128 v[42:45], v29
	ds_load_2addr_b64 v[46:49], v27 offset1:16
	ds_load_b128 v[50:53], v29 offset:1024
	ds_load_b128 v[54:57], v29 offset:16
	;; [unrolled: 1-line block ×4, first 2 shown]
	ds_load_2addr_b64 v[66:69], v27 offset0:32 offset1:48
	ds_load_b128 v[70:73], v29 offset:1040
	s_add_nc_u64 s[22:23], s[22:23], 8
	s_delay_alu instid0(SALU_CYCLE_1)
	v_cmp_gt_i64_e64 s28, s[16:17], s[22:23]
	s_and_b32 vcc_lo, exec_lo, s28
	s_wait_dscnt 0x6
	v_dual_mul_f32 v16, v43, v47 :: v_dual_mul_f32 v31, v42, v47
	v_dual_mul_f32 v33, v43, v49 :: v_dual_mul_f32 v35, v42, v49
	s_wait_dscnt 0x5
	v_dual_mul_f32 v37, v51, v47 :: v_dual_mul_f32 v39, v50, v47
	v_dual_mul_f32 v41, v51, v49 :: v_dual_mul_f32 v47, v50, v49
	v_dual_fma_f32 v16, v42, v46, -v16 :: v_dual_fmac_f32 v31, v43, v46
	v_dual_fma_f32 v33, v42, v48, -v33 :: v_dual_fmac_f32 v35, v43, v48
	s_delay_alu instid0(VALU_DEP_4) | instskip(NEXT) | instid1(VALU_DEP_3)
	v_dual_fma_f32 v37, v50, v46, -v37 :: v_dual_fmac_f32 v39, v51, v46
	v_dual_add_f32 v16, v38, v16 :: v_dual_add_f32 v38, v40, v31
	v_fma_f32 v31, v50, v48, -v41
	s_delay_alu instid0(VALU_DEP_4) | instskip(NEXT) | instid1(VALU_DEP_4)
	v_dual_add_f32 v34, v34, v33 :: v_dual_add_f32 v35, v36, v35
	v_dual_add_f32 v36, v30, v37 :: v_dual_add_f32 v37, v32, v39
	s_wait_dscnt 0x1
	v_dual_mul_f32 v39, v45, v67 :: v_dual_fmac_f32 v47, v51, v48
	v_add_f32_e32 v28, v28, v31
	ds_load_2addr_b64 v[30:33], v27 offset0:64 offset1:80
	v_dual_mul_f32 v40, v44, v67 :: v_dual_fma_f32 v39, v44, v66, -v39
	v_dual_mul_f32 v41, v45, v69 :: v_dual_add_f32 v26, v26, v47
	s_delay_alu instid0(VALU_DEP_2) | instskip(NEXT) | instid1(VALU_DEP_3)
	v_dual_mul_f32 v42, v44, v69 :: v_dual_fmac_f32 v40, v45, v66
	v_add_f32_e32 v16, v16, v39
	s_delay_alu instid0(VALU_DEP_3) | instskip(NEXT) | instid1(VALU_DEP_3)
	v_dual_fma_f32 v39, v44, v68, -v41 :: v_dual_mul_f32 v41, v53, v67
	v_fmac_f32_e32 v42, v45, v68
	s_delay_alu instid0(VALU_DEP_4) | instskip(NEXT) | instid1(VALU_DEP_3)
	v_dual_add_f32 v38, v38, v40 :: v_dual_mul_f32 v40, v52, v67
	v_dual_add_f32 v39, v34, v39 :: v_dual_fma_f32 v34, v52, v66, -v41
	s_delay_alu instid0(VALU_DEP_3) | instskip(NEXT) | instid1(VALU_DEP_3)
	v_dual_mul_f32 v41, v53, v69 :: v_dual_add_f32 v42, v35, v42
	v_dual_fmac_f32 v40, v53, v66 :: v_dual_mul_f32 v43, v52, v69
	s_wait_dscnt 0x0
	s_delay_alu instid0(VALU_DEP_3) | instskip(NEXT) | instid1(VALU_DEP_3)
	v_dual_add_f32 v44, v36, v34 :: v_dual_mul_f32 v35, v55, v31
	v_fma_f32 v34, v52, v68, -v41
	s_delay_alu instid0(VALU_DEP_3) | instskip(SKIP_1) | instid1(VALU_DEP_4)
	v_dual_add_f32 v40, v37, v40 :: v_dual_mul_f32 v41, v54, v31
	v_fmac_f32_e32 v43, v53, v68
	v_fma_f32 v45, v54, v30, -v35
	s_delay_alu instid0(VALU_DEP_4) | instskip(SKIP_4) | instid1(VALU_DEP_3)
	v_dual_add_f32 v28, v28, v34 :: v_dual_mul_f32 v46, v55, v33
	ds_load_2addr_b64 v[34:37], v27 offset0:96 offset1:112
	v_dual_fmac_f32 v41, v55, v30 :: v_dual_add_f32 v26, v26, v43
	v_add_f32_e32 v16, v16, v45
	v_dual_mul_f32 v43, v54, v33 :: v_dual_fma_f32 v45, v54, v32, -v46
	v_dual_add_f32 v38, v38, v41 :: v_dual_mul_f32 v41, v71, v31
	s_delay_alu instid0(VALU_DEP_2) | instskip(NEXT) | instid1(VALU_DEP_3)
	v_dual_mul_f32 v31, v70, v31 :: v_dual_fmac_f32 v43, v55, v32
	v_add_f32_e32 v39, v39, v45
	s_delay_alu instid0(VALU_DEP_3) | instskip(NEXT) | instid1(VALU_DEP_3)
	v_dual_mul_f32 v45, v71, v33 :: v_dual_fma_f32 v41, v70, v30, -v41
	v_dual_fmac_f32 v31, v71, v30 :: v_dual_mul_f32 v46, v70, v33
	s_delay_alu instid0(VALU_DEP_4) | instskip(NEXT) | instid1(VALU_DEP_3)
	v_add_f32_e32 v42, v42, v43
	v_dual_fma_f32 v30, v70, v32, -v45 :: v_dual_add_f32 v43, v44, v41
	s_delay_alu instid0(VALU_DEP_3) | instskip(SKIP_1) | instid1(VALU_DEP_2)
	v_dual_add_f32 v44, v40, v31 :: v_dual_fmac_f32 v46, v71, v32
	s_wait_dscnt 0x0
	v_dual_mul_f32 v40, v57, v35 :: v_dual_add_f32 v28, v28, v30
	ds_load_2addr_b64 v[30:33], v27 offset0:128 offset1:144
	v_dual_mul_f32 v41, v56, v35 :: v_dual_mul_f32 v45, v57, v37
	v_fma_f32 v40, v56, v34, -v40
	v_dual_add_f32 v26, v26, v46 :: v_dual_mul_f32 v46, v56, v37
	s_delay_alu instid0(VALU_DEP_3) | instskip(NEXT) | instid1(VALU_DEP_4)
	v_fmac_f32_e32 v41, v57, v34
	v_fma_f32 v45, v56, v36, -v45
	s_delay_alu instid0(VALU_DEP_4) | instskip(NEXT) | instid1(VALU_DEP_3)
	v_dual_add_f32 v16, v16, v40 :: v_dual_mul_f32 v40, v73, v35
	v_dual_fmac_f32 v46, v57, v36 :: v_dual_add_f32 v47, v38, v41
	s_delay_alu instid0(VALU_DEP_3) | instskip(NEXT) | instid1(VALU_DEP_3)
	v_dual_add_f32 v48, v39, v45 :: v_dual_mul_f32 v35, v72, v35
	v_dual_fma_f32 v45, v72, v34, -v40 :: v_dual_mul_f32 v49, v73, v37
	s_delay_alu instid0(VALU_DEP_3)
	v_add_f32_e32 v46, v42, v46
	ds_load_b128 v[38:41], v29 offset:1056
	v_dual_fmac_f32 v35, v73, v34 :: v_dual_mul_f32 v42, v72, v37
	v_dual_fma_f32 v34, v72, v36, -v49 :: v_dual_add_f32 v49, v43, v45
	s_wait_dscnt 0x1
	v_dual_mul_f32 v37, v59, v31 :: v_dual_mul_f32 v51, v58, v31
	s_delay_alu instid0(VALU_DEP_3) | instskip(NEXT) | instid1(VALU_DEP_3)
	v_dual_fmac_f32 v42, v73, v36 :: v_dual_add_f32 v50, v44, v35
	v_add_f32_e32 v28, v28, v34
	s_delay_alu instid0(VALU_DEP_3) | instskip(NEXT) | instid1(VALU_DEP_3)
	v_dual_fma_f32 v43, v58, v30, -v37 :: v_dual_mul_f32 v44, v59, v33
	v_add_f32_e32 v26, v26, v42
	ds_load_2addr_b64 v[34:37], v27 offset0:160 offset1:176
	v_dual_fmac_f32 v51, v59, v30 :: v_dual_add_f32 v16, v16, v43
	v_dual_fma_f32 v52, v58, v32, -v44 :: v_dual_mul_f32 v53, v58, v33
	ds_load_b128 v[42:45], v29 offset:1072
	v_add_f32_e32 v47, v47, v51
	s_wait_dscnt 0x2
	v_dual_mul_f32 v54, v39, v31 :: v_dual_mul_f32 v31, v38, v31
	v_fmac_f32_e32 v53, v59, v32
	v_dual_add_f32 v48, v48, v52 :: v_dual_mul_f32 v52, v39, v33
	s_delay_alu instid0(VALU_DEP_3) | instskip(NEXT) | instid1(VALU_DEP_3)
	v_dual_fma_f32 v51, v38, v30, -v54 :: v_dual_fmac_f32 v31, v39, v30
	v_add_f32_e32 v46, v46, v53
	s_delay_alu instid0(VALU_DEP_3) | instskip(NEXT) | instid1(VALU_DEP_3)
	v_dual_mul_f32 v53, v38, v33 :: v_dual_fma_f32 v30, v38, v32, -v52
	v_add_f32_e32 v49, v49, v51
	s_delay_alu instid0(VALU_DEP_2)
	v_dual_add_f32 v38, v50, v31 :: v_dual_fmac_f32 v53, v39, v32
	s_wait_dscnt 0x1
	v_dual_mul_f32 v50, v61, v35 :: v_dual_mul_f32 v39, v60, v35
	v_dual_add_f32 v28, v28, v30 :: v_dual_mul_f32 v51, v61, v37
	ds_load_2addr_b64 v[30:33], v27 offset0:192 offset1:208
	v_dual_fma_f32 v50, v60, v34, -v50 :: v_dual_fmac_f32 v39, v61, v34
	v_add_f32_e32 v26, v26, v53
	v_mul_f32_e32 v52, v60, v37
	s_delay_alu instid0(VALU_DEP_3) | instskip(NEXT) | instid1(VALU_DEP_4)
	v_add_f32_e32 v16, v16, v50
	v_dual_fma_f32 v50, v60, v36, -v51 :: v_dual_add_f32 v39, v47, v39
	s_delay_alu instid0(VALU_DEP_3) | instskip(SKIP_1) | instid1(VALU_DEP_3)
	v_fmac_f32_e32 v52, v61, v36
	v_dual_mul_f32 v47, v41, v35 :: v_dual_mul_f32 v35, v40, v35
	v_dual_add_f32 v50, v48, v50 :: v_dual_mul_f32 v48, v41, v37
	s_delay_alu instid0(VALU_DEP_2) | instskip(NEXT) | instid1(VALU_DEP_3)
	v_dual_add_f32 v51, v46, v52 :: v_dual_fma_f32 v47, v40, v34, -v47
	v_dual_fmac_f32 v35, v41, v34 :: v_dual_mul_f32 v34, v40, v37
	s_delay_alu instid0(VALU_DEP_2) | instskip(SKIP_1) | instid1(VALU_DEP_2)
	v_dual_fma_f32 v37, v40, v36, -v48 :: v_dual_add_f32 v40, v49, v47
	s_wait_dscnt 0x0
	v_dual_mul_f32 v46, v63, v31 :: v_dual_fmac_f32 v34, v41, v36
	s_delay_alu instid0(VALU_DEP_2) | instskip(NEXT) | instid1(VALU_DEP_2)
	v_dual_add_f32 v35, v38, v35 :: v_dual_add_f32 v28, v28, v37
	v_dual_mul_f32 v36, v62, v31 :: v_dual_fma_f32 v37, v62, v30, -v46
	ds_load_2addr_b64 v[46:49], v27 offset0:224 offset1:240
	v_dual_add_f32 v26, v26, v34 :: v_dual_mul_f32 v34, v63, v33
	v_dual_fmac_f32 v36, v63, v30 :: v_dual_add_f32 v16, v16, v37
	v_dual_mul_f32 v37, v62, v33 :: v_dual_mul_f32 v38, v43, v31
	s_delay_alu instid0(VALU_DEP_3) | instskip(NEXT) | instid1(VALU_DEP_3)
	v_fma_f32 v34, v62, v32, -v34
	v_dual_mul_f32 v31, v42, v31 :: v_dual_add_f32 v36, v39, v36
	s_delay_alu instid0(VALU_DEP_3) | instskip(NEXT) | instid1(VALU_DEP_3)
	v_dual_fmac_f32 v37, v63, v32 :: v_dual_fma_f32 v38, v42, v30, -v38
	v_add_f32_e32 v34, v50, v34
	s_delay_alu instid0(VALU_DEP_3) | instskip(SKIP_1) | instid1(VALU_DEP_4)
	v_dual_fmac_f32 v31, v43, v30 :: v_dual_mul_f32 v30, v43, v33
	v_mul_f32_e32 v33, v42, v33
	v_dual_add_f32 v37, v51, v37 :: v_dual_add_f32 v39, v40, v38
	s_delay_alu instid0(VALU_DEP_3) | instskip(SKIP_3) | instid1(VALU_DEP_3)
	v_dual_add_f32 v31, v35, v31 :: v_dual_fma_f32 v30, v42, v32, -v30
	s_wait_dscnt 0x0
	v_dual_mul_f32 v35, v65, v47 :: v_dual_mul_f32 v40, v64, v47
	v_dual_fmac_f32 v33, v43, v32 :: v_dual_mul_f32 v32, v65, v49
	v_add_f32_e32 v28, v28, v30
	s_delay_alu instid0(VALU_DEP_3) | instskip(NEXT) | instid1(VALU_DEP_3)
	v_dual_fma_f32 v30, v64, v46, -v35 :: v_dual_fmac_f32 v40, v65, v46
	v_dual_mul_f32 v35, v64, v49 :: v_dual_fma_f32 v32, v64, v48, -v32
	s_delay_alu instid0(VALU_DEP_2) | instskip(NEXT) | instid1(VALU_DEP_3)
	v_dual_add_f32 v26, v26, v33 :: v_dual_add_f32 v38, v16, v30
	v_dual_add_f32 v40, v36, v40 :: v_dual_mul_f32 v16, v45, v47
	s_delay_alu instid0(VALU_DEP_3) | instskip(NEXT) | instid1(VALU_DEP_4)
	v_fmac_f32_e32 v35, v65, v48
	v_dual_add_f32 v34, v34, v32 :: v_dual_mul_f32 v30, v45, v49
	v_dual_mul_f32 v32, v44, v47 :: v_dual_mul_f32 v33, v44, v49
	s_delay_alu instid0(VALU_DEP_3) | instskip(NEXT) | instid1(VALU_DEP_2)
	v_dual_add_f32 v36, v37, v35 :: v_dual_fma_f32 v16, v44, v46, -v16
	v_dual_fma_f32 v35, v44, v48, -v30 :: v_dual_fmac_f32 v32, v45, v46
	s_delay_alu instid0(VALU_DEP_3) | instskip(NEXT) | instid1(VALU_DEP_2)
	v_fmac_f32_e32 v33, v45, v48
	v_dual_add_f32 v30, v39, v16 :: v_dual_add_f32 v28, v28, v35
	s_delay_alu instid0(VALU_DEP_2)
	v_dual_add_f32 v32, v31, v32 :: v_dual_add_f32 v26, v26, v33
	s_barrier_signal -1
	s_barrier_wait -1
	s_cbranch_vccz .LBB528_18
.LBB528_9:                              ;   Parent Loop BB528_6 Depth=1
                                        ; =>  This Inner Loop Header: Depth=2
	s_mov_b32 s28, 0
	s_mov_b32 s39, s31
	s_and_saveexec_b32 s29, s0
; %bb.10:                               ;   in Loop: Header=BB528_9 Depth=2
	v_add_nc_u32_e32 v16, s22, v2
	s_and_not1_b32 s39, s31, exec_lo
	s_mov_b32 s28, exec_lo
	s_delay_alu instid0(VALU_DEP_1) | instskip(SKIP_2) | instid1(SALU_CYCLE_1)
	v_cmp_le_u64_e32 vcc_lo, s[16:17], v[16:17]
	v_mov_b64_e32 v[18:19], v[16:17]
	s_and_b32 s40, vcc_lo, exec_lo
	s_or_b32 s39, s39, s40
; %bb.11:                               ;   in Loop: Header=BB528_9 Depth=2
	s_or_b32 exec_lo, exec_lo, s29
	s_and_saveexec_b32 s29, s39
	s_delay_alu instid0(SALU_CYCLE_1)
	s_xor_b32 s29, exec_lo, s29
; %bb.12:                               ;   in Loop: Header=BB528_9 Depth=2
	s_and_not1_b32 s28, s28, exec_lo
	ds_store_b32 v1, v17
; %bb.13:                               ;   in Loop: Header=BB528_9 Depth=2
	s_or_b32 exec_lo, exec_lo, s29
	v_dual_mov_b32 v42, 0 :: v_dual_mov_b32 v31, 0
	s_and_saveexec_b32 s29, s28
	s_cbranch_execz .LBB528_15
; %bb.14:                               ;   in Loop: Header=BB528_9 Depth=2
	v_lshl_add_u64 v[44:45], v[18:19], 3, v[22:23]
	flat_load_b64 v[44:45], v[44:45]
	s_wait_loadcnt_dscnt 0x0
	v_xor_b32_e32 v31, 0x80000000, v45
	ds_store_b32 v1, v44
.LBB528_15:                             ;   in Loop: Header=BB528_9 Depth=2
	s_wait_xcnt 0x0
	s_or_b32 exec_lo, exec_lo, s29
	v_dual_mov_b32 v43, 0 :: v_dual_add_nc_u32 v16, s22, v0
	ds_store_b32 v1, v31 offset:4
	v_cmp_gt_u64_e32 vcc_lo, s[16:17], v[16:17]
	s_and_b32 s29, vcc_lo, s1
	s_delay_alu instid0(SALU_CYCLE_1)
	s_and_saveexec_b32 s28, s29
	s_cbranch_execz .LBB528_8
; %bb.16:                               ;   in Loop: Header=BB528_9 Depth=2
	v_lshl_add_u64 v[42:43], v[16:17], 3, v[24:25]
	flat_load_b64 v[42:43], v[42:43]
	s_branch .LBB528_8
.LBB528_17:                             ;   in Loop: Header=BB528_6 Depth=1
	v_dual_mov_b32 v38, v17 :: v_dual_mov_b32 v40, v17
	v_dual_mov_b32 v34, v17 :: v_dual_mov_b32 v36, v17
	;; [unrolled: 1-line block ×4, first 2 shown]
.LBB528_18:                             ;   in Loop: Header=BB528_6 Depth=1
	s_wait_loadcnt 0x0
	v_add_nc_u64_e32 v[20:21], s[12:13], v[20:21]
	s_delay_alu instid0(VALU_DEP_1)
	v_lshl_add_u64 v[22:23], v[10:11], 3, v[20:21]
	s_wait_xcnt 0x0
	s_and_saveexec_b32 s22, s34
	s_cbranch_execz .LBB528_23
; %bb.19:                               ;   in Loop: Header=BB528_6 Depth=1
	v_mov_b64_e32 v[24:25], s[4:5]
	v_mov_b64_e32 v[42:43], s[18:19]
	s_and_b32 vcc_lo, exec_lo, s33
	s_mov_b32 s23, -1
	s_delay_alu instid0(VALU_DEP_2) | instskip(NEXT) | instid1(VALU_DEP_1)
	v_pk_mul_f32 v[24:25], v[40:41], v[24:25] op_sel_hi:[0,1]
	v_pk_fma_f32 v[40:41], v[38:39], v[42:43], v[24:25] op_sel_hi:[0,1,1]
	v_pk_fma_f32 v[24:25], v[38:39], v[42:43], v[24:25] neg_lo:[0,0,1] neg_hi:[0,0,1]
	v_lshl_add_u64 v[38:39], v[8:9], 3, v[22:23]
	s_delay_alu instid0(VALU_DEP_3)
	v_mov_b32_e32 v25, v41
	s_cbranch_vccz .LBB528_21
; %bb.20:                               ;   in Loop: Header=BB528_6 Depth=1
	flat_load_b64 v[40:41], v[38:39]
	v_mov_b64_e32 v[42:43], s[24:25]
	v_mov_b64_e32 v[44:45], s[2:3]
	s_mov_b32 s23, 0
	s_wait_loadcnt_dscnt 0x0
	s_delay_alu instid0(VALU_DEP_2) | instskip(NEXT) | instid1(VALU_DEP_1)
	v_pk_mul_f32 v[42:43], v[40:41], v[42:43]
	v_pk_fma_f32 v[46:47], v[40:41], v[44:45], v[42:43] op_sel:[0,0,1] op_sel_hi:[1,1,0]
	v_pk_fma_f32 v[40:41], v[40:41], v[44:45], v[42:43] op_sel:[0,0,1] op_sel_hi:[1,1,0] neg_lo:[0,0,1] neg_hi:[0,0,1]
	s_delay_alu instid0(VALU_DEP_2) | instskip(NEXT) | instid1(VALU_DEP_1)
	v_mov_b32_e32 v41, v47
	v_pk_add_f32 v[40:41], v[24:25], v[40:41]
	flat_store_b64 v[38:39], v[40:41]
.LBB528_21:                             ;   in Loop: Header=BB528_6 Depth=1
	s_and_not1_b32 vcc_lo, exec_lo, s23
	s_cbranch_vccnz .LBB528_23
; %bb.22:                               ;   in Loop: Header=BB528_6 Depth=1
	flat_store_b64 v[38:39], v[24:25]
.LBB528_23:                             ;   in Loop: Header=BB528_6 Depth=1
	s_wait_xcnt 0x0
	s_or_b32 exec_lo, exec_lo, s22
	s_and_saveexec_b32 s22, s35
	s_cbranch_execz .LBB528_28
; %bb.24:                               ;   in Loop: Header=BB528_6 Depth=1
	v_mov_b64_e32 v[24:25], s[4:5]
	v_mov_b64_e32 v[38:39], s[18:19]
	v_lshl_add_u64 v[22:23], v[14:15], 3, v[22:23]
	s_and_not1_b32 vcc_lo, exec_lo, s33
	s_mov_b32 s23, -1
	s_delay_alu instid0(VALU_DEP_3) | instskip(NEXT) | instid1(VALU_DEP_1)
	v_pk_mul_f32 v[24:25], v[36:37], v[24:25] op_sel_hi:[0,1]
	v_pk_fma_f32 v[36:37], v[34:35], v[38:39], v[24:25] op_sel_hi:[0,1,1]
	v_pk_fma_f32 v[24:25], v[34:35], v[38:39], v[24:25] neg_lo:[0,0,1] neg_hi:[0,0,1]
	s_delay_alu instid0(VALU_DEP_2)
	v_mov_b32_e32 v25, v37
	s_cbranch_vccnz .LBB528_26
; %bb.25:                               ;   in Loop: Header=BB528_6 Depth=1
	flat_load_b64 v[34:35], v[22:23]
	v_mov_b64_e32 v[36:37], s[24:25]
	v_mov_b64_e32 v[38:39], s[2:3]
	s_mov_b32 s23, 0
	s_wait_loadcnt_dscnt 0x0
	s_delay_alu instid0(VALU_DEP_2) | instskip(NEXT) | instid1(VALU_DEP_1)
	v_pk_mul_f32 v[36:37], v[34:35], v[36:37]
	v_pk_fma_f32 v[40:41], v[34:35], v[38:39], v[36:37] op_sel:[0,0,1] op_sel_hi:[1,1,0]
	v_pk_fma_f32 v[34:35], v[34:35], v[38:39], v[36:37] op_sel:[0,0,1] op_sel_hi:[1,1,0] neg_lo:[0,0,1] neg_hi:[0,0,1]
	s_delay_alu instid0(VALU_DEP_2) | instskip(NEXT) | instid1(VALU_DEP_1)
	v_mov_b32_e32 v35, v41
	v_pk_add_f32 v[34:35], v[24:25], v[34:35]
	flat_store_b64 v[22:23], v[34:35]
.LBB528_26:                             ;   in Loop: Header=BB528_6 Depth=1
	s_and_not1_b32 vcc_lo, exec_lo, s23
	s_cbranch_vccnz .LBB528_28
; %bb.27:                               ;   in Loop: Header=BB528_6 Depth=1
	flat_store_b64 v[22:23], v[24:25]
.LBB528_28:                             ;   in Loop: Header=BB528_6 Depth=1
	s_wait_xcnt 0x0
	s_or_b32 exec_lo, exec_lo, s22
	v_lshl_add_u64 v[20:21], v[12:13], 3, v[20:21]
	s_and_saveexec_b32 s22, s36
	s_cbranch_execz .LBB528_33
; %bb.29:                               ;   in Loop: Header=BB528_6 Depth=1
	v_mov_b64_e32 v[22:23], s[4:5]
	v_mov_b64_e32 v[24:25], s[18:19]
	s_and_not1_b32 vcc_lo, exec_lo, s33
	s_mov_b32 s23, -1
	s_delay_alu instid0(VALU_DEP_2) | instskip(NEXT) | instid1(VALU_DEP_1)
	v_pk_mul_f32 v[22:23], v[32:33], v[22:23] op_sel_hi:[0,1]
	v_pk_fma_f32 v[32:33], v[30:31], v[24:25], v[22:23] op_sel_hi:[0,1,1]
	v_pk_fma_f32 v[22:23], v[30:31], v[24:25], v[22:23] neg_lo:[0,0,1] neg_hi:[0,0,1]
	v_lshl_add_u64 v[24:25], v[8:9], 3, v[20:21]
	s_delay_alu instid0(VALU_DEP_3)
	v_mov_b32_e32 v23, v33
	s_cbranch_vccnz .LBB528_31
; %bb.30:                               ;   in Loop: Header=BB528_6 Depth=1
	flat_load_b64 v[30:31], v[24:25]
	v_mov_b64_e32 v[32:33], s[24:25]
	v_mov_b64_e32 v[34:35], s[2:3]
	s_mov_b32 s23, 0
	s_wait_loadcnt_dscnt 0x0
	s_delay_alu instid0(VALU_DEP_2) | instskip(NEXT) | instid1(VALU_DEP_1)
	v_pk_mul_f32 v[32:33], v[30:31], v[32:33]
	v_pk_fma_f32 v[36:37], v[30:31], v[34:35], v[32:33] op_sel:[0,0,1] op_sel_hi:[1,1,0]
	v_pk_fma_f32 v[30:31], v[30:31], v[34:35], v[32:33] op_sel:[0,0,1] op_sel_hi:[1,1,0] neg_lo:[0,0,1] neg_hi:[0,0,1]
	s_delay_alu instid0(VALU_DEP_2) | instskip(NEXT) | instid1(VALU_DEP_1)
	v_mov_b32_e32 v31, v37
	v_pk_add_f32 v[30:31], v[22:23], v[30:31]
	flat_store_b64 v[24:25], v[30:31]
.LBB528_31:                             ;   in Loop: Header=BB528_6 Depth=1
	s_and_not1_b32 vcc_lo, exec_lo, s23
	s_cbranch_vccnz .LBB528_33
; %bb.32:                               ;   in Loop: Header=BB528_6 Depth=1
	flat_store_b64 v[24:25], v[22:23]
.LBB528_33:                             ;   in Loop: Header=BB528_6 Depth=1
	s_wait_xcnt 0x0
	s_or_b32 exec_lo, exec_lo, s22
	s_and_saveexec_b32 s22, s37
	s_cbranch_execz .LBB528_5
; %bb.34:                               ;   in Loop: Header=BB528_6 Depth=1
	v_mov_b64_e32 v[22:23], s[4:5]
	v_mov_b64_e32 v[24:25], s[18:19]
	v_lshl_add_u64 v[20:21], v[14:15], 3, v[20:21]
	s_and_not1_b32 vcc_lo, exec_lo, s33
	s_mov_b32 s23, -1
	s_delay_alu instid0(VALU_DEP_3) | instskip(NEXT) | instid1(VALU_DEP_1)
	v_pk_mul_f32 v[22:23], v[26:27], v[22:23] op_sel_hi:[0,1]
	v_pk_fma_f32 v[30:31], v[28:29], v[24:25], v[22:23] op_sel_hi:[0,1,1]
	v_pk_fma_f32 v[22:23], v[28:29], v[24:25], v[22:23] neg_lo:[0,0,1] neg_hi:[0,0,1]
	s_delay_alu instid0(VALU_DEP_2)
	v_mov_b32_e32 v23, v31
	s_cbranch_vccnz .LBB528_36
; %bb.35:                               ;   in Loop: Header=BB528_6 Depth=1
	flat_load_b64 v[24:25], v[20:21]
	v_mov_b64_e32 v[30:31], s[24:25]
	v_mov_b64_e32 v[32:33], s[2:3]
	s_mov_b32 s23, 0
	s_wait_loadcnt_dscnt 0x0
	s_delay_alu instid0(VALU_DEP_2) | instskip(NEXT) | instid1(VALU_DEP_1)
	v_pk_mul_f32 v[30:31], v[24:25], v[30:31]
	v_pk_fma_f32 v[34:35], v[24:25], v[32:33], v[30:31] op_sel:[0,0,1] op_sel_hi:[1,1,0]
	v_pk_fma_f32 v[24:25], v[24:25], v[32:33], v[30:31] op_sel:[0,0,1] op_sel_hi:[1,1,0] neg_lo:[0,0,1] neg_hi:[0,0,1]
	s_delay_alu instid0(VALU_DEP_2) | instskip(NEXT) | instid1(VALU_DEP_1)
	v_mov_b32_e32 v25, v35
	v_pk_add_f32 v[24:25], v[22:23], v[24:25]
	flat_store_b64 v[20:21], v[24:25]
.LBB528_36:                             ;   in Loop: Header=BB528_6 Depth=1
	s_and_not1_b32 vcc_lo, exec_lo, s23
	s_cbranch_vccnz .LBB528_5
; %bb.37:                               ;   in Loop: Header=BB528_6 Depth=1
	flat_store_b64 v[20:21], v[22:23]
	s_branch .LBB528_5
.LBB528_38:
	s_sendmsg sendmsg(MSG_DEALLOC_VGPRS)
	s_endpgm
	.section	.rodata,"a",@progbits
	.p2align	6, 0x0
	.amdhsa_kernel _ZL29rocblas_internal_gemmt_kernelIlLi16ELi32ELi8ELc67ELc78ELc85ELb1ELb0E19rocblas_complex_numIfES1_PKPKS1_PKPS1_EviT_T9_T10_S9_lSB_S9_lSA_T11_S9_li
		.amdhsa_group_segment_fixed_size 4096
		.amdhsa_private_segment_fixed_size 0
		.amdhsa_kernarg_size 108
		.amdhsa_user_sgpr_count 2
		.amdhsa_user_sgpr_dispatch_ptr 0
		.amdhsa_user_sgpr_queue_ptr 0
		.amdhsa_user_sgpr_kernarg_segment_ptr 1
		.amdhsa_user_sgpr_dispatch_id 0
		.amdhsa_user_sgpr_kernarg_preload_length 0
		.amdhsa_user_sgpr_kernarg_preload_offset 0
		.amdhsa_user_sgpr_private_segment_size 0
		.amdhsa_wavefront_size32 1
		.amdhsa_uses_dynamic_stack 0
		.amdhsa_enable_private_segment 0
		.amdhsa_system_sgpr_workgroup_id_x 1
		.amdhsa_system_sgpr_workgroup_id_y 1
		.amdhsa_system_sgpr_workgroup_id_z 1
		.amdhsa_system_sgpr_workgroup_info 0
		.amdhsa_system_vgpr_workitem_id 1
		.amdhsa_next_free_vgpr 74
		.amdhsa_next_free_sgpr 41
		.amdhsa_named_barrier_count 0
		.amdhsa_reserve_vcc 1
		.amdhsa_float_round_mode_32 0
		.amdhsa_float_round_mode_16_64 0
		.amdhsa_float_denorm_mode_32 3
		.amdhsa_float_denorm_mode_16_64 3
		.amdhsa_fp16_overflow 0
		.amdhsa_memory_ordered 1
		.amdhsa_forward_progress 1
		.amdhsa_inst_pref_size 26
		.amdhsa_round_robin_scheduling 0
		.amdhsa_exception_fp_ieee_invalid_op 0
		.amdhsa_exception_fp_denorm_src 0
		.amdhsa_exception_fp_ieee_div_zero 0
		.amdhsa_exception_fp_ieee_overflow 0
		.amdhsa_exception_fp_ieee_underflow 0
		.amdhsa_exception_fp_ieee_inexact 0
		.amdhsa_exception_int_div_zero 0
	.end_amdhsa_kernel
	.section	.text._ZL29rocblas_internal_gemmt_kernelIlLi16ELi32ELi8ELc67ELc78ELc85ELb1ELb0E19rocblas_complex_numIfES1_PKPKS1_PKPS1_EviT_T9_T10_S9_lSB_S9_lSA_T11_S9_li,"axG",@progbits,_ZL29rocblas_internal_gemmt_kernelIlLi16ELi32ELi8ELc67ELc78ELc85ELb1ELb0E19rocblas_complex_numIfES1_PKPKS1_PKPS1_EviT_T9_T10_S9_lSB_S9_lSA_T11_S9_li,comdat
.Lfunc_end528:
	.size	_ZL29rocblas_internal_gemmt_kernelIlLi16ELi32ELi8ELc67ELc78ELc85ELb1ELb0E19rocblas_complex_numIfES1_PKPKS1_PKPS1_EviT_T9_T10_S9_lSB_S9_lSA_T11_S9_li, .Lfunc_end528-_ZL29rocblas_internal_gemmt_kernelIlLi16ELi32ELi8ELc67ELc78ELc85ELb1ELb0E19rocblas_complex_numIfES1_PKPKS1_PKPS1_EviT_T9_T10_S9_lSB_S9_lSA_T11_S9_li
                                        ; -- End function
	.set _ZL29rocblas_internal_gemmt_kernelIlLi16ELi32ELi8ELc67ELc78ELc85ELb1ELb0E19rocblas_complex_numIfES1_PKPKS1_PKPS1_EviT_T9_T10_S9_lSB_S9_lSA_T11_S9_li.num_vgpr, 74
	.set _ZL29rocblas_internal_gemmt_kernelIlLi16ELi32ELi8ELc67ELc78ELc85ELb1ELb0E19rocblas_complex_numIfES1_PKPKS1_PKPS1_EviT_T9_T10_S9_lSB_S9_lSA_T11_S9_li.num_agpr, 0
	.set _ZL29rocblas_internal_gemmt_kernelIlLi16ELi32ELi8ELc67ELc78ELc85ELb1ELb0E19rocblas_complex_numIfES1_PKPKS1_PKPS1_EviT_T9_T10_S9_lSB_S9_lSA_T11_S9_li.numbered_sgpr, 41
	.set _ZL29rocblas_internal_gemmt_kernelIlLi16ELi32ELi8ELc67ELc78ELc85ELb1ELb0E19rocblas_complex_numIfES1_PKPKS1_PKPS1_EviT_T9_T10_S9_lSB_S9_lSA_T11_S9_li.num_named_barrier, 0
	.set _ZL29rocblas_internal_gemmt_kernelIlLi16ELi32ELi8ELc67ELc78ELc85ELb1ELb0E19rocblas_complex_numIfES1_PKPKS1_PKPS1_EviT_T9_T10_S9_lSB_S9_lSA_T11_S9_li.private_seg_size, 0
	.set _ZL29rocblas_internal_gemmt_kernelIlLi16ELi32ELi8ELc67ELc78ELc85ELb1ELb0E19rocblas_complex_numIfES1_PKPKS1_PKPS1_EviT_T9_T10_S9_lSB_S9_lSA_T11_S9_li.uses_vcc, 1
	.set _ZL29rocblas_internal_gemmt_kernelIlLi16ELi32ELi8ELc67ELc78ELc85ELb1ELb0E19rocblas_complex_numIfES1_PKPKS1_PKPS1_EviT_T9_T10_S9_lSB_S9_lSA_T11_S9_li.uses_flat_scratch, 0
	.set _ZL29rocblas_internal_gemmt_kernelIlLi16ELi32ELi8ELc67ELc78ELc85ELb1ELb0E19rocblas_complex_numIfES1_PKPKS1_PKPS1_EviT_T9_T10_S9_lSB_S9_lSA_T11_S9_li.has_dyn_sized_stack, 0
	.set _ZL29rocblas_internal_gemmt_kernelIlLi16ELi32ELi8ELc67ELc78ELc85ELb1ELb0E19rocblas_complex_numIfES1_PKPKS1_PKPS1_EviT_T9_T10_S9_lSB_S9_lSA_T11_S9_li.has_recursion, 0
	.set _ZL29rocblas_internal_gemmt_kernelIlLi16ELi32ELi8ELc67ELc78ELc85ELb1ELb0E19rocblas_complex_numIfES1_PKPKS1_PKPS1_EviT_T9_T10_S9_lSB_S9_lSA_T11_S9_li.has_indirect_call, 0
	.section	.AMDGPU.csdata,"",@progbits
; Kernel info:
; codeLenInByte = 3292
; TotalNumSgprs: 43
; NumVgprs: 74
; ScratchSize: 0
; MemoryBound: 0
; FloatMode: 240
; IeeeMode: 1
; LDSByteSize: 4096 bytes/workgroup (compile time only)
; SGPRBlocks: 0
; VGPRBlocks: 4
; NumSGPRsForWavesPerEU: 43
; NumVGPRsForWavesPerEU: 74
; NamedBarCnt: 0
; Occupancy: 12
; WaveLimiterHint : 1
; COMPUTE_PGM_RSRC2:SCRATCH_EN: 0
; COMPUTE_PGM_RSRC2:USER_SGPR: 2
; COMPUTE_PGM_RSRC2:TRAP_HANDLER: 0
; COMPUTE_PGM_RSRC2:TGID_X_EN: 1
; COMPUTE_PGM_RSRC2:TGID_Y_EN: 1
; COMPUTE_PGM_RSRC2:TGID_Z_EN: 1
; COMPUTE_PGM_RSRC2:TIDIG_COMP_CNT: 1
	.section	.text._ZL29rocblas_internal_gemmt_kernelIlLi16ELi32ELi8ELc67ELc84ELc85ELb1ELb0E19rocblas_complex_numIfES1_PKPKS1_PKPS1_EviT_T9_T10_S9_lSB_S9_lSA_T11_S9_li,"axG",@progbits,_ZL29rocblas_internal_gemmt_kernelIlLi16ELi32ELi8ELc67ELc84ELc85ELb1ELb0E19rocblas_complex_numIfES1_PKPKS1_PKPS1_EviT_T9_T10_S9_lSB_S9_lSA_T11_S9_li,comdat
	.globl	_ZL29rocblas_internal_gemmt_kernelIlLi16ELi32ELi8ELc67ELc84ELc85ELb1ELb0E19rocblas_complex_numIfES1_PKPKS1_PKPS1_EviT_T9_T10_S9_lSB_S9_lSA_T11_S9_li ; -- Begin function _ZL29rocblas_internal_gemmt_kernelIlLi16ELi32ELi8ELc67ELc84ELc85ELb1ELb0E19rocblas_complex_numIfES1_PKPKS1_PKPS1_EviT_T9_T10_S9_lSB_S9_lSA_T11_S9_li
	.p2align	8
	.type	_ZL29rocblas_internal_gemmt_kernelIlLi16ELi32ELi8ELc67ELc84ELc85ELb1ELb0E19rocblas_complex_numIfES1_PKPKS1_PKPS1_EviT_T9_T10_S9_lSB_S9_lSA_T11_S9_li,@function
_ZL29rocblas_internal_gemmt_kernelIlLi16ELi32ELi8ELc67ELc84ELc85ELb1ELb0E19rocblas_complex_numIfES1_PKPKS1_PKPS1_EviT_T9_T10_S9_lSB_S9_lSA_T11_S9_li: ; @_ZL29rocblas_internal_gemmt_kernelIlLi16ELi32ELi8ELc67ELc84ELc85ELb1ELb0E19rocblas_complex_numIfES1_PKPKS1_PKPS1_EviT_T9_T10_S9_lSB_S9_lSA_T11_S9_li
; %bb.0:
	s_clause 0x1
	s_load_b64 s[6:7], s[0:1], 0x48
	s_load_b128 s[16:19], s[0:1], 0x8
	s_wait_kmcnt 0x0
	s_cmp_neq_f32 s6, 1.0
	s_cselect_b32 s2, -1, 0
	s_and_b32 s4, s7, 0x7fffffff
	s_delay_alu instid0(SALU_CYCLE_1) | instskip(SKIP_3) | instid1(SALU_CYCLE_1)
	s_cmp_eq_u32 s4, 0
	s_cselect_b32 s3, -1, 0
	s_cmp_lg_u32 s4, 0
	s_cselect_b32 s4, -1, 0
	s_or_b32 s2, s2, s4
	s_delay_alu instid0(SALU_CYCLE_1)
	s_and_b32 vcc_lo, exec_lo, s2
	s_cbranch_vccnz .LBB529_2
; %bb.1:
	s_cmp_lg_u64 s[16:17], 0
	s_cselect_b32 s2, -1, 0
	s_cmp_neq_f32 s18, 0
	s_cselect_b32 s4, -1, 0
	s_cmp_neq_f32 s19, 0
	s_cselect_b32 s5, -1, 0
	s_delay_alu instid0(SALU_CYCLE_1) | instskip(NEXT) | instid1(SALU_CYCLE_1)
	s_or_b32 s4, s4, s5
	s_and_b32 s2, s2, s4
.LBB529_2:
	s_delay_alu instid0(SALU_CYCLE_1)
	s_and_not1_b32 vcc_lo, exec_lo, s2
	s_cbranch_vccnz .LBB529_38
; %bb.3:
	s_load_b32 s33, s[0:1], 0x68
	s_bfe_u32 s2, ttmp6, 0x40014
	s_lshr_b32 s4, ttmp7, 16
	s_add_co_i32 s2, s2, 1
	s_bfe_u32 s8, ttmp6, 0x40008
	s_mul_i32 s5, s4, s2
	s_getreg_b32 s2, hwreg(HW_REG_IB_STS2, 6, 4)
	s_add_co_i32 s8, s8, s5
	s_cmp_eq_u32 s2, 0
	s_mov_b32 s29, 0
	s_cselect_b32 s28, s4, s8
	s_wait_kmcnt 0x0
	s_cmp_ge_u32 s28, s33
	s_cbranch_scc1 .LBB529_38
; %bb.4:
	v_and_b32_e32 v9, 0x3ff, v0
	v_bfe_u32 v15, v0, 10, 10
	s_bfe_u32 s8, ttmp6, 0x4000c
	s_bfe_u32 s9, ttmp6, 0x40010
	s_and_b32 s20, ttmp7, 0xffff
	s_add_co_i32 s8, s8, 1
	s_add_co_i32 s9, s9, 1
	s_and_b32 s5, ttmp6, 15
	v_lshl_add_u32 v1, v15, 4, v9
	s_mul_i32 s8, ttmp9, s8
	s_mul_i32 s9, s20, s9
	s_bfe_u32 s10, ttmp6, 0x40004
	s_add_co_i32 s5, s5, s8
	s_add_co_i32 s21, s10, s9
	s_cmp_eq_u32 s2, 0
	v_dual_lshrrev_b32 v2, 5, v1 :: v_dual_bitop2_b32 v0, 7, v0 bitop3:0x40
	s_clause 0x1
	s_load_b32 s4, s[0:1], 0x0
	s_load_b256 s[8:15], s[0:1], 0x18
	s_cselect_b32 s2, ttmp9, s5
	s_cselect_b32 s5, s20, s21
	v_dual_lshrrev_b32 v3, 3, v1 :: v_dual_bitop2_b32 v1, 31, v1 bitop3:0x40
	s_clause 0x1
	s_load_b128 s[20:23], s[0:1], 0x38
	s_load_b128 s[24:27], s[0:1], 0x50
	s_lshl_b32 s2, s2, 5
	s_lshl_b32 s5, s5, 5
	s_cmp_neq_f32 s18, 0
	v_dual_add_nc_u32 v4, s5, v3 :: v_dual_bitop2_b32 v6, s2, v1 bitop3:0x54
	v_dual_lshlrev_b32 v1, 3, v1 :: v_dual_add_nc_u32 v16, s5, v15
	s_cselect_b32 s34, -1, 0
	s_cmp_neq_f32 s19, 0
	s_delay_alu instid0(VALU_DEP_2) | instskip(NEXT) | instid1(VALU_DEP_2)
	v_dual_lshlrev_b32 v5, 3, v0 :: v_dual_ashrrev_i32 v7, 31, v6
	v_dual_add_nc_u32 v18, 16, v16 :: v_dual_ashrrev_i32 v17, 31, v16
	s_load_b64 s[30:31], s[0:1], 0x60
	s_wait_xcnt 0x0
	s_cselect_b32 s0, -1, 0
	s_delay_alu instid0(VALU_DEP_1)
	v_dual_add_nc_u32 v8, s2, v9 :: v_dual_ashrrev_i32 v19, 31, v18
	s_or_b32 s40, s34, s0
	s_wait_kmcnt 0x0
	v_cmp_gt_i32_e64 s0, s4, v6
	v_cmp_le_i32_e64 s34, s4, v6
	v_mul_u64_e32 v[6:7], s[10:11], v[6:7]
	v_mul_u64_e32 v[10:11], s[26:27], v[16:17]
	;; [unrolled: 1-line block ×3, first 2 shown]
	s_cmp_neq_f32 s6, 0
	v_cmp_gt_i32_e32 vcc_lo, s4, v16
	v_cmp_le_i32_e64 s2, v8, v16
	v_add_nc_u32_e32 v14, 16, v8
	v_lshl_or_b32 v3, v3, 6, v5
	v_cmp_gt_i64_e64 s41, s[16:17], 0
	s_cselect_b32 s5, -1, 0
	s_xor_b32 s3, s3, -1
	v_cmp_gt_i32_e64 s1, s4, v4
	v_dual_ashrrev_i32 v5, 31, v4 :: v_dual_lshlrev_b32 v27, 3, v9
	s_or_b32 s35, s5, s3
	s_and_b32 s36, vcc_lo, s2
	v_cmp_gt_i32_e64 s3, s4, v18
	v_cmp_le_i32_e64 s4, v8, v18
	v_ashrrev_i32_e32 v9, 31, v8
	v_cmp_le_i32_e64 s2, v14, v16
	v_cmp_le_i32_e64 s5, v14, v18
	v_lshl_or_b32 v1, v2, 8, v1
	v_add_nc_u32_e32 v3, 0x800, v3
	v_lshl_add_u32 v29, v15, 6, 0x800
	v_dual_ashrrev_i32 v15, 31, v14 :: v_dual_mov_b32 v17, 0
	s_and_b32 s37, vcc_lo, s2
	s_and_b32 s38, s3, s4
	s_and_b32 s39, s3, s5
	s_mov_b32 s2, s6
	s_mov_b32 s3, s6
	;; [unrolled: 1-line block ×5, first 2 shown]
	s_and_b32 s40, s40, s41
	s_lshl_b64 s[10:11], s[22:23], 3
	s_lshl_b64 s[12:13], s[12:13], 3
	;; [unrolled: 1-line block ×3, first 2 shown]
                                        ; implicit-def: $vgpr18_vgpr19
	s_branch .LBB529_6
.LBB529_5:                              ;   in Loop: Header=BB529_6 Depth=1
	s_wait_xcnt 0x0
	s_or_b32 exec_lo, exec_lo, s26
	s_add_co_i32 s28, s28, 0x10000
	s_delay_alu instid0(SALU_CYCLE_1)
	s_cmp_lt_u32 s28, s33
	s_cbranch_scc0 .LBB529_38
.LBB529_6:                              ; =>This Loop Header: Depth=1
                                        ;     Child Loop BB529_9 Depth 2
	v_mov_b32_e32 v16, s28
	s_and_not1_b32 vcc_lo, exec_lo, s40
	global_load_b64 v[20:21], v16, s[24:25] scale_offset
	s_cbranch_vccnz .LBB529_17
; %bb.7:                                ;   in Loop: Header=BB529_6 Depth=1
	s_lshl_b64 s[26:27], s[28:29], 3
	v_dual_mov_b32 v26, 0 :: v_dual_mov_b32 v28, 0
	s_add_nc_u64 s[30:31], s[8:9], s[26:27]
	s_add_nc_u64 s[26:27], s[14:15], s[26:27]
	s_clause 0x1
	global_load_b64 v[22:23], v17, s[30:31]
	global_load_b64 v[24:25], v17, s[26:27]
	v_dual_mov_b32 v32, 0 :: v_dual_mov_b32 v30, 0
	v_dual_mov_b32 v36, 0 :: v_dual_mov_b32 v34, 0
	;; [unrolled: 1-line block ×3, first 2 shown]
	s_wait_xcnt 0x0
	s_mov_b64 s[26:27], 0
	s_wait_loadcnt 0x1
	v_add_nc_u64_e32 v[22:23], s[12:13], v[22:23]
	s_wait_loadcnt 0x0
	v_add_nc_u64_e32 v[24:25], s[10:11], v[24:25]
	s_delay_alu instid0(VALU_DEP_2) | instskip(NEXT) | instid1(VALU_DEP_2)
	v_lshl_add_u64 v[22:23], v[6:7], 3, v[22:23]
	v_lshl_add_u64 v[24:25], v[4:5], 3, v[24:25]
	s_branch .LBB529_9
.LBB529_8:                              ;   in Loop: Header=BB529_9 Depth=2
	s_wait_xcnt 0x0
	s_or_b32 exec_lo, exec_lo, s30
	s_wait_loadcnt_dscnt 0x0
	ds_store_b64 v3, v[42:43]
	s_wait_dscnt 0x0
	s_barrier_signal -1
	s_barrier_wait -1
	ds_load_b128 v[42:45], v29
	ds_load_2addr_b64 v[46:49], v27 offset1:16
	ds_load_b128 v[50:53], v29 offset:1024
	ds_load_b128 v[54:57], v29 offset:16
	;; [unrolled: 1-line block ×4, first 2 shown]
	ds_load_2addr_b64 v[66:69], v27 offset0:32 offset1:48
	ds_load_b128 v[70:73], v29 offset:1040
	s_add_nc_u64 s[26:27], s[26:27], 8
	s_delay_alu instid0(SALU_CYCLE_1)
	v_cmp_gt_i64_e64 s30, s[16:17], s[26:27]
	s_and_b32 vcc_lo, exec_lo, s30
	s_wait_dscnt 0x6
	v_dual_mul_f32 v16, v43, v47 :: v_dual_mul_f32 v31, v42, v47
	v_dual_mul_f32 v33, v43, v49 :: v_dual_mul_f32 v35, v42, v49
	s_wait_dscnt 0x5
	v_dual_mul_f32 v37, v51, v47 :: v_dual_mul_f32 v39, v50, v47
	v_dual_mul_f32 v41, v51, v49 :: v_dual_mul_f32 v47, v50, v49
	v_dual_fma_f32 v16, v42, v46, -v16 :: v_dual_fmac_f32 v31, v43, v46
	v_dual_fma_f32 v33, v42, v48, -v33 :: v_dual_fmac_f32 v35, v43, v48
	s_delay_alu instid0(VALU_DEP_4) | instskip(NEXT) | instid1(VALU_DEP_3)
	v_dual_fma_f32 v37, v50, v46, -v37 :: v_dual_fmac_f32 v39, v51, v46
	v_dual_add_f32 v16, v38, v16 :: v_dual_add_f32 v38, v40, v31
	v_fma_f32 v31, v50, v48, -v41
	s_delay_alu instid0(VALU_DEP_4) | instskip(NEXT) | instid1(VALU_DEP_4)
	v_dual_add_f32 v34, v34, v33 :: v_dual_add_f32 v35, v36, v35
	v_dual_add_f32 v36, v30, v37 :: v_dual_add_f32 v37, v32, v39
	s_wait_dscnt 0x1
	v_dual_mul_f32 v39, v45, v67 :: v_dual_fmac_f32 v47, v51, v48
	v_add_f32_e32 v28, v28, v31
	ds_load_2addr_b64 v[30:33], v27 offset0:64 offset1:80
	v_dual_mul_f32 v40, v44, v67 :: v_dual_fma_f32 v39, v44, v66, -v39
	v_dual_mul_f32 v41, v45, v69 :: v_dual_add_f32 v26, v26, v47
	s_delay_alu instid0(VALU_DEP_2) | instskip(NEXT) | instid1(VALU_DEP_3)
	v_dual_mul_f32 v42, v44, v69 :: v_dual_fmac_f32 v40, v45, v66
	v_add_f32_e32 v16, v16, v39
	s_delay_alu instid0(VALU_DEP_3) | instskip(NEXT) | instid1(VALU_DEP_3)
	v_dual_fma_f32 v39, v44, v68, -v41 :: v_dual_mul_f32 v41, v53, v67
	v_fmac_f32_e32 v42, v45, v68
	s_delay_alu instid0(VALU_DEP_4) | instskip(NEXT) | instid1(VALU_DEP_3)
	v_dual_add_f32 v38, v38, v40 :: v_dual_mul_f32 v40, v52, v67
	v_dual_add_f32 v39, v34, v39 :: v_dual_fma_f32 v34, v52, v66, -v41
	s_delay_alu instid0(VALU_DEP_3) | instskip(NEXT) | instid1(VALU_DEP_3)
	v_dual_mul_f32 v41, v53, v69 :: v_dual_add_f32 v42, v35, v42
	v_dual_fmac_f32 v40, v53, v66 :: v_dual_mul_f32 v43, v52, v69
	s_wait_dscnt 0x0
	s_delay_alu instid0(VALU_DEP_3) | instskip(NEXT) | instid1(VALU_DEP_3)
	v_dual_add_f32 v44, v36, v34 :: v_dual_mul_f32 v35, v55, v31
	v_fma_f32 v34, v52, v68, -v41
	s_delay_alu instid0(VALU_DEP_3) | instskip(SKIP_1) | instid1(VALU_DEP_4)
	v_dual_add_f32 v40, v37, v40 :: v_dual_mul_f32 v41, v54, v31
	v_fmac_f32_e32 v43, v53, v68
	v_fma_f32 v45, v54, v30, -v35
	s_delay_alu instid0(VALU_DEP_4) | instskip(SKIP_4) | instid1(VALU_DEP_3)
	v_dual_add_f32 v28, v28, v34 :: v_dual_mul_f32 v46, v55, v33
	ds_load_2addr_b64 v[34:37], v27 offset0:96 offset1:112
	v_dual_fmac_f32 v41, v55, v30 :: v_dual_add_f32 v26, v26, v43
	v_add_f32_e32 v16, v16, v45
	v_dual_mul_f32 v43, v54, v33 :: v_dual_fma_f32 v45, v54, v32, -v46
	v_dual_add_f32 v38, v38, v41 :: v_dual_mul_f32 v41, v71, v31
	s_delay_alu instid0(VALU_DEP_2) | instskip(NEXT) | instid1(VALU_DEP_3)
	v_dual_mul_f32 v31, v70, v31 :: v_dual_fmac_f32 v43, v55, v32
	v_add_f32_e32 v39, v39, v45
	s_delay_alu instid0(VALU_DEP_3) | instskip(NEXT) | instid1(VALU_DEP_3)
	v_dual_mul_f32 v45, v71, v33 :: v_dual_fma_f32 v41, v70, v30, -v41
	v_dual_fmac_f32 v31, v71, v30 :: v_dual_mul_f32 v46, v70, v33
	s_delay_alu instid0(VALU_DEP_4) | instskip(NEXT) | instid1(VALU_DEP_3)
	v_add_f32_e32 v42, v42, v43
	v_dual_fma_f32 v30, v70, v32, -v45 :: v_dual_add_f32 v43, v44, v41
	s_delay_alu instid0(VALU_DEP_3) | instskip(SKIP_1) | instid1(VALU_DEP_2)
	v_dual_add_f32 v44, v40, v31 :: v_dual_fmac_f32 v46, v71, v32
	s_wait_dscnt 0x0
	v_dual_mul_f32 v40, v57, v35 :: v_dual_add_f32 v28, v28, v30
	ds_load_2addr_b64 v[30:33], v27 offset0:128 offset1:144
	v_dual_mul_f32 v41, v56, v35 :: v_dual_mul_f32 v45, v57, v37
	v_fma_f32 v40, v56, v34, -v40
	v_dual_add_f32 v26, v26, v46 :: v_dual_mul_f32 v46, v56, v37
	s_delay_alu instid0(VALU_DEP_3) | instskip(NEXT) | instid1(VALU_DEP_4)
	v_fmac_f32_e32 v41, v57, v34
	v_fma_f32 v45, v56, v36, -v45
	s_delay_alu instid0(VALU_DEP_4) | instskip(NEXT) | instid1(VALU_DEP_3)
	v_dual_add_f32 v16, v16, v40 :: v_dual_mul_f32 v40, v73, v35
	v_dual_fmac_f32 v46, v57, v36 :: v_dual_add_f32 v47, v38, v41
	s_delay_alu instid0(VALU_DEP_3) | instskip(NEXT) | instid1(VALU_DEP_3)
	v_dual_add_f32 v48, v39, v45 :: v_dual_mul_f32 v35, v72, v35
	v_dual_fma_f32 v45, v72, v34, -v40 :: v_dual_mul_f32 v49, v73, v37
	s_delay_alu instid0(VALU_DEP_3)
	v_add_f32_e32 v46, v42, v46
	ds_load_b128 v[38:41], v29 offset:1056
	v_dual_fmac_f32 v35, v73, v34 :: v_dual_mul_f32 v42, v72, v37
	v_dual_fma_f32 v34, v72, v36, -v49 :: v_dual_add_f32 v49, v43, v45
	s_wait_dscnt 0x1
	v_dual_mul_f32 v37, v59, v31 :: v_dual_mul_f32 v51, v58, v31
	s_delay_alu instid0(VALU_DEP_3) | instskip(NEXT) | instid1(VALU_DEP_3)
	v_dual_fmac_f32 v42, v73, v36 :: v_dual_add_f32 v50, v44, v35
	v_add_f32_e32 v28, v28, v34
	s_delay_alu instid0(VALU_DEP_3) | instskip(NEXT) | instid1(VALU_DEP_3)
	v_dual_fma_f32 v43, v58, v30, -v37 :: v_dual_mul_f32 v44, v59, v33
	v_add_f32_e32 v26, v26, v42
	ds_load_2addr_b64 v[34:37], v27 offset0:160 offset1:176
	v_dual_fmac_f32 v51, v59, v30 :: v_dual_add_f32 v16, v16, v43
	v_dual_fma_f32 v52, v58, v32, -v44 :: v_dual_mul_f32 v53, v58, v33
	ds_load_b128 v[42:45], v29 offset:1072
	v_add_f32_e32 v47, v47, v51
	s_wait_dscnt 0x2
	v_dual_mul_f32 v54, v39, v31 :: v_dual_mul_f32 v31, v38, v31
	v_fmac_f32_e32 v53, v59, v32
	v_dual_add_f32 v48, v48, v52 :: v_dual_mul_f32 v52, v39, v33
	s_delay_alu instid0(VALU_DEP_3) | instskip(NEXT) | instid1(VALU_DEP_3)
	v_dual_fma_f32 v51, v38, v30, -v54 :: v_dual_fmac_f32 v31, v39, v30
	v_add_f32_e32 v46, v46, v53
	s_delay_alu instid0(VALU_DEP_3) | instskip(NEXT) | instid1(VALU_DEP_3)
	v_dual_mul_f32 v53, v38, v33 :: v_dual_fma_f32 v30, v38, v32, -v52
	v_add_f32_e32 v49, v49, v51
	s_delay_alu instid0(VALU_DEP_2)
	v_dual_add_f32 v38, v50, v31 :: v_dual_fmac_f32 v53, v39, v32
	s_wait_dscnt 0x1
	v_dual_mul_f32 v50, v61, v35 :: v_dual_mul_f32 v39, v60, v35
	v_dual_add_f32 v28, v28, v30 :: v_dual_mul_f32 v51, v61, v37
	ds_load_2addr_b64 v[30:33], v27 offset0:192 offset1:208
	v_dual_fma_f32 v50, v60, v34, -v50 :: v_dual_fmac_f32 v39, v61, v34
	v_add_f32_e32 v26, v26, v53
	v_mul_f32_e32 v52, v60, v37
	s_delay_alu instid0(VALU_DEP_3) | instskip(NEXT) | instid1(VALU_DEP_4)
	v_add_f32_e32 v16, v16, v50
	v_dual_fma_f32 v50, v60, v36, -v51 :: v_dual_add_f32 v39, v47, v39
	s_delay_alu instid0(VALU_DEP_3) | instskip(SKIP_1) | instid1(VALU_DEP_3)
	v_fmac_f32_e32 v52, v61, v36
	v_dual_mul_f32 v47, v41, v35 :: v_dual_mul_f32 v35, v40, v35
	v_dual_add_f32 v50, v48, v50 :: v_dual_mul_f32 v48, v41, v37
	s_delay_alu instid0(VALU_DEP_2) | instskip(NEXT) | instid1(VALU_DEP_3)
	v_dual_add_f32 v51, v46, v52 :: v_dual_fma_f32 v47, v40, v34, -v47
	v_dual_fmac_f32 v35, v41, v34 :: v_dual_mul_f32 v34, v40, v37
	s_delay_alu instid0(VALU_DEP_2) | instskip(SKIP_1) | instid1(VALU_DEP_2)
	v_dual_fma_f32 v37, v40, v36, -v48 :: v_dual_add_f32 v40, v49, v47
	s_wait_dscnt 0x0
	v_dual_mul_f32 v46, v63, v31 :: v_dual_fmac_f32 v34, v41, v36
	s_delay_alu instid0(VALU_DEP_2) | instskip(NEXT) | instid1(VALU_DEP_2)
	v_dual_add_f32 v35, v38, v35 :: v_dual_add_f32 v28, v28, v37
	v_dual_mul_f32 v36, v62, v31 :: v_dual_fma_f32 v37, v62, v30, -v46
	ds_load_2addr_b64 v[46:49], v27 offset0:224 offset1:240
	v_dual_add_f32 v26, v26, v34 :: v_dual_mul_f32 v34, v63, v33
	v_dual_fmac_f32 v36, v63, v30 :: v_dual_add_f32 v16, v16, v37
	v_dual_mul_f32 v37, v62, v33 :: v_dual_mul_f32 v38, v43, v31
	s_delay_alu instid0(VALU_DEP_3) | instskip(NEXT) | instid1(VALU_DEP_3)
	v_fma_f32 v34, v62, v32, -v34
	v_dual_mul_f32 v31, v42, v31 :: v_dual_add_f32 v36, v39, v36
	s_delay_alu instid0(VALU_DEP_3) | instskip(NEXT) | instid1(VALU_DEP_3)
	v_dual_fmac_f32 v37, v63, v32 :: v_dual_fma_f32 v38, v42, v30, -v38
	v_add_f32_e32 v34, v50, v34
	s_delay_alu instid0(VALU_DEP_3) | instskip(SKIP_1) | instid1(VALU_DEP_4)
	v_dual_fmac_f32 v31, v43, v30 :: v_dual_mul_f32 v30, v43, v33
	v_mul_f32_e32 v33, v42, v33
	v_dual_add_f32 v37, v51, v37 :: v_dual_add_f32 v39, v40, v38
	s_delay_alu instid0(VALU_DEP_3) | instskip(SKIP_3) | instid1(VALU_DEP_3)
	v_dual_add_f32 v31, v35, v31 :: v_dual_fma_f32 v30, v42, v32, -v30
	s_wait_dscnt 0x0
	v_dual_mul_f32 v35, v65, v47 :: v_dual_mul_f32 v40, v64, v47
	v_dual_fmac_f32 v33, v43, v32 :: v_dual_mul_f32 v32, v65, v49
	v_add_f32_e32 v28, v28, v30
	s_delay_alu instid0(VALU_DEP_3) | instskip(NEXT) | instid1(VALU_DEP_3)
	v_dual_fma_f32 v30, v64, v46, -v35 :: v_dual_fmac_f32 v40, v65, v46
	v_dual_mul_f32 v35, v64, v49 :: v_dual_fma_f32 v32, v64, v48, -v32
	s_delay_alu instid0(VALU_DEP_2) | instskip(NEXT) | instid1(VALU_DEP_3)
	v_dual_add_f32 v26, v26, v33 :: v_dual_add_f32 v38, v16, v30
	v_dual_add_f32 v40, v36, v40 :: v_dual_mul_f32 v16, v45, v47
	s_delay_alu instid0(VALU_DEP_3) | instskip(NEXT) | instid1(VALU_DEP_4)
	v_fmac_f32_e32 v35, v65, v48
	v_dual_add_f32 v34, v34, v32 :: v_dual_mul_f32 v30, v45, v49
	v_dual_mul_f32 v32, v44, v47 :: v_dual_mul_f32 v33, v44, v49
	s_delay_alu instid0(VALU_DEP_3) | instskip(NEXT) | instid1(VALU_DEP_2)
	v_dual_add_f32 v36, v37, v35 :: v_dual_fma_f32 v16, v44, v46, -v16
	v_dual_fma_f32 v35, v44, v48, -v30 :: v_dual_fmac_f32 v32, v45, v46
	s_delay_alu instid0(VALU_DEP_3) | instskip(NEXT) | instid1(VALU_DEP_2)
	v_fmac_f32_e32 v33, v45, v48
	v_dual_add_f32 v30, v39, v16 :: v_dual_add_f32 v28, v28, v35
	s_delay_alu instid0(VALU_DEP_2)
	v_dual_add_f32 v32, v31, v32 :: v_dual_add_f32 v26, v26, v33
	s_barrier_signal -1
	s_barrier_wait -1
	s_cbranch_vccz .LBB529_18
.LBB529_9:                              ;   Parent Loop BB529_6 Depth=1
                                        ; =>  This Inner Loop Header: Depth=2
	s_mov_b32 s30, 0
	s_mov_b32 s41, s34
	s_and_saveexec_b32 s31, s0
; %bb.10:                               ;   in Loop: Header=BB529_9 Depth=2
	v_add_nc_u32_e32 v16, s26, v2
	s_and_not1_b32 s41, s34, exec_lo
	s_mov_b32 s30, exec_lo
	s_delay_alu instid0(VALU_DEP_1) | instskip(SKIP_2) | instid1(SALU_CYCLE_1)
	v_cmp_le_u64_e32 vcc_lo, s[16:17], v[16:17]
	v_mov_b64_e32 v[18:19], v[16:17]
	s_and_b32 s42, vcc_lo, exec_lo
	s_or_b32 s41, s41, s42
; %bb.11:                               ;   in Loop: Header=BB529_9 Depth=2
	s_or_b32 exec_lo, exec_lo, s31
	s_and_saveexec_b32 s31, s41
	s_delay_alu instid0(SALU_CYCLE_1)
	s_xor_b32 s31, exec_lo, s31
; %bb.12:                               ;   in Loop: Header=BB529_9 Depth=2
	s_and_not1_b32 s30, s30, exec_lo
	ds_store_b32 v1, v17
; %bb.13:                               ;   in Loop: Header=BB529_9 Depth=2
	s_or_b32 exec_lo, exec_lo, s31
	v_dual_mov_b32 v42, 0 :: v_dual_mov_b32 v31, 0
	s_and_saveexec_b32 s31, s30
	s_cbranch_execz .LBB529_15
; %bb.14:                               ;   in Loop: Header=BB529_9 Depth=2
	v_lshl_add_u64 v[44:45], v[18:19], 3, v[22:23]
	flat_load_b64 v[44:45], v[44:45]
	s_wait_loadcnt_dscnt 0x0
	v_xor_b32_e32 v31, 0x80000000, v45
	ds_store_b32 v1, v44
.LBB529_15:                             ;   in Loop: Header=BB529_9 Depth=2
	s_wait_xcnt 0x0
	s_or_b32 exec_lo, exec_lo, s31
	v_dual_mov_b32 v43, 0 :: v_dual_add_nc_u32 v16, s26, v0
	ds_store_b32 v1, v31 offset:4
	v_cmp_gt_u64_e32 vcc_lo, s[16:17], v[16:17]
	s_and_b32 s31, vcc_lo, s1
	s_delay_alu instid0(SALU_CYCLE_1)
	s_and_saveexec_b32 s30, s31
	s_cbranch_execz .LBB529_8
; %bb.16:                               ;   in Loop: Header=BB529_9 Depth=2
	v_mul_u64_e32 v[42:43], s[20:21], v[16:17]
	s_delay_alu instid0(VALU_DEP_1)
	v_lshl_add_u64 v[42:43], v[42:43], 3, v[24:25]
	flat_load_b64 v[42:43], v[42:43]
	s_branch .LBB529_8
.LBB529_17:                             ;   in Loop: Header=BB529_6 Depth=1
	v_dual_mov_b32 v38, v17 :: v_dual_mov_b32 v40, v17
	v_dual_mov_b32 v34, v17 :: v_dual_mov_b32 v36, v17
	;; [unrolled: 1-line block ×4, first 2 shown]
.LBB529_18:                             ;   in Loop: Header=BB529_6 Depth=1
	s_wait_loadcnt 0x0
	v_add_nc_u64_e32 v[20:21], s[22:23], v[20:21]
	s_delay_alu instid0(VALU_DEP_1)
	v_lshl_add_u64 v[22:23], v[10:11], 3, v[20:21]
	s_wait_xcnt 0x0
	s_and_saveexec_b32 s26, s36
	s_cbranch_execz .LBB529_23
; %bb.19:                               ;   in Loop: Header=BB529_6 Depth=1
	v_mov_b64_e32 v[24:25], s[4:5]
	v_mov_b64_e32 v[42:43], s[18:19]
	s_and_b32 vcc_lo, exec_lo, s35
	s_mov_b32 s27, -1
	s_delay_alu instid0(VALU_DEP_2) | instskip(NEXT) | instid1(VALU_DEP_1)
	v_pk_mul_f32 v[24:25], v[40:41], v[24:25] op_sel_hi:[0,1]
	v_pk_fma_f32 v[40:41], v[38:39], v[42:43], v[24:25] op_sel_hi:[0,1,1]
	v_pk_fma_f32 v[24:25], v[38:39], v[42:43], v[24:25] neg_lo:[0,0,1] neg_hi:[0,0,1]
	v_lshl_add_u64 v[38:39], v[8:9], 3, v[22:23]
	s_delay_alu instid0(VALU_DEP_3)
	v_mov_b32_e32 v25, v41
	s_cbranch_vccz .LBB529_21
; %bb.20:                               ;   in Loop: Header=BB529_6 Depth=1
	flat_load_b64 v[40:41], v[38:39]
	v_mov_b64_e32 v[42:43], s[6:7]
	v_mov_b64_e32 v[44:45], s[2:3]
	s_mov_b32 s27, 0
	s_wait_loadcnt_dscnt 0x0
	s_delay_alu instid0(VALU_DEP_2) | instskip(NEXT) | instid1(VALU_DEP_1)
	v_pk_mul_f32 v[42:43], v[40:41], v[42:43]
	v_pk_fma_f32 v[46:47], v[40:41], v[44:45], v[42:43] op_sel:[0,0,1] op_sel_hi:[1,1,0]
	v_pk_fma_f32 v[40:41], v[40:41], v[44:45], v[42:43] op_sel:[0,0,1] op_sel_hi:[1,1,0] neg_lo:[0,0,1] neg_hi:[0,0,1]
	s_delay_alu instid0(VALU_DEP_2) | instskip(NEXT) | instid1(VALU_DEP_1)
	v_mov_b32_e32 v41, v47
	v_pk_add_f32 v[40:41], v[24:25], v[40:41]
	flat_store_b64 v[38:39], v[40:41]
.LBB529_21:                             ;   in Loop: Header=BB529_6 Depth=1
	s_and_not1_b32 vcc_lo, exec_lo, s27
	s_cbranch_vccnz .LBB529_23
; %bb.22:                               ;   in Loop: Header=BB529_6 Depth=1
	flat_store_b64 v[38:39], v[24:25]
.LBB529_23:                             ;   in Loop: Header=BB529_6 Depth=1
	s_wait_xcnt 0x0
	s_or_b32 exec_lo, exec_lo, s26
	s_and_saveexec_b32 s26, s37
	s_cbranch_execz .LBB529_28
; %bb.24:                               ;   in Loop: Header=BB529_6 Depth=1
	v_mov_b64_e32 v[24:25], s[4:5]
	v_mov_b64_e32 v[38:39], s[18:19]
	v_lshl_add_u64 v[22:23], v[14:15], 3, v[22:23]
	s_and_not1_b32 vcc_lo, exec_lo, s35
	s_mov_b32 s27, -1
	s_delay_alu instid0(VALU_DEP_3) | instskip(NEXT) | instid1(VALU_DEP_1)
	v_pk_mul_f32 v[24:25], v[36:37], v[24:25] op_sel_hi:[0,1]
	v_pk_fma_f32 v[36:37], v[34:35], v[38:39], v[24:25] op_sel_hi:[0,1,1]
	v_pk_fma_f32 v[24:25], v[34:35], v[38:39], v[24:25] neg_lo:[0,0,1] neg_hi:[0,0,1]
	s_delay_alu instid0(VALU_DEP_2)
	v_mov_b32_e32 v25, v37
	s_cbranch_vccnz .LBB529_26
; %bb.25:                               ;   in Loop: Header=BB529_6 Depth=1
	flat_load_b64 v[34:35], v[22:23]
	v_mov_b64_e32 v[36:37], s[6:7]
	v_mov_b64_e32 v[38:39], s[2:3]
	s_mov_b32 s27, 0
	s_wait_loadcnt_dscnt 0x0
	s_delay_alu instid0(VALU_DEP_2) | instskip(NEXT) | instid1(VALU_DEP_1)
	v_pk_mul_f32 v[36:37], v[34:35], v[36:37]
	v_pk_fma_f32 v[40:41], v[34:35], v[38:39], v[36:37] op_sel:[0,0,1] op_sel_hi:[1,1,0]
	v_pk_fma_f32 v[34:35], v[34:35], v[38:39], v[36:37] op_sel:[0,0,1] op_sel_hi:[1,1,0] neg_lo:[0,0,1] neg_hi:[0,0,1]
	s_delay_alu instid0(VALU_DEP_2) | instskip(NEXT) | instid1(VALU_DEP_1)
	v_mov_b32_e32 v35, v41
	v_pk_add_f32 v[34:35], v[24:25], v[34:35]
	flat_store_b64 v[22:23], v[34:35]
.LBB529_26:                             ;   in Loop: Header=BB529_6 Depth=1
	s_and_not1_b32 vcc_lo, exec_lo, s27
	s_cbranch_vccnz .LBB529_28
; %bb.27:                               ;   in Loop: Header=BB529_6 Depth=1
	flat_store_b64 v[22:23], v[24:25]
.LBB529_28:                             ;   in Loop: Header=BB529_6 Depth=1
	s_wait_xcnt 0x0
	s_or_b32 exec_lo, exec_lo, s26
	v_lshl_add_u64 v[20:21], v[12:13], 3, v[20:21]
	s_and_saveexec_b32 s26, s38
	s_cbranch_execz .LBB529_33
; %bb.29:                               ;   in Loop: Header=BB529_6 Depth=1
	v_mov_b64_e32 v[22:23], s[4:5]
	v_mov_b64_e32 v[24:25], s[18:19]
	s_and_not1_b32 vcc_lo, exec_lo, s35
	s_mov_b32 s27, -1
	s_delay_alu instid0(VALU_DEP_2) | instskip(NEXT) | instid1(VALU_DEP_1)
	v_pk_mul_f32 v[22:23], v[32:33], v[22:23] op_sel_hi:[0,1]
	v_pk_fma_f32 v[32:33], v[30:31], v[24:25], v[22:23] op_sel_hi:[0,1,1]
	v_pk_fma_f32 v[22:23], v[30:31], v[24:25], v[22:23] neg_lo:[0,0,1] neg_hi:[0,0,1]
	v_lshl_add_u64 v[24:25], v[8:9], 3, v[20:21]
	s_delay_alu instid0(VALU_DEP_3)
	v_mov_b32_e32 v23, v33
	s_cbranch_vccnz .LBB529_31
; %bb.30:                               ;   in Loop: Header=BB529_6 Depth=1
	flat_load_b64 v[30:31], v[24:25]
	v_mov_b64_e32 v[32:33], s[6:7]
	v_mov_b64_e32 v[34:35], s[2:3]
	s_mov_b32 s27, 0
	s_wait_loadcnt_dscnt 0x0
	s_delay_alu instid0(VALU_DEP_2) | instskip(NEXT) | instid1(VALU_DEP_1)
	v_pk_mul_f32 v[32:33], v[30:31], v[32:33]
	v_pk_fma_f32 v[36:37], v[30:31], v[34:35], v[32:33] op_sel:[0,0,1] op_sel_hi:[1,1,0]
	v_pk_fma_f32 v[30:31], v[30:31], v[34:35], v[32:33] op_sel:[0,0,1] op_sel_hi:[1,1,0] neg_lo:[0,0,1] neg_hi:[0,0,1]
	s_delay_alu instid0(VALU_DEP_2) | instskip(NEXT) | instid1(VALU_DEP_1)
	v_mov_b32_e32 v31, v37
	v_pk_add_f32 v[30:31], v[22:23], v[30:31]
	flat_store_b64 v[24:25], v[30:31]
.LBB529_31:                             ;   in Loop: Header=BB529_6 Depth=1
	s_and_not1_b32 vcc_lo, exec_lo, s27
	s_cbranch_vccnz .LBB529_33
; %bb.32:                               ;   in Loop: Header=BB529_6 Depth=1
	flat_store_b64 v[24:25], v[22:23]
.LBB529_33:                             ;   in Loop: Header=BB529_6 Depth=1
	s_wait_xcnt 0x0
	s_or_b32 exec_lo, exec_lo, s26
	s_and_saveexec_b32 s26, s39
	s_cbranch_execz .LBB529_5
; %bb.34:                               ;   in Loop: Header=BB529_6 Depth=1
	v_mov_b64_e32 v[22:23], s[4:5]
	v_mov_b64_e32 v[24:25], s[18:19]
	v_lshl_add_u64 v[20:21], v[14:15], 3, v[20:21]
	s_and_not1_b32 vcc_lo, exec_lo, s35
	s_mov_b32 s27, -1
	s_delay_alu instid0(VALU_DEP_3) | instskip(NEXT) | instid1(VALU_DEP_1)
	v_pk_mul_f32 v[22:23], v[26:27], v[22:23] op_sel_hi:[0,1]
	v_pk_fma_f32 v[30:31], v[28:29], v[24:25], v[22:23] op_sel_hi:[0,1,1]
	v_pk_fma_f32 v[22:23], v[28:29], v[24:25], v[22:23] neg_lo:[0,0,1] neg_hi:[0,0,1]
	s_delay_alu instid0(VALU_DEP_2)
	v_mov_b32_e32 v23, v31
	s_cbranch_vccnz .LBB529_36
; %bb.35:                               ;   in Loop: Header=BB529_6 Depth=1
	flat_load_b64 v[24:25], v[20:21]
	v_mov_b64_e32 v[30:31], s[6:7]
	v_mov_b64_e32 v[32:33], s[2:3]
	s_mov_b32 s27, 0
	s_wait_loadcnt_dscnt 0x0
	s_delay_alu instid0(VALU_DEP_2) | instskip(NEXT) | instid1(VALU_DEP_1)
	v_pk_mul_f32 v[30:31], v[24:25], v[30:31]
	v_pk_fma_f32 v[34:35], v[24:25], v[32:33], v[30:31] op_sel:[0,0,1] op_sel_hi:[1,1,0]
	v_pk_fma_f32 v[24:25], v[24:25], v[32:33], v[30:31] op_sel:[0,0,1] op_sel_hi:[1,1,0] neg_lo:[0,0,1] neg_hi:[0,0,1]
	s_delay_alu instid0(VALU_DEP_2) | instskip(NEXT) | instid1(VALU_DEP_1)
	v_mov_b32_e32 v25, v35
	v_pk_add_f32 v[24:25], v[22:23], v[24:25]
	flat_store_b64 v[20:21], v[24:25]
.LBB529_36:                             ;   in Loop: Header=BB529_6 Depth=1
	s_and_not1_b32 vcc_lo, exec_lo, s27
	s_cbranch_vccnz .LBB529_5
; %bb.37:                               ;   in Loop: Header=BB529_6 Depth=1
	flat_store_b64 v[20:21], v[22:23]
	s_branch .LBB529_5
.LBB529_38:
	s_sendmsg sendmsg(MSG_DEALLOC_VGPRS)
	s_endpgm
	.section	.rodata,"a",@progbits
	.p2align	6, 0x0
	.amdhsa_kernel _ZL29rocblas_internal_gemmt_kernelIlLi16ELi32ELi8ELc67ELc84ELc85ELb1ELb0E19rocblas_complex_numIfES1_PKPKS1_PKPS1_EviT_T9_T10_S9_lSB_S9_lSA_T11_S9_li
		.amdhsa_group_segment_fixed_size 4096
		.amdhsa_private_segment_fixed_size 0
		.amdhsa_kernarg_size 108
		.amdhsa_user_sgpr_count 2
		.amdhsa_user_sgpr_dispatch_ptr 0
		.amdhsa_user_sgpr_queue_ptr 0
		.amdhsa_user_sgpr_kernarg_segment_ptr 1
		.amdhsa_user_sgpr_dispatch_id 0
		.amdhsa_user_sgpr_kernarg_preload_length 0
		.amdhsa_user_sgpr_kernarg_preload_offset 0
		.amdhsa_user_sgpr_private_segment_size 0
		.amdhsa_wavefront_size32 1
		.amdhsa_uses_dynamic_stack 0
		.amdhsa_enable_private_segment 0
		.amdhsa_system_sgpr_workgroup_id_x 1
		.amdhsa_system_sgpr_workgroup_id_y 1
		.amdhsa_system_sgpr_workgroup_id_z 1
		.amdhsa_system_sgpr_workgroup_info 0
		.amdhsa_system_vgpr_workitem_id 1
		.amdhsa_next_free_vgpr 74
		.amdhsa_next_free_sgpr 43
		.amdhsa_named_barrier_count 0
		.amdhsa_reserve_vcc 1
		.amdhsa_float_round_mode_32 0
		.amdhsa_float_round_mode_16_64 0
		.amdhsa_float_denorm_mode_32 3
		.amdhsa_float_denorm_mode_16_64 3
		.amdhsa_fp16_overflow 0
		.amdhsa_memory_ordered 1
		.amdhsa_forward_progress 1
		.amdhsa_inst_pref_size 26
		.amdhsa_round_robin_scheduling 0
		.amdhsa_exception_fp_ieee_invalid_op 0
		.amdhsa_exception_fp_denorm_src 0
		.amdhsa_exception_fp_ieee_div_zero 0
		.amdhsa_exception_fp_ieee_overflow 0
		.amdhsa_exception_fp_ieee_underflow 0
		.amdhsa_exception_fp_ieee_inexact 0
		.amdhsa_exception_int_div_zero 0
	.end_amdhsa_kernel
	.section	.text._ZL29rocblas_internal_gemmt_kernelIlLi16ELi32ELi8ELc67ELc84ELc85ELb1ELb0E19rocblas_complex_numIfES1_PKPKS1_PKPS1_EviT_T9_T10_S9_lSB_S9_lSA_T11_S9_li,"axG",@progbits,_ZL29rocblas_internal_gemmt_kernelIlLi16ELi32ELi8ELc67ELc84ELc85ELb1ELb0E19rocblas_complex_numIfES1_PKPKS1_PKPS1_EviT_T9_T10_S9_lSB_S9_lSA_T11_S9_li,comdat
.Lfunc_end529:
	.size	_ZL29rocblas_internal_gemmt_kernelIlLi16ELi32ELi8ELc67ELc84ELc85ELb1ELb0E19rocblas_complex_numIfES1_PKPKS1_PKPS1_EviT_T9_T10_S9_lSB_S9_lSA_T11_S9_li, .Lfunc_end529-_ZL29rocblas_internal_gemmt_kernelIlLi16ELi32ELi8ELc67ELc84ELc85ELb1ELb0E19rocblas_complex_numIfES1_PKPKS1_PKPS1_EviT_T9_T10_S9_lSB_S9_lSA_T11_S9_li
                                        ; -- End function
	.set _ZL29rocblas_internal_gemmt_kernelIlLi16ELi32ELi8ELc67ELc84ELc85ELb1ELb0E19rocblas_complex_numIfES1_PKPKS1_PKPS1_EviT_T9_T10_S9_lSB_S9_lSA_T11_S9_li.num_vgpr, 74
	.set _ZL29rocblas_internal_gemmt_kernelIlLi16ELi32ELi8ELc67ELc84ELc85ELb1ELb0E19rocblas_complex_numIfES1_PKPKS1_PKPS1_EviT_T9_T10_S9_lSB_S9_lSA_T11_S9_li.num_agpr, 0
	.set _ZL29rocblas_internal_gemmt_kernelIlLi16ELi32ELi8ELc67ELc84ELc85ELb1ELb0E19rocblas_complex_numIfES1_PKPKS1_PKPS1_EviT_T9_T10_S9_lSB_S9_lSA_T11_S9_li.numbered_sgpr, 43
	.set _ZL29rocblas_internal_gemmt_kernelIlLi16ELi32ELi8ELc67ELc84ELc85ELb1ELb0E19rocblas_complex_numIfES1_PKPKS1_PKPS1_EviT_T9_T10_S9_lSB_S9_lSA_T11_S9_li.num_named_barrier, 0
	.set _ZL29rocblas_internal_gemmt_kernelIlLi16ELi32ELi8ELc67ELc84ELc85ELb1ELb0E19rocblas_complex_numIfES1_PKPKS1_PKPS1_EviT_T9_T10_S9_lSB_S9_lSA_T11_S9_li.private_seg_size, 0
	.set _ZL29rocblas_internal_gemmt_kernelIlLi16ELi32ELi8ELc67ELc84ELc85ELb1ELb0E19rocblas_complex_numIfES1_PKPKS1_PKPS1_EviT_T9_T10_S9_lSB_S9_lSA_T11_S9_li.uses_vcc, 1
	.set _ZL29rocblas_internal_gemmt_kernelIlLi16ELi32ELi8ELc67ELc84ELc85ELb1ELb0E19rocblas_complex_numIfES1_PKPKS1_PKPS1_EviT_T9_T10_S9_lSB_S9_lSA_T11_S9_li.uses_flat_scratch, 0
	.set _ZL29rocblas_internal_gemmt_kernelIlLi16ELi32ELi8ELc67ELc84ELc85ELb1ELb0E19rocblas_complex_numIfES1_PKPKS1_PKPS1_EviT_T9_T10_S9_lSB_S9_lSA_T11_S9_li.has_dyn_sized_stack, 0
	.set _ZL29rocblas_internal_gemmt_kernelIlLi16ELi32ELi8ELc67ELc84ELc85ELb1ELb0E19rocblas_complex_numIfES1_PKPKS1_PKPS1_EviT_T9_T10_S9_lSB_S9_lSA_T11_S9_li.has_recursion, 0
	.set _ZL29rocblas_internal_gemmt_kernelIlLi16ELi32ELi8ELc67ELc84ELc85ELb1ELb0E19rocblas_complex_numIfES1_PKPKS1_PKPS1_EviT_T9_T10_S9_lSB_S9_lSA_T11_S9_li.has_indirect_call, 0
	.section	.AMDGPU.csdata,"",@progbits
; Kernel info:
; codeLenInByte = 3296
; TotalNumSgprs: 45
; NumVgprs: 74
; ScratchSize: 0
; MemoryBound: 0
; FloatMode: 240
; IeeeMode: 1
; LDSByteSize: 4096 bytes/workgroup (compile time only)
; SGPRBlocks: 0
; VGPRBlocks: 4
; NumSGPRsForWavesPerEU: 45
; NumVGPRsForWavesPerEU: 74
; NamedBarCnt: 0
; Occupancy: 12
; WaveLimiterHint : 1
; COMPUTE_PGM_RSRC2:SCRATCH_EN: 0
; COMPUTE_PGM_RSRC2:USER_SGPR: 2
; COMPUTE_PGM_RSRC2:TRAP_HANDLER: 0
; COMPUTE_PGM_RSRC2:TGID_X_EN: 1
; COMPUTE_PGM_RSRC2:TGID_Y_EN: 1
; COMPUTE_PGM_RSRC2:TGID_Z_EN: 1
; COMPUTE_PGM_RSRC2:TIDIG_COMP_CNT: 1
	.section	.text._ZL29rocblas_internal_gemmt_kernelIlLi16ELi32ELi8ELc67ELc67ELc85ELb1ELb1E19rocblas_complex_numIfES1_PKPKS1_PKPS1_EviT_T9_T10_S9_lSB_S9_lSA_T11_S9_li,"axG",@progbits,_ZL29rocblas_internal_gemmt_kernelIlLi16ELi32ELi8ELc67ELc67ELc85ELb1ELb1E19rocblas_complex_numIfES1_PKPKS1_PKPS1_EviT_T9_T10_S9_lSB_S9_lSA_T11_S9_li,comdat
	.globl	_ZL29rocblas_internal_gemmt_kernelIlLi16ELi32ELi8ELc67ELc67ELc85ELb1ELb1E19rocblas_complex_numIfES1_PKPKS1_PKPS1_EviT_T9_T10_S9_lSB_S9_lSA_T11_S9_li ; -- Begin function _ZL29rocblas_internal_gemmt_kernelIlLi16ELi32ELi8ELc67ELc67ELc85ELb1ELb1E19rocblas_complex_numIfES1_PKPKS1_PKPS1_EviT_T9_T10_S9_lSB_S9_lSA_T11_S9_li
	.p2align	8
	.type	_ZL29rocblas_internal_gemmt_kernelIlLi16ELi32ELi8ELc67ELc67ELc85ELb1ELb1E19rocblas_complex_numIfES1_PKPKS1_PKPS1_EviT_T9_T10_S9_lSB_S9_lSA_T11_S9_li,@function
_ZL29rocblas_internal_gemmt_kernelIlLi16ELi32ELi8ELc67ELc67ELc85ELb1ELb1E19rocblas_complex_numIfES1_PKPKS1_PKPS1_EviT_T9_T10_S9_lSB_S9_lSA_T11_S9_li: ; @_ZL29rocblas_internal_gemmt_kernelIlLi16ELi32ELi8ELc67ELc67ELc85ELb1ELb1E19rocblas_complex_numIfES1_PKPKS1_PKPS1_EviT_T9_T10_S9_lSB_S9_lSA_T11_S9_li
; %bb.0:
	s_clause 0x1
	s_load_b64 s[6:7], s[0:1], 0x48
	s_load_b128 s[16:19], s[0:1], 0x8
	s_wait_kmcnt 0x0
	s_cmp_neq_f32 s6, 1.0
	s_cselect_b32 s2, -1, 0
	s_and_b32 s4, s7, 0x7fffffff
	s_delay_alu instid0(SALU_CYCLE_1) | instskip(SKIP_3) | instid1(SALU_CYCLE_1)
	s_cmp_eq_u32 s4, 0
	s_cselect_b32 s3, -1, 0
	s_cmp_lg_u32 s4, 0
	s_cselect_b32 s4, -1, 0
	s_or_b32 s2, s2, s4
	s_delay_alu instid0(SALU_CYCLE_1)
	s_and_b32 vcc_lo, exec_lo, s2
	s_cbranch_vccnz .LBB530_2
; %bb.1:
	s_cmp_lg_u64 s[16:17], 0
	s_cselect_b32 s2, -1, 0
	s_cmp_neq_f32 s18, 0
	s_cselect_b32 s4, -1, 0
	s_cmp_neq_f32 s19, 0
	s_cselect_b32 s5, -1, 0
	s_delay_alu instid0(SALU_CYCLE_1) | instskip(NEXT) | instid1(SALU_CYCLE_1)
	s_or_b32 s4, s4, s5
	s_and_b32 s2, s2, s4
.LBB530_2:
	s_delay_alu instid0(SALU_CYCLE_1)
	s_and_not1_b32 vcc_lo, exec_lo, s2
	s_cbranch_vccnz .LBB530_40
; %bb.3:
	s_load_b32 s33, s[0:1], 0x68
	s_bfe_u32 s2, ttmp6, 0x40014
	s_lshr_b32 s4, ttmp7, 16
	s_add_co_i32 s2, s2, 1
	s_bfe_u32 s8, ttmp6, 0x40008
	s_mul_i32 s5, s4, s2
	s_getreg_b32 s2, hwreg(HW_REG_IB_STS2, 6, 4)
	s_add_co_i32 s8, s8, s5
	s_cmp_eq_u32 s2, 0
	s_mov_b32 s29, 0
	s_cselect_b32 s28, s4, s8
	s_wait_kmcnt 0x0
	s_cmp_ge_u32 s28, s33
	s_cbranch_scc1 .LBB530_40
; %bb.4:
	v_and_b32_e32 v9, 0x3ff, v0
	v_bfe_u32 v15, v0, 10, 10
	s_bfe_u32 s8, ttmp6, 0x4000c
	s_bfe_u32 s9, ttmp6, 0x40010
	s_and_b32 s20, ttmp7, 0xffff
	s_add_co_i32 s8, s8, 1
	s_add_co_i32 s9, s9, 1
	s_and_b32 s5, ttmp6, 15
	v_lshl_add_u32 v1, v15, 4, v9
	s_mul_i32 s8, ttmp9, s8
	s_mul_i32 s9, s20, s9
	s_bfe_u32 s10, ttmp6, 0x40004
	s_add_co_i32 s5, s5, s8
	s_add_co_i32 s21, s10, s9
	s_cmp_eq_u32 s2, 0
	v_dual_lshrrev_b32 v2, 5, v1 :: v_dual_bitop2_b32 v0, 7, v0 bitop3:0x40
	s_clause 0x1
	s_load_b32 s4, s[0:1], 0x0
	s_load_b256 s[8:15], s[0:1], 0x18
	s_cselect_b32 s2, ttmp9, s5
	s_cselect_b32 s5, s20, s21
	v_dual_lshrrev_b32 v3, 3, v1 :: v_dual_bitop2_b32 v1, 31, v1 bitop3:0x40
	s_clause 0x1
	s_load_b128 s[20:23], s[0:1], 0x38
	s_load_b128 s[24:27], s[0:1], 0x50
	s_lshl_b32 s2, s2, 5
	s_lshl_b32 s5, s5, 5
	s_cmp_neq_f32 s18, 0
	v_dual_add_nc_u32 v4, s5, v3 :: v_dual_bitop2_b32 v6, s2, v1 bitop3:0x54
	v_add_nc_u32_e32 v16, s5, v15
	s_cselect_b32 s34, -1, 0
	s_cmp_neq_f32 s19, 0
	s_delay_alu instid0(VALU_DEP_2) | instskip(NEXT) | instid1(VALU_DEP_2)
	v_dual_ashrrev_i32 v7, 31, v6 :: v_dual_lshlrev_b32 v5, 3, v0
	v_dual_lshlrev_b32 v1, 3, v1 :: v_dual_add_nc_u32 v18, 16, v16
	v_ashrrev_i32_e32 v17, 31, v16
	s_load_b64 s[30:31], s[0:1], 0x60
	s_wait_xcnt 0x0
	s_cselect_b32 s0, -1, 0
	v_lshl_or_b32 v3, v3, 6, v5
	v_dual_ashrrev_i32 v19, 31, v18 :: v_dual_ashrrev_i32 v5, 31, v4
	s_or_b32 s39, s34, s0
	s_wait_kmcnt 0x0
	v_cmp_gt_i32_e64 s0, s4, v6
	v_cmp_le_i32_e64 s34, s4, v6
	v_mul_u64_e32 v[6:7], s[10:11], v[6:7]
	v_mul_u64_e32 v[10:11], s[26:27], v[16:17]
	;; [unrolled: 1-line block ×3, first 2 shown]
	v_dual_add_nc_u32 v8, s2, v9 :: v_dual_lshlrev_b32 v27, 3, v9
	s_cmp_neq_f32 s6, 0
	v_cmp_gt_i32_e64 s1, s4, v16
	v_cmp_gt_i64_e64 s40, s[16:17], 0
	s_delay_alu instid0(VALU_DEP_3)
	v_cmp_le_i32_e64 s2, v8, v16
	v_dual_add_nc_u32 v14, 16, v8 :: v_dual_ashrrev_i32 v9, 31, v8
	s_cselect_b32 s5, -1, 0
	s_xor_b32 s3, s3, -1
	v_cmp_gt_i32_e32 vcc_lo, s4, v4
	s_or_b32 s35, s5, s3
	s_and_b32 s36, s1, s2
	v_cmp_le_i32_e64 s2, v14, v16
	v_cmp_gt_i32_e64 s3, s4, v18
	v_cmp_le_i32_e64 s4, v8, v18
	v_cmp_le_i32_e64 s5, v14, v18
	v_lshl_or_b32 v1, v2, 8, v1
	v_add_nc_u32_e32 v3, 0x800, v3
	v_lshl_add_u32 v29, v15, 6, 0x800
	v_dual_ashrrev_i32 v15, 31, v14 :: v_dual_mov_b32 v17, 0
	s_and_b32 s1, s1, s2
	s_and_b32 s37, s3, s4
	;; [unrolled: 1-line block ×3, first 2 shown]
	s_mov_b32 s2, s6
	s_mov_b32 s3, s6
	;; [unrolled: 1-line block ×5, first 2 shown]
	s_and_b32 s39, s39, s40
	s_lshl_b64 s[10:11], s[22:23], 3
	s_lshl_b64 s[12:13], s[12:13], 3
	s_xor_b32 s40, vcc_lo, -1
	s_lshl_b64 s[22:23], s[30:31], 3
                                        ; implicit-def: $vgpr18_vgpr19
	s_branch .LBB530_6
.LBB530_5:                              ;   in Loop: Header=BB530_6 Depth=1
	s_wait_xcnt 0x0
	s_or_b32 exec_lo, exec_lo, s26
	s_add_co_i32 s28, s28, 0x10000
	s_delay_alu instid0(SALU_CYCLE_1)
	s_cmp_lt_u32 s28, s33
	s_cbranch_scc0 .LBB530_40
.LBB530_6:                              ; =>This Loop Header: Depth=1
                                        ;     Child Loop BB530_9 Depth 2
	v_mov_b32_e32 v16, s28
	s_and_not1_b32 vcc_lo, exec_lo, s39
	global_load_b64 v[20:21], v16, s[24:25] scale_offset
	s_cbranch_vccnz .LBB530_19
; %bb.7:                                ;   in Loop: Header=BB530_6 Depth=1
	s_lshl_b64 s[26:27], s[28:29], 3
	v_dual_mov_b32 v26, 0 :: v_dual_mov_b32 v28, 0
	s_add_nc_u64 s[30:31], s[8:9], s[26:27]
	s_add_nc_u64 s[26:27], s[14:15], s[26:27]
	s_clause 0x1
	global_load_b64 v[22:23], v17, s[30:31]
	global_load_b64 v[24:25], v17, s[26:27]
	v_dual_mov_b32 v32, 0 :: v_dual_mov_b32 v30, 0
	v_dual_mov_b32 v36, 0 :: v_dual_mov_b32 v34, 0
	;; [unrolled: 1-line block ×3, first 2 shown]
	s_wait_xcnt 0x0
	s_mov_b64 s[26:27], 0
	s_wait_loadcnt 0x1
	v_add_nc_u64_e32 v[22:23], s[12:13], v[22:23]
	s_wait_loadcnt 0x0
	v_add_nc_u64_e32 v[24:25], s[10:11], v[24:25]
	s_delay_alu instid0(VALU_DEP_2) | instskip(NEXT) | instid1(VALU_DEP_2)
	v_lshl_add_u64 v[22:23], v[6:7], 3, v[22:23]
	v_lshl_add_u64 v[24:25], v[4:5], 3, v[24:25]
	s_branch .LBB530_9
.LBB530_8:                              ;   in Loop: Header=BB530_9 Depth=2
	s_wait_xcnt 0x0
	s_or_b32 exec_lo, exec_lo, s30
	ds_store_b32 v3, v31 offset:4
	s_wait_dscnt 0x0
	s_barrier_signal -1
	s_barrier_wait -1
	ds_load_b128 v[42:45], v29
	ds_load_2addr_b64 v[46:49], v27 offset1:16
	ds_load_b128 v[50:53], v29 offset:1024
	ds_load_b128 v[54:57], v29 offset:16
	;; [unrolled: 1-line block ×4, first 2 shown]
	ds_load_2addr_b64 v[66:69], v27 offset0:32 offset1:48
	ds_load_b128 v[70:73], v29 offset:1040
	s_add_nc_u64 s[26:27], s[26:27], 8
	s_delay_alu instid0(SALU_CYCLE_1)
	v_cmp_gt_i64_e64 s30, s[16:17], s[26:27]
	s_and_b32 vcc_lo, exec_lo, s30
	s_wait_dscnt 0x6
	v_dual_mul_f32 v16, v43, v47 :: v_dual_mul_f32 v31, v42, v47
	v_dual_mul_f32 v33, v43, v49 :: v_dual_mul_f32 v35, v42, v49
	s_wait_dscnt 0x5
	v_dual_mul_f32 v37, v51, v47 :: v_dual_mul_f32 v39, v50, v47
	v_dual_mul_f32 v41, v51, v49 :: v_dual_mul_f32 v47, v50, v49
	v_dual_fma_f32 v16, v42, v46, -v16 :: v_dual_fmac_f32 v31, v43, v46
	v_dual_fma_f32 v33, v42, v48, -v33 :: v_dual_fmac_f32 v35, v43, v48
	s_delay_alu instid0(VALU_DEP_4) | instskip(NEXT) | instid1(VALU_DEP_3)
	v_dual_fma_f32 v37, v50, v46, -v37 :: v_dual_fmac_f32 v39, v51, v46
	v_dual_add_f32 v16, v38, v16 :: v_dual_add_f32 v38, v40, v31
	v_fma_f32 v31, v50, v48, -v41
	s_delay_alu instid0(VALU_DEP_4) | instskip(NEXT) | instid1(VALU_DEP_4)
	v_dual_add_f32 v34, v34, v33 :: v_dual_add_f32 v35, v36, v35
	v_dual_add_f32 v36, v30, v37 :: v_dual_add_f32 v37, v32, v39
	s_wait_dscnt 0x1
	v_dual_mul_f32 v39, v45, v67 :: v_dual_fmac_f32 v47, v51, v48
	v_add_f32_e32 v28, v28, v31
	ds_load_2addr_b64 v[30:33], v27 offset0:64 offset1:80
	v_dual_mul_f32 v40, v44, v67 :: v_dual_fma_f32 v39, v44, v66, -v39
	v_dual_mul_f32 v41, v45, v69 :: v_dual_add_f32 v26, v26, v47
	s_delay_alu instid0(VALU_DEP_2) | instskip(NEXT) | instid1(VALU_DEP_3)
	v_dual_mul_f32 v42, v44, v69 :: v_dual_fmac_f32 v40, v45, v66
	v_add_f32_e32 v16, v16, v39
	s_delay_alu instid0(VALU_DEP_3) | instskip(NEXT) | instid1(VALU_DEP_3)
	v_dual_fma_f32 v39, v44, v68, -v41 :: v_dual_mul_f32 v41, v53, v67
	v_fmac_f32_e32 v42, v45, v68
	s_delay_alu instid0(VALU_DEP_4) | instskip(NEXT) | instid1(VALU_DEP_3)
	v_dual_add_f32 v38, v38, v40 :: v_dual_mul_f32 v40, v52, v67
	v_dual_add_f32 v39, v34, v39 :: v_dual_fma_f32 v34, v52, v66, -v41
	s_delay_alu instid0(VALU_DEP_3) | instskip(NEXT) | instid1(VALU_DEP_3)
	v_dual_mul_f32 v41, v53, v69 :: v_dual_add_f32 v42, v35, v42
	v_dual_fmac_f32 v40, v53, v66 :: v_dual_mul_f32 v43, v52, v69
	s_wait_dscnt 0x0
	s_delay_alu instid0(VALU_DEP_3) | instskip(NEXT) | instid1(VALU_DEP_3)
	v_dual_add_f32 v44, v36, v34 :: v_dual_mul_f32 v35, v55, v31
	v_fma_f32 v34, v52, v68, -v41
	s_delay_alu instid0(VALU_DEP_3) | instskip(SKIP_1) | instid1(VALU_DEP_4)
	v_dual_add_f32 v40, v37, v40 :: v_dual_mul_f32 v41, v54, v31
	v_fmac_f32_e32 v43, v53, v68
	v_fma_f32 v45, v54, v30, -v35
	s_delay_alu instid0(VALU_DEP_4) | instskip(SKIP_4) | instid1(VALU_DEP_3)
	v_dual_add_f32 v28, v28, v34 :: v_dual_mul_f32 v46, v55, v33
	ds_load_2addr_b64 v[34:37], v27 offset0:96 offset1:112
	v_dual_fmac_f32 v41, v55, v30 :: v_dual_add_f32 v26, v26, v43
	v_add_f32_e32 v16, v16, v45
	v_dual_mul_f32 v43, v54, v33 :: v_dual_fma_f32 v45, v54, v32, -v46
	v_dual_add_f32 v38, v38, v41 :: v_dual_mul_f32 v41, v71, v31
	s_delay_alu instid0(VALU_DEP_2) | instskip(NEXT) | instid1(VALU_DEP_3)
	v_dual_mul_f32 v31, v70, v31 :: v_dual_fmac_f32 v43, v55, v32
	v_add_f32_e32 v39, v39, v45
	s_delay_alu instid0(VALU_DEP_3) | instskip(NEXT) | instid1(VALU_DEP_3)
	v_dual_mul_f32 v45, v71, v33 :: v_dual_fma_f32 v41, v70, v30, -v41
	v_dual_fmac_f32 v31, v71, v30 :: v_dual_mul_f32 v46, v70, v33
	s_delay_alu instid0(VALU_DEP_4) | instskip(NEXT) | instid1(VALU_DEP_3)
	v_add_f32_e32 v42, v42, v43
	v_dual_fma_f32 v30, v70, v32, -v45 :: v_dual_add_f32 v43, v44, v41
	s_delay_alu instid0(VALU_DEP_3) | instskip(SKIP_1) | instid1(VALU_DEP_2)
	v_dual_add_f32 v44, v40, v31 :: v_dual_fmac_f32 v46, v71, v32
	s_wait_dscnt 0x0
	v_dual_mul_f32 v40, v57, v35 :: v_dual_add_f32 v28, v28, v30
	ds_load_2addr_b64 v[30:33], v27 offset0:128 offset1:144
	v_dual_mul_f32 v41, v56, v35 :: v_dual_mul_f32 v45, v57, v37
	v_fma_f32 v40, v56, v34, -v40
	v_dual_add_f32 v26, v26, v46 :: v_dual_mul_f32 v46, v56, v37
	s_delay_alu instid0(VALU_DEP_3) | instskip(NEXT) | instid1(VALU_DEP_4)
	v_fmac_f32_e32 v41, v57, v34
	v_fma_f32 v45, v56, v36, -v45
	s_delay_alu instid0(VALU_DEP_4) | instskip(NEXT) | instid1(VALU_DEP_3)
	v_dual_add_f32 v16, v16, v40 :: v_dual_mul_f32 v40, v73, v35
	v_dual_fmac_f32 v46, v57, v36 :: v_dual_add_f32 v47, v38, v41
	s_delay_alu instid0(VALU_DEP_3) | instskip(NEXT) | instid1(VALU_DEP_3)
	v_dual_add_f32 v48, v39, v45 :: v_dual_mul_f32 v35, v72, v35
	v_dual_fma_f32 v45, v72, v34, -v40 :: v_dual_mul_f32 v49, v73, v37
	s_delay_alu instid0(VALU_DEP_3)
	v_add_f32_e32 v46, v42, v46
	ds_load_b128 v[38:41], v29 offset:1056
	v_dual_fmac_f32 v35, v73, v34 :: v_dual_mul_f32 v42, v72, v37
	v_dual_fma_f32 v34, v72, v36, -v49 :: v_dual_add_f32 v49, v43, v45
	s_wait_dscnt 0x1
	v_dual_mul_f32 v37, v59, v31 :: v_dual_mul_f32 v51, v58, v31
	s_delay_alu instid0(VALU_DEP_3) | instskip(NEXT) | instid1(VALU_DEP_3)
	v_dual_fmac_f32 v42, v73, v36 :: v_dual_add_f32 v50, v44, v35
	v_add_f32_e32 v28, v28, v34
	s_delay_alu instid0(VALU_DEP_3) | instskip(NEXT) | instid1(VALU_DEP_3)
	v_dual_fma_f32 v43, v58, v30, -v37 :: v_dual_mul_f32 v44, v59, v33
	v_add_f32_e32 v26, v26, v42
	ds_load_2addr_b64 v[34:37], v27 offset0:160 offset1:176
	v_dual_fmac_f32 v51, v59, v30 :: v_dual_add_f32 v16, v16, v43
	v_dual_fma_f32 v52, v58, v32, -v44 :: v_dual_mul_f32 v53, v58, v33
	ds_load_b128 v[42:45], v29 offset:1072
	v_add_f32_e32 v47, v47, v51
	s_wait_dscnt 0x2
	v_dual_mul_f32 v54, v39, v31 :: v_dual_mul_f32 v31, v38, v31
	v_fmac_f32_e32 v53, v59, v32
	v_dual_add_f32 v48, v48, v52 :: v_dual_mul_f32 v52, v39, v33
	s_delay_alu instid0(VALU_DEP_3) | instskip(NEXT) | instid1(VALU_DEP_3)
	v_dual_fma_f32 v51, v38, v30, -v54 :: v_dual_fmac_f32 v31, v39, v30
	v_add_f32_e32 v46, v46, v53
	s_delay_alu instid0(VALU_DEP_3) | instskip(NEXT) | instid1(VALU_DEP_3)
	v_dual_mul_f32 v53, v38, v33 :: v_dual_fma_f32 v30, v38, v32, -v52
	v_add_f32_e32 v49, v49, v51
	s_delay_alu instid0(VALU_DEP_2)
	v_dual_add_f32 v38, v50, v31 :: v_dual_fmac_f32 v53, v39, v32
	s_wait_dscnt 0x1
	v_dual_mul_f32 v50, v61, v35 :: v_dual_mul_f32 v39, v60, v35
	v_dual_add_f32 v28, v28, v30 :: v_dual_mul_f32 v51, v61, v37
	ds_load_2addr_b64 v[30:33], v27 offset0:192 offset1:208
	v_dual_fma_f32 v50, v60, v34, -v50 :: v_dual_fmac_f32 v39, v61, v34
	v_add_f32_e32 v26, v26, v53
	v_mul_f32_e32 v52, v60, v37
	s_delay_alu instid0(VALU_DEP_3) | instskip(NEXT) | instid1(VALU_DEP_4)
	v_add_f32_e32 v16, v16, v50
	v_dual_fma_f32 v50, v60, v36, -v51 :: v_dual_add_f32 v39, v47, v39
	s_delay_alu instid0(VALU_DEP_3) | instskip(SKIP_1) | instid1(VALU_DEP_3)
	v_fmac_f32_e32 v52, v61, v36
	v_dual_mul_f32 v47, v41, v35 :: v_dual_mul_f32 v35, v40, v35
	v_dual_add_f32 v50, v48, v50 :: v_dual_mul_f32 v48, v41, v37
	s_delay_alu instid0(VALU_DEP_2) | instskip(NEXT) | instid1(VALU_DEP_3)
	v_dual_add_f32 v51, v46, v52 :: v_dual_fma_f32 v47, v40, v34, -v47
	v_dual_fmac_f32 v35, v41, v34 :: v_dual_mul_f32 v34, v40, v37
	s_delay_alu instid0(VALU_DEP_2) | instskip(SKIP_1) | instid1(VALU_DEP_2)
	v_dual_fma_f32 v37, v40, v36, -v48 :: v_dual_add_f32 v40, v49, v47
	s_wait_dscnt 0x0
	v_dual_mul_f32 v46, v63, v31 :: v_dual_fmac_f32 v34, v41, v36
	s_delay_alu instid0(VALU_DEP_2) | instskip(NEXT) | instid1(VALU_DEP_2)
	v_dual_add_f32 v35, v38, v35 :: v_dual_add_f32 v28, v28, v37
	v_dual_mul_f32 v36, v62, v31 :: v_dual_fma_f32 v37, v62, v30, -v46
	ds_load_2addr_b64 v[46:49], v27 offset0:224 offset1:240
	v_dual_add_f32 v26, v26, v34 :: v_dual_mul_f32 v34, v63, v33
	v_dual_fmac_f32 v36, v63, v30 :: v_dual_add_f32 v16, v16, v37
	v_dual_mul_f32 v37, v62, v33 :: v_dual_mul_f32 v38, v43, v31
	s_delay_alu instid0(VALU_DEP_3) | instskip(NEXT) | instid1(VALU_DEP_3)
	v_fma_f32 v34, v62, v32, -v34
	v_dual_mul_f32 v31, v42, v31 :: v_dual_add_f32 v36, v39, v36
	s_delay_alu instid0(VALU_DEP_3) | instskip(NEXT) | instid1(VALU_DEP_3)
	v_dual_fmac_f32 v37, v63, v32 :: v_dual_fma_f32 v38, v42, v30, -v38
	v_add_f32_e32 v34, v50, v34
	s_delay_alu instid0(VALU_DEP_3) | instskip(SKIP_1) | instid1(VALU_DEP_4)
	v_dual_fmac_f32 v31, v43, v30 :: v_dual_mul_f32 v30, v43, v33
	v_mul_f32_e32 v33, v42, v33
	v_dual_add_f32 v37, v51, v37 :: v_dual_add_f32 v39, v40, v38
	s_delay_alu instid0(VALU_DEP_3) | instskip(SKIP_3) | instid1(VALU_DEP_3)
	v_dual_add_f32 v31, v35, v31 :: v_dual_fma_f32 v30, v42, v32, -v30
	s_wait_dscnt 0x0
	v_dual_mul_f32 v35, v65, v47 :: v_dual_mul_f32 v40, v64, v47
	v_dual_fmac_f32 v33, v43, v32 :: v_dual_mul_f32 v32, v65, v49
	v_add_f32_e32 v28, v28, v30
	s_delay_alu instid0(VALU_DEP_3) | instskip(NEXT) | instid1(VALU_DEP_3)
	v_dual_fma_f32 v30, v64, v46, -v35 :: v_dual_fmac_f32 v40, v65, v46
	v_dual_mul_f32 v35, v64, v49 :: v_dual_fma_f32 v32, v64, v48, -v32
	s_delay_alu instid0(VALU_DEP_2) | instskip(NEXT) | instid1(VALU_DEP_3)
	v_dual_add_f32 v26, v26, v33 :: v_dual_add_f32 v38, v16, v30
	v_dual_add_f32 v40, v36, v40 :: v_dual_mul_f32 v16, v45, v47
	s_delay_alu instid0(VALU_DEP_3) | instskip(NEXT) | instid1(VALU_DEP_4)
	v_fmac_f32_e32 v35, v65, v48
	v_dual_add_f32 v34, v34, v32 :: v_dual_mul_f32 v30, v45, v49
	v_dual_mul_f32 v32, v44, v47 :: v_dual_mul_f32 v33, v44, v49
	s_delay_alu instid0(VALU_DEP_3) | instskip(NEXT) | instid1(VALU_DEP_2)
	v_dual_add_f32 v36, v37, v35 :: v_dual_fma_f32 v16, v44, v46, -v16
	v_dual_fma_f32 v35, v44, v48, -v30 :: v_dual_fmac_f32 v32, v45, v46
	s_delay_alu instid0(VALU_DEP_3) | instskip(NEXT) | instid1(VALU_DEP_2)
	v_fmac_f32_e32 v33, v45, v48
	v_dual_add_f32 v30, v39, v16 :: v_dual_add_f32 v28, v28, v35
	s_delay_alu instid0(VALU_DEP_2)
	v_dual_add_f32 v32, v31, v32 :: v_dual_add_f32 v26, v26, v33
	s_barrier_signal -1
	s_barrier_wait -1
	s_cbranch_vccz .LBB530_20
.LBB530_9:                              ;   Parent Loop BB530_6 Depth=1
                                        ; =>  This Inner Loop Header: Depth=2
	s_mov_b32 s30, 0
	s_mov_b32 s41, s34
	s_and_saveexec_b32 s31, s0
	s_cbranch_execnz .LBB530_17
; %bb.10:                               ;   in Loop: Header=BB530_9 Depth=2
	s_or_b32 exec_lo, exec_lo, s31
	s_and_saveexec_b32 s31, s41
	s_delay_alu instid0(SALU_CYCLE_1)
	s_xor_b32 s31, exec_lo, s31
	s_cbranch_execnz .LBB530_18
.LBB530_11:                             ;   in Loop: Header=BB530_9 Depth=2
	s_or_b32 exec_lo, exec_lo, s31
	v_mov_b32_e32 v31, 0
	s_and_saveexec_b32 s31, s30
	s_cbranch_execz .LBB530_13
.LBB530_12:                             ;   in Loop: Header=BB530_9 Depth=2
	v_lshl_add_u64 v[42:43], v[18:19], 3, v[22:23]
	flat_load_b64 v[42:43], v[42:43]
	s_wait_loadcnt_dscnt 0x0
	v_xor_b32_e32 v31, 0x80000000, v43
	ds_store_b32 v1, v42
.LBB530_13:                             ;   in Loop: Header=BB530_9 Depth=2
	s_wait_xcnt 0x0
	s_or_b32 exec_lo, exec_lo, s31
	v_add_nc_u32_e32 v16, s26, v0
	ds_store_b32 v1, v31 offset:4
	v_cmp_le_u64_e32 vcc_lo, s[16:17], v[16:17]
	s_or_b32 s30, vcc_lo, s40
	s_delay_alu instid0(SALU_CYCLE_1) | instskip(NEXT) | instid1(SALU_CYCLE_1)
	s_and_saveexec_b32 s31, s30
	s_xor_b32 s30, exec_lo, s31
; %bb.14:                               ;   in Loop: Header=BB530_9 Depth=2
	ds_store_b32 v3, v17
; %bb.15:                               ;   in Loop: Header=BB530_9 Depth=2
	s_or_saveexec_b32 s30, s30
	v_mov_b32_e32 v31, 0
	s_xor_b32 exec_lo, exec_lo, s30
	s_cbranch_execz .LBB530_8
; %bb.16:                               ;   in Loop: Header=BB530_9 Depth=2
	v_mul_u64_e32 v[42:43], s[20:21], v[16:17]
	s_delay_alu instid0(VALU_DEP_1)
	v_lshl_add_u64 v[42:43], v[42:43], 3, v[24:25]
	flat_load_b64 v[42:43], v[42:43]
	s_wait_loadcnt_dscnt 0x0
	v_xor_b32_e32 v31, 0x80000000, v43
	ds_store_b32 v3, v42
	s_branch .LBB530_8
.LBB530_17:                             ;   in Loop: Header=BB530_9 Depth=2
	v_add_nc_u32_e32 v16, s26, v2
	s_and_not1_b32 s41, s34, exec_lo
	s_mov_b32 s30, exec_lo
	s_delay_alu instid0(VALU_DEP_1) | instskip(SKIP_2) | instid1(SALU_CYCLE_1)
	v_cmp_le_u64_e32 vcc_lo, s[16:17], v[16:17]
	v_mov_b64_e32 v[18:19], v[16:17]
	s_and_b32 s42, vcc_lo, exec_lo
	s_or_b32 s41, s41, s42
	s_or_b32 exec_lo, exec_lo, s31
	s_and_saveexec_b32 s31, s41
	s_delay_alu instid0(SALU_CYCLE_1)
	s_xor_b32 s31, exec_lo, s31
	s_cbranch_execz .LBB530_11
.LBB530_18:                             ;   in Loop: Header=BB530_9 Depth=2
	s_and_not1_b32 s30, s30, exec_lo
	ds_store_b32 v1, v17
	s_or_b32 exec_lo, exec_lo, s31
	v_mov_b32_e32 v31, 0
	s_and_saveexec_b32 s31, s30
	s_cbranch_execnz .LBB530_12
	s_branch .LBB530_13
.LBB530_19:                             ;   in Loop: Header=BB530_6 Depth=1
	v_dual_mov_b32 v38, v17 :: v_dual_mov_b32 v40, v17
	v_dual_mov_b32 v34, v17 :: v_dual_mov_b32 v36, v17
	;; [unrolled: 1-line block ×4, first 2 shown]
.LBB530_20:                             ;   in Loop: Header=BB530_6 Depth=1
	s_wait_loadcnt 0x0
	v_add_nc_u64_e32 v[20:21], s[22:23], v[20:21]
	s_delay_alu instid0(VALU_DEP_1)
	v_lshl_add_u64 v[22:23], v[10:11], 3, v[20:21]
	s_wait_xcnt 0x0
	s_and_saveexec_b32 s26, s36
	s_cbranch_execz .LBB530_25
; %bb.21:                               ;   in Loop: Header=BB530_6 Depth=1
	v_mov_b64_e32 v[24:25], s[4:5]
	v_mov_b64_e32 v[42:43], s[18:19]
	s_and_b32 vcc_lo, exec_lo, s35
	s_mov_b32 s27, -1
	s_delay_alu instid0(VALU_DEP_2) | instskip(NEXT) | instid1(VALU_DEP_1)
	v_pk_mul_f32 v[24:25], v[40:41], v[24:25] op_sel_hi:[0,1]
	v_pk_fma_f32 v[40:41], v[38:39], v[42:43], v[24:25] op_sel_hi:[0,1,1]
	v_pk_fma_f32 v[24:25], v[38:39], v[42:43], v[24:25] neg_lo:[0,0,1] neg_hi:[0,0,1]
	v_lshl_add_u64 v[38:39], v[8:9], 3, v[22:23]
	s_delay_alu instid0(VALU_DEP_3)
	v_mov_b32_e32 v25, v41
	s_cbranch_vccz .LBB530_23
; %bb.22:                               ;   in Loop: Header=BB530_6 Depth=1
	flat_load_b64 v[40:41], v[38:39]
	v_mov_b64_e32 v[42:43], s[6:7]
	v_mov_b64_e32 v[44:45], s[2:3]
	s_mov_b32 s27, 0
	s_wait_loadcnt_dscnt 0x0
	s_delay_alu instid0(VALU_DEP_2) | instskip(NEXT) | instid1(VALU_DEP_1)
	v_pk_mul_f32 v[42:43], v[40:41], v[42:43]
	v_pk_fma_f32 v[46:47], v[40:41], v[44:45], v[42:43] op_sel:[0,0,1] op_sel_hi:[1,1,0]
	v_pk_fma_f32 v[40:41], v[40:41], v[44:45], v[42:43] op_sel:[0,0,1] op_sel_hi:[1,1,0] neg_lo:[0,0,1] neg_hi:[0,0,1]
	s_delay_alu instid0(VALU_DEP_2) | instskip(NEXT) | instid1(VALU_DEP_1)
	v_mov_b32_e32 v41, v47
	v_pk_add_f32 v[40:41], v[24:25], v[40:41]
	flat_store_b64 v[38:39], v[40:41]
.LBB530_23:                             ;   in Loop: Header=BB530_6 Depth=1
	s_and_not1_b32 vcc_lo, exec_lo, s27
	s_cbranch_vccnz .LBB530_25
; %bb.24:                               ;   in Loop: Header=BB530_6 Depth=1
	flat_store_b64 v[38:39], v[24:25]
.LBB530_25:                             ;   in Loop: Header=BB530_6 Depth=1
	s_wait_xcnt 0x0
	s_or_b32 exec_lo, exec_lo, s26
	s_and_saveexec_b32 s26, s1
	s_cbranch_execz .LBB530_30
; %bb.26:                               ;   in Loop: Header=BB530_6 Depth=1
	v_mov_b64_e32 v[24:25], s[4:5]
	v_mov_b64_e32 v[38:39], s[18:19]
	v_lshl_add_u64 v[22:23], v[14:15], 3, v[22:23]
	s_and_not1_b32 vcc_lo, exec_lo, s35
	s_mov_b32 s27, -1
	s_delay_alu instid0(VALU_DEP_3) | instskip(NEXT) | instid1(VALU_DEP_1)
	v_pk_mul_f32 v[24:25], v[36:37], v[24:25] op_sel_hi:[0,1]
	v_pk_fma_f32 v[36:37], v[34:35], v[38:39], v[24:25] op_sel_hi:[0,1,1]
	v_pk_fma_f32 v[24:25], v[34:35], v[38:39], v[24:25] neg_lo:[0,0,1] neg_hi:[0,0,1]
	s_delay_alu instid0(VALU_DEP_2)
	v_mov_b32_e32 v25, v37
	s_cbranch_vccnz .LBB530_28
; %bb.27:                               ;   in Loop: Header=BB530_6 Depth=1
	flat_load_b64 v[34:35], v[22:23]
	v_mov_b64_e32 v[36:37], s[6:7]
	v_mov_b64_e32 v[38:39], s[2:3]
	s_mov_b32 s27, 0
	s_wait_loadcnt_dscnt 0x0
	s_delay_alu instid0(VALU_DEP_2) | instskip(NEXT) | instid1(VALU_DEP_1)
	v_pk_mul_f32 v[36:37], v[34:35], v[36:37]
	v_pk_fma_f32 v[40:41], v[34:35], v[38:39], v[36:37] op_sel:[0,0,1] op_sel_hi:[1,1,0]
	v_pk_fma_f32 v[34:35], v[34:35], v[38:39], v[36:37] op_sel:[0,0,1] op_sel_hi:[1,1,0] neg_lo:[0,0,1] neg_hi:[0,0,1]
	s_delay_alu instid0(VALU_DEP_2) | instskip(NEXT) | instid1(VALU_DEP_1)
	v_mov_b32_e32 v35, v41
	v_pk_add_f32 v[34:35], v[24:25], v[34:35]
	flat_store_b64 v[22:23], v[34:35]
.LBB530_28:                             ;   in Loop: Header=BB530_6 Depth=1
	s_and_not1_b32 vcc_lo, exec_lo, s27
	s_cbranch_vccnz .LBB530_30
; %bb.29:                               ;   in Loop: Header=BB530_6 Depth=1
	flat_store_b64 v[22:23], v[24:25]
.LBB530_30:                             ;   in Loop: Header=BB530_6 Depth=1
	s_wait_xcnt 0x0
	s_or_b32 exec_lo, exec_lo, s26
	v_lshl_add_u64 v[20:21], v[12:13], 3, v[20:21]
	s_and_saveexec_b32 s26, s37
	s_cbranch_execz .LBB530_35
; %bb.31:                               ;   in Loop: Header=BB530_6 Depth=1
	v_mov_b64_e32 v[22:23], s[4:5]
	v_mov_b64_e32 v[24:25], s[18:19]
	s_and_not1_b32 vcc_lo, exec_lo, s35
	s_mov_b32 s27, -1
	s_delay_alu instid0(VALU_DEP_2) | instskip(NEXT) | instid1(VALU_DEP_1)
	v_pk_mul_f32 v[22:23], v[32:33], v[22:23] op_sel_hi:[0,1]
	v_pk_fma_f32 v[32:33], v[30:31], v[24:25], v[22:23] op_sel_hi:[0,1,1]
	v_pk_fma_f32 v[22:23], v[30:31], v[24:25], v[22:23] neg_lo:[0,0,1] neg_hi:[0,0,1]
	v_lshl_add_u64 v[24:25], v[8:9], 3, v[20:21]
	s_delay_alu instid0(VALU_DEP_3)
	v_mov_b32_e32 v23, v33
	s_cbranch_vccnz .LBB530_33
; %bb.32:                               ;   in Loop: Header=BB530_6 Depth=1
	flat_load_b64 v[30:31], v[24:25]
	v_mov_b64_e32 v[32:33], s[6:7]
	v_mov_b64_e32 v[34:35], s[2:3]
	s_mov_b32 s27, 0
	s_wait_loadcnt_dscnt 0x0
	s_delay_alu instid0(VALU_DEP_2) | instskip(NEXT) | instid1(VALU_DEP_1)
	v_pk_mul_f32 v[32:33], v[30:31], v[32:33]
	v_pk_fma_f32 v[36:37], v[30:31], v[34:35], v[32:33] op_sel:[0,0,1] op_sel_hi:[1,1,0]
	v_pk_fma_f32 v[30:31], v[30:31], v[34:35], v[32:33] op_sel:[0,0,1] op_sel_hi:[1,1,0] neg_lo:[0,0,1] neg_hi:[0,0,1]
	s_delay_alu instid0(VALU_DEP_2) | instskip(NEXT) | instid1(VALU_DEP_1)
	v_mov_b32_e32 v31, v37
	v_pk_add_f32 v[30:31], v[22:23], v[30:31]
	flat_store_b64 v[24:25], v[30:31]
.LBB530_33:                             ;   in Loop: Header=BB530_6 Depth=1
	s_and_not1_b32 vcc_lo, exec_lo, s27
	s_cbranch_vccnz .LBB530_35
; %bb.34:                               ;   in Loop: Header=BB530_6 Depth=1
	flat_store_b64 v[24:25], v[22:23]
.LBB530_35:                             ;   in Loop: Header=BB530_6 Depth=1
	s_wait_xcnt 0x0
	s_or_b32 exec_lo, exec_lo, s26
	s_and_saveexec_b32 s26, s38
	s_cbranch_execz .LBB530_5
; %bb.36:                               ;   in Loop: Header=BB530_6 Depth=1
	v_mov_b64_e32 v[22:23], s[4:5]
	v_mov_b64_e32 v[24:25], s[18:19]
	v_lshl_add_u64 v[20:21], v[14:15], 3, v[20:21]
	s_and_not1_b32 vcc_lo, exec_lo, s35
	s_mov_b32 s27, -1
	s_delay_alu instid0(VALU_DEP_3) | instskip(NEXT) | instid1(VALU_DEP_1)
	v_pk_mul_f32 v[22:23], v[26:27], v[22:23] op_sel_hi:[0,1]
	v_pk_fma_f32 v[30:31], v[28:29], v[24:25], v[22:23] op_sel_hi:[0,1,1]
	v_pk_fma_f32 v[22:23], v[28:29], v[24:25], v[22:23] neg_lo:[0,0,1] neg_hi:[0,0,1]
	s_delay_alu instid0(VALU_DEP_2)
	v_mov_b32_e32 v23, v31
	s_cbranch_vccnz .LBB530_38
; %bb.37:                               ;   in Loop: Header=BB530_6 Depth=1
	flat_load_b64 v[24:25], v[20:21]
	v_mov_b64_e32 v[30:31], s[6:7]
	v_mov_b64_e32 v[32:33], s[2:3]
	s_mov_b32 s27, 0
	s_wait_loadcnt_dscnt 0x0
	s_delay_alu instid0(VALU_DEP_2) | instskip(NEXT) | instid1(VALU_DEP_1)
	v_pk_mul_f32 v[30:31], v[24:25], v[30:31]
	v_pk_fma_f32 v[34:35], v[24:25], v[32:33], v[30:31] op_sel:[0,0,1] op_sel_hi:[1,1,0]
	v_pk_fma_f32 v[24:25], v[24:25], v[32:33], v[30:31] op_sel:[0,0,1] op_sel_hi:[1,1,0] neg_lo:[0,0,1] neg_hi:[0,0,1]
	s_delay_alu instid0(VALU_DEP_2) | instskip(NEXT) | instid1(VALU_DEP_1)
	v_mov_b32_e32 v25, v35
	v_pk_add_f32 v[24:25], v[22:23], v[24:25]
	flat_store_b64 v[20:21], v[24:25]
.LBB530_38:                             ;   in Loop: Header=BB530_6 Depth=1
	s_and_not1_b32 vcc_lo, exec_lo, s27
	s_cbranch_vccnz .LBB530_5
; %bb.39:                               ;   in Loop: Header=BB530_6 Depth=1
	flat_store_b64 v[20:21], v[22:23]
	s_branch .LBB530_5
.LBB530_40:
	s_sendmsg sendmsg(MSG_DEALLOC_VGPRS)
	s_endpgm
	.section	.rodata,"a",@progbits
	.p2align	6, 0x0
	.amdhsa_kernel _ZL29rocblas_internal_gemmt_kernelIlLi16ELi32ELi8ELc67ELc67ELc85ELb1ELb1E19rocblas_complex_numIfES1_PKPKS1_PKPS1_EviT_T9_T10_S9_lSB_S9_lSA_T11_S9_li
		.amdhsa_group_segment_fixed_size 4096
		.amdhsa_private_segment_fixed_size 0
		.amdhsa_kernarg_size 108
		.amdhsa_user_sgpr_count 2
		.amdhsa_user_sgpr_dispatch_ptr 0
		.amdhsa_user_sgpr_queue_ptr 0
		.amdhsa_user_sgpr_kernarg_segment_ptr 1
		.amdhsa_user_sgpr_dispatch_id 0
		.amdhsa_user_sgpr_kernarg_preload_length 0
		.amdhsa_user_sgpr_kernarg_preload_offset 0
		.amdhsa_user_sgpr_private_segment_size 0
		.amdhsa_wavefront_size32 1
		.amdhsa_uses_dynamic_stack 0
		.amdhsa_enable_private_segment 0
		.amdhsa_system_sgpr_workgroup_id_x 1
		.amdhsa_system_sgpr_workgroup_id_y 1
		.amdhsa_system_sgpr_workgroup_id_z 1
		.amdhsa_system_sgpr_workgroup_info 0
		.amdhsa_system_vgpr_workitem_id 1
		.amdhsa_next_free_vgpr 74
		.amdhsa_next_free_sgpr 43
		.amdhsa_named_barrier_count 0
		.amdhsa_reserve_vcc 1
		.amdhsa_float_round_mode_32 0
		.amdhsa_float_round_mode_16_64 0
		.amdhsa_float_denorm_mode_32 3
		.amdhsa_float_denorm_mode_16_64 3
		.amdhsa_fp16_overflow 0
		.amdhsa_memory_ordered 1
		.amdhsa_forward_progress 1
		.amdhsa_inst_pref_size 27
		.amdhsa_round_robin_scheduling 0
		.amdhsa_exception_fp_ieee_invalid_op 0
		.amdhsa_exception_fp_denorm_src 0
		.amdhsa_exception_fp_ieee_div_zero 0
		.amdhsa_exception_fp_ieee_overflow 0
		.amdhsa_exception_fp_ieee_underflow 0
		.amdhsa_exception_fp_ieee_inexact 0
		.amdhsa_exception_int_div_zero 0
	.end_amdhsa_kernel
	.section	.text._ZL29rocblas_internal_gemmt_kernelIlLi16ELi32ELi8ELc67ELc67ELc85ELb1ELb1E19rocblas_complex_numIfES1_PKPKS1_PKPS1_EviT_T9_T10_S9_lSB_S9_lSA_T11_S9_li,"axG",@progbits,_ZL29rocblas_internal_gemmt_kernelIlLi16ELi32ELi8ELc67ELc67ELc85ELb1ELb1E19rocblas_complex_numIfES1_PKPKS1_PKPS1_EviT_T9_T10_S9_lSB_S9_lSA_T11_S9_li,comdat
.Lfunc_end530:
	.size	_ZL29rocblas_internal_gemmt_kernelIlLi16ELi32ELi8ELc67ELc67ELc85ELb1ELb1E19rocblas_complex_numIfES1_PKPKS1_PKPS1_EviT_T9_T10_S9_lSB_S9_lSA_T11_S9_li, .Lfunc_end530-_ZL29rocblas_internal_gemmt_kernelIlLi16ELi32ELi8ELc67ELc67ELc85ELb1ELb1E19rocblas_complex_numIfES1_PKPKS1_PKPS1_EviT_T9_T10_S9_lSB_S9_lSA_T11_S9_li
                                        ; -- End function
	.set _ZL29rocblas_internal_gemmt_kernelIlLi16ELi32ELi8ELc67ELc67ELc85ELb1ELb1E19rocblas_complex_numIfES1_PKPKS1_PKPS1_EviT_T9_T10_S9_lSB_S9_lSA_T11_S9_li.num_vgpr, 74
	.set _ZL29rocblas_internal_gemmt_kernelIlLi16ELi32ELi8ELc67ELc67ELc85ELb1ELb1E19rocblas_complex_numIfES1_PKPKS1_PKPS1_EviT_T9_T10_S9_lSB_S9_lSA_T11_S9_li.num_agpr, 0
	.set _ZL29rocblas_internal_gemmt_kernelIlLi16ELi32ELi8ELc67ELc67ELc85ELb1ELb1E19rocblas_complex_numIfES1_PKPKS1_PKPS1_EviT_T9_T10_S9_lSB_S9_lSA_T11_S9_li.numbered_sgpr, 43
	.set _ZL29rocblas_internal_gemmt_kernelIlLi16ELi32ELi8ELc67ELc67ELc85ELb1ELb1E19rocblas_complex_numIfES1_PKPKS1_PKPS1_EviT_T9_T10_S9_lSB_S9_lSA_T11_S9_li.num_named_barrier, 0
	.set _ZL29rocblas_internal_gemmt_kernelIlLi16ELi32ELi8ELc67ELc67ELc85ELb1ELb1E19rocblas_complex_numIfES1_PKPKS1_PKPS1_EviT_T9_T10_S9_lSB_S9_lSA_T11_S9_li.private_seg_size, 0
	.set _ZL29rocblas_internal_gemmt_kernelIlLi16ELi32ELi8ELc67ELc67ELc85ELb1ELb1E19rocblas_complex_numIfES1_PKPKS1_PKPS1_EviT_T9_T10_S9_lSB_S9_lSA_T11_S9_li.uses_vcc, 1
	.set _ZL29rocblas_internal_gemmt_kernelIlLi16ELi32ELi8ELc67ELc67ELc85ELb1ELb1E19rocblas_complex_numIfES1_PKPKS1_PKPS1_EviT_T9_T10_S9_lSB_S9_lSA_T11_S9_li.uses_flat_scratch, 0
	.set _ZL29rocblas_internal_gemmt_kernelIlLi16ELi32ELi8ELc67ELc67ELc85ELb1ELb1E19rocblas_complex_numIfES1_PKPKS1_PKPS1_EviT_T9_T10_S9_lSB_S9_lSA_T11_S9_li.has_dyn_sized_stack, 0
	.set _ZL29rocblas_internal_gemmt_kernelIlLi16ELi32ELi8ELc67ELc67ELc85ELb1ELb1E19rocblas_complex_numIfES1_PKPKS1_PKPS1_EviT_T9_T10_S9_lSB_S9_lSA_T11_S9_li.has_recursion, 0
	.set _ZL29rocblas_internal_gemmt_kernelIlLi16ELi32ELi8ELc67ELc67ELc85ELb1ELb1E19rocblas_complex_numIfES1_PKPKS1_PKPS1_EviT_T9_T10_S9_lSB_S9_lSA_T11_S9_li.has_indirect_call, 0
	.section	.AMDGPU.csdata,"",@progbits
; Kernel info:
; codeLenInByte = 3380
; TotalNumSgprs: 45
; NumVgprs: 74
; ScratchSize: 0
; MemoryBound: 0
; FloatMode: 240
; IeeeMode: 1
; LDSByteSize: 4096 bytes/workgroup (compile time only)
; SGPRBlocks: 0
; VGPRBlocks: 4
; NumSGPRsForWavesPerEU: 45
; NumVGPRsForWavesPerEU: 74
; NamedBarCnt: 0
; Occupancy: 12
; WaveLimiterHint : 1
; COMPUTE_PGM_RSRC2:SCRATCH_EN: 0
; COMPUTE_PGM_RSRC2:USER_SGPR: 2
; COMPUTE_PGM_RSRC2:TRAP_HANDLER: 0
; COMPUTE_PGM_RSRC2:TGID_X_EN: 1
; COMPUTE_PGM_RSRC2:TGID_Y_EN: 1
; COMPUTE_PGM_RSRC2:TGID_Z_EN: 1
; COMPUTE_PGM_RSRC2:TIDIG_COMP_CNT: 1
	.section	.text._ZL29rocblas_internal_gemmt_kernelIlLi16ELi32ELi8ELc78ELc78ELc76ELb0ELb0E19rocblas_complex_numIfES1_PKPKS1_PKPS1_EviT_T9_T10_S9_lSB_S9_lSA_T11_S9_li,"axG",@progbits,_ZL29rocblas_internal_gemmt_kernelIlLi16ELi32ELi8ELc78ELc78ELc76ELb0ELb0E19rocblas_complex_numIfES1_PKPKS1_PKPS1_EviT_T9_T10_S9_lSB_S9_lSA_T11_S9_li,comdat
	.globl	_ZL29rocblas_internal_gemmt_kernelIlLi16ELi32ELi8ELc78ELc78ELc76ELb0ELb0E19rocblas_complex_numIfES1_PKPKS1_PKPS1_EviT_T9_T10_S9_lSB_S9_lSA_T11_S9_li ; -- Begin function _ZL29rocblas_internal_gemmt_kernelIlLi16ELi32ELi8ELc78ELc78ELc76ELb0ELb0E19rocblas_complex_numIfES1_PKPKS1_PKPS1_EviT_T9_T10_S9_lSB_S9_lSA_T11_S9_li
	.p2align	8
	.type	_ZL29rocblas_internal_gemmt_kernelIlLi16ELi32ELi8ELc78ELc78ELc76ELb0ELb0E19rocblas_complex_numIfES1_PKPKS1_PKPS1_EviT_T9_T10_S9_lSB_S9_lSA_T11_S9_li,@function
_ZL29rocblas_internal_gemmt_kernelIlLi16ELi32ELi8ELc78ELc78ELc76ELb0ELb0E19rocblas_complex_numIfES1_PKPKS1_PKPS1_EviT_T9_T10_S9_lSB_S9_lSA_T11_S9_li: ; @_ZL29rocblas_internal_gemmt_kernelIlLi16ELi32ELi8ELc78ELc78ELc76ELb0ELb0E19rocblas_complex_numIfES1_PKPKS1_PKPS1_EviT_T9_T10_S9_lSB_S9_lSA_T11_S9_li
; %bb.0:
	s_clause 0x1
	s_load_b64 s[24:25], s[0:1], 0x48
	s_load_b128 s[16:19], s[0:1], 0x8
	s_wait_kmcnt 0x0
	s_cmp_neq_f32 s24, 1.0
	s_cselect_b32 s3, -1, 0
	s_and_b32 s4, s25, 0x7fffffff
	s_delay_alu instid0(SALU_CYCLE_1) | instskip(SKIP_3) | instid1(SALU_CYCLE_1)
	s_cmp_eq_u32 s4, 0
	s_cselect_b32 s2, -1, 0
	s_cmp_lg_u32 s4, 0
	s_cselect_b32 s4, -1, 0
	s_or_b32 s3, s3, s4
	s_delay_alu instid0(SALU_CYCLE_1)
	s_and_b32 vcc_lo, exec_lo, s3
	s_cbranch_vccnz .LBB531_2
; %bb.1:
	s_cmp_lg_u64 s[16:17], 0
	s_cselect_b32 s3, -1, 0
	s_cmp_neq_f32 s18, 0
	s_cselect_b32 s4, -1, 0
	s_cmp_neq_f32 s19, 0
	s_cselect_b32 s5, -1, 0
	s_delay_alu instid0(SALU_CYCLE_1) | instskip(NEXT) | instid1(SALU_CYCLE_1)
	s_or_b32 s4, s4, s5
	s_and_b32 s3, s3, s4
.LBB531_2:
	s_delay_alu instid0(SALU_CYCLE_1)
	s_and_not1_b32 vcc_lo, exec_lo, s3
	s_cbranch_vccnz .LBB531_35
; %bb.3:
	s_load_b32 s30, s[0:1], 0x68
	s_bfe_u32 s3, ttmp6, 0x40014
	s_lshr_b32 s4, ttmp7, 16
	s_add_co_i32 s3, s3, 1
	s_bfe_u32 s6, ttmp6, 0x40008
	s_mul_i32 s5, s4, s3
	s_getreg_b32 s3, hwreg(HW_REG_IB_STS2, 6, 4)
	s_add_co_i32 s6, s6, s5
	s_cmp_eq_u32 s3, 0
	s_mov_b32 s27, 0
	s_cselect_b32 s26, s4, s6
	s_wait_kmcnt 0x0
	s_cmp_ge_u32 s26, s30
	s_cbranch_scc1 .LBB531_35
; %bb.4:
	s_bfe_u32 s5, ttmp6, 0x4000c
	s_bfe_u32 s6, ttmp6, 0x40010
	v_and_b32_e32 v9, 0x3ff, v0
	v_bfe_u32 v15, v0, 10, 10
	s_add_co_i32 s5, s5, 1
	s_and_b32 s20, ttmp7, 0xffff
	s_add_co_i32 s6, s6, 1
	s_and_b32 s4, ttmp6, 15
	s_mul_i32 s5, ttmp9, s5
	s_mul_i32 s6, s20, s6
	s_bfe_u32 s7, ttmp6, 0x40004
	v_lshl_add_u32 v1, v15, 4, v9
	s_add_co_i32 s21, s4, s5
	s_add_co_i32 s22, s7, s6
	s_cmp_eq_u32 s3, 0
	s_load_b128 s[4:7], s[0:1], 0x38
	s_cselect_b32 s20, s20, s22
	s_cselect_b32 s3, ttmp9, s21
	s_lshl_b32 s31, s20, 5
	v_dual_lshrrev_b32 v8, 3, v1 :: v_dual_bitop2_b32 v3, 31, v1 bitop3:0x40
	s_clause 0x2
	s_load_b128 s[20:23], s[0:1], 0x50
	s_load_b32 s33, s[0:1], 0x0
	s_load_b256 s[8:15], s[0:1], 0x18
	s_lshl_b32 s3, s3, 5
	s_load_b64 s[28:29], s[0:1], 0x60
	v_dual_add_nc_u32 v6, s31, v8 :: v_dual_bitop2_b32 v4, s3, v3 bitop3:0x54
	v_dual_add_nc_u32 v16, s31, v15 :: v_dual_bitop2_b32 v0, 7, v0 bitop3:0x40
	s_delay_alu instid0(VALU_DEP_2) | instskip(NEXT) | instid1(VALU_DEP_2)
	v_dual_lshrrev_b32 v2, 5, v1 :: v_dual_ashrrev_i32 v5, 31, v4
	v_dual_ashrrev_i32 v7, 31, v6 :: v_dual_add_nc_u32 v18, 16, v16
	v_ashrrev_i32_e32 v17, 31, v16
	s_cmp_neq_f32 s18, 0
	v_dual_lshlrev_b32 v1, 3, v3 :: v_dual_lshlrev_b32 v3, 3, v0
	s_delay_alu instid0(VALU_DEP_3)
	v_ashrrev_i32_e32 v19, 31, v18
	s_cselect_b32 s34, -1, 0
	s_cmp_neq_f32 s19, 0
	v_lshlrev_b32_e32 v25, 3, v9
	s_wait_kmcnt 0x0
	v_cmp_gt_i32_e64 s1, s33, v6
	v_mul_u64_e32 v[6:7], s[4:5], v[6:7]
	v_mul_u64_e32 v[10:11], s[22:23], v[16:17]
	;; [unrolled: 1-line block ×3, first 2 shown]
	s_cselect_b32 s0, -1, 0
	v_lshl_or_b32 v3, v8, 6, v3
	s_or_b32 s37, s34, s0
	v_add_nc_u32_e32 v8, s3, v9
	s_cmp_neq_f32 s24, 0
	v_cmp_gt_i64_e64 s38, s[16:17], 0
	v_cmp_gt_i32_e64 s0, s33, v4
	v_lshl_or_b32 v1, v2, 8, v1
	s_cselect_b32 s3, -1, 0
	s_xor_b32 s4, s2, -1
	v_dual_add_nc_u32 v14, 16, v8 :: v_dual_ashrrev_i32 v9, 31, v8
	v_cmp_le_i32_e32 vcc_lo, v16, v8
	v_cmp_gt_i32_e64 s2, s33, v8
	s_or_b32 s31, s3, s4
	v_cmp_le_i32_e64 s3, v16, v14
	v_cmp_gt_i32_e64 s4, s33, v14
	v_cmp_le_i32_e64 s5, v18, v14
	s_and_b32 s33, vcc_lo, s2
	v_cmp_le_i32_e32 vcc_lo, v18, v8
	v_add_nc_u32_e32 v3, 0x800, v3
	v_lshl_add_u32 v27, v15, 6, 0x800
	v_dual_ashrrev_i32 v15, 31, v14 :: v_dual_mov_b32 v17, 0
	s_and_b32 s34, s3, s4
	s_and_b32 s35, vcc_lo, s2
	s_and_b32 s36, s5, s4
	s_mov_b32 s2, s24
	s_mov_b32 s3, s24
	;; [unrolled: 1-line block ×5, first 2 shown]
	s_and_b32 s37, s37, s38
	s_lshl_b64 s[6:7], s[6:7], 3
	s_lshl_b64 s[12:13], s[12:13], 3
	;; [unrolled: 1-line block ×3, first 2 shown]
	s_branch .LBB531_6
.LBB531_5:                              ;   in Loop: Header=BB531_6 Depth=1
	s_wait_xcnt 0x0
	s_or_b32 exec_lo, exec_lo, s28
	s_add_co_i32 s26, s26, 0x10000
	s_delay_alu instid0(SALU_CYCLE_1)
	s_cmp_lt_u32 s26, s30
	s_cbranch_scc0 .LBB531_35
.LBB531_6:                              ; =>This Loop Header: Depth=1
                                        ;     Child Loop BB531_9 Depth 2
	v_dual_mov_b32 v16, s26 :: v_dual_mov_b32 v36, v17
	v_dual_mov_b32 v38, v17 :: v_dual_mov_b32 v32, v17
	v_dual_mov_b32 v34, v17 :: v_dual_mov_b32 v28, v17
	global_load_b64 v[18:19], v16, s[20:21] scale_offset
	v_dual_mov_b32 v30, v17 :: v_dual_mov_b32 v24, v17
	v_mov_b32_e32 v26, v17
	s_and_not1_b32 vcc_lo, exec_lo, s37
	s_cbranch_vccnz .LBB531_15
; %bb.7:                                ;   in Loop: Header=BB531_6 Depth=1
	s_lshl_b64 s[28:29], s[26:27], 3
	v_dual_mov_b32 v26, 0 :: v_dual_mov_b32 v24, 0
	s_add_nc_u64 s[38:39], s[8:9], s[28:29]
	s_add_nc_u64 s[28:29], s[14:15], s[28:29]
	s_clause 0x1
	global_load_b64 v[20:21], v17, s[38:39]
	global_load_b64 v[22:23], v17, s[28:29]
	v_dual_mov_b32 v30, 0 :: v_dual_mov_b32 v28, 0
	v_dual_mov_b32 v34, 0 :: v_dual_mov_b32 v32, 0
	;; [unrolled: 1-line block ×3, first 2 shown]
	s_wait_xcnt 0x0
	s_mov_b64 s[28:29], 0
	s_wait_loadcnt 0x1
	v_add_nc_u64_e32 v[20:21], s[12:13], v[20:21]
	s_wait_loadcnt 0x0
	v_add_nc_u64_e32 v[22:23], s[6:7], v[22:23]
	s_delay_alu instid0(VALU_DEP_2) | instskip(NEXT) | instid1(VALU_DEP_2)
	v_lshl_add_u64 v[20:21], v[4:5], 3, v[20:21]
	v_lshl_add_u64 v[22:23], v[6:7], 3, v[22:23]
	s_branch .LBB531_9
.LBB531_8:                              ;   in Loop: Header=BB531_9 Depth=2
	s_wait_xcnt 0x0
	s_or_b32 exec_lo, exec_lo, s38
	s_wait_loadcnt_dscnt 0x0
	ds_store_b64 v3, v[42:43]
	s_wait_dscnt 0x0
	s_barrier_signal -1
	s_barrier_wait -1
	ds_load_b128 v[40:43], v27
	ds_load_2addr_b64 v[44:47], v25 offset1:16
	ds_load_b128 v[48:51], v27 offset:1024
	ds_load_b128 v[52:55], v27 offset:16
	;; [unrolled: 1-line block ×4, first 2 shown]
	ds_load_2addr_b64 v[64:67], v25 offset0:32 offset1:48
	ds_load_b128 v[68:71], v27 offset:1040
	s_add_nc_u64 s[28:29], s[28:29], 8
	s_delay_alu instid0(SALU_CYCLE_1)
	v_cmp_gt_i64_e64 s38, s[16:17], s[28:29]
	s_and_b32 vcc_lo, exec_lo, s38
	s_wait_dscnt 0x6
	v_dual_mul_f32 v16, v41, v45 :: v_dual_mul_f32 v29, v40, v45
	v_dual_mul_f32 v31, v41, v47 :: v_dual_mul_f32 v33, v40, v47
	s_wait_dscnt 0x5
	v_dual_mul_f32 v35, v49, v45 :: v_dual_mul_f32 v37, v48, v45
	v_dual_mul_f32 v39, v49, v47 :: v_dual_mul_f32 v45, v48, v47
	v_dual_fma_f32 v16, v40, v44, -v16 :: v_dual_fmac_f32 v29, v41, v44
	v_dual_fma_f32 v31, v40, v46, -v31 :: v_dual_fmac_f32 v33, v41, v46
	s_delay_alu instid0(VALU_DEP_4) | instskip(NEXT) | instid1(VALU_DEP_3)
	v_dual_fma_f32 v35, v48, v44, -v35 :: v_dual_fmac_f32 v37, v49, v44
	v_dual_add_f32 v16, v36, v16 :: v_dual_add_f32 v36, v38, v29
	v_fma_f32 v29, v48, v46, -v39
	s_delay_alu instid0(VALU_DEP_4) | instskip(NEXT) | instid1(VALU_DEP_4)
	v_dual_add_f32 v32, v32, v31 :: v_dual_add_f32 v33, v34, v33
	v_dual_add_f32 v34, v28, v35 :: v_dual_add_f32 v35, v30, v37
	s_wait_dscnt 0x1
	v_dual_mul_f32 v37, v43, v65 :: v_dual_fmac_f32 v45, v49, v46
	v_add_f32_e32 v24, v24, v29
	ds_load_2addr_b64 v[28:31], v25 offset0:64 offset1:80
	v_dual_mul_f32 v38, v42, v65 :: v_dual_fma_f32 v37, v42, v64, -v37
	v_dual_mul_f32 v39, v43, v67 :: v_dual_add_f32 v26, v26, v45
	s_delay_alu instid0(VALU_DEP_2) | instskip(NEXT) | instid1(VALU_DEP_2)
	v_dual_mul_f32 v40, v42, v67 :: v_dual_fmac_f32 v38, v43, v64
	v_dual_add_f32 v16, v16, v37 :: v_dual_fma_f32 v37, v42, v66, -v39
	v_mul_f32_e32 v39, v51, v65
	s_delay_alu instid0(VALU_DEP_3) | instskip(NEXT) | instid1(VALU_DEP_4)
	v_fmac_f32_e32 v40, v43, v66
	v_dual_add_f32 v36, v36, v38 :: v_dual_mul_f32 v38, v50, v65
	s_delay_alu instid0(VALU_DEP_3) | instskip(NEXT) | instid1(VALU_DEP_3)
	v_dual_add_f32 v37, v32, v37 :: v_dual_fma_f32 v32, v50, v64, -v39
	v_dual_mul_f32 v39, v51, v67 :: v_dual_add_f32 v40, v33, v40
	s_delay_alu instid0(VALU_DEP_3) | instskip(SKIP_1) | instid1(VALU_DEP_3)
	v_dual_fmac_f32 v38, v51, v64 :: v_dual_mul_f32 v41, v50, v67
	s_wait_dscnt 0x0
	v_dual_add_f32 v42, v34, v32 :: v_dual_mul_f32 v33, v53, v29
	s_delay_alu instid0(VALU_DEP_3) | instskip(NEXT) | instid1(VALU_DEP_3)
	v_fma_f32 v32, v50, v66, -v39
	v_dual_add_f32 v38, v35, v38 :: v_dual_mul_f32 v39, v52, v29
	v_fmac_f32_e32 v41, v51, v66
	s_delay_alu instid0(VALU_DEP_4) | instskip(NEXT) | instid1(VALU_DEP_4)
	v_fma_f32 v43, v52, v28, -v33
	v_dual_add_f32 v24, v24, v32 :: v_dual_mul_f32 v44, v53, v31
	ds_load_2addr_b64 v[32:35], v25 offset0:96 offset1:112
	v_dual_fmac_f32 v39, v53, v28 :: v_dual_add_f32 v26, v26, v41
	v_add_f32_e32 v16, v16, v43
	v_dual_mul_f32 v41, v52, v31 :: v_dual_fma_f32 v43, v52, v30, -v44
	s_delay_alu instid0(VALU_DEP_3) | instskip(NEXT) | instid1(VALU_DEP_2)
	v_dual_add_f32 v36, v36, v39 :: v_dual_mul_f32 v39, v69, v29
	v_dual_mul_f32 v29, v68, v29 :: v_dual_fmac_f32 v41, v53, v30
	s_delay_alu instid0(VALU_DEP_3) | instskip(NEXT) | instid1(VALU_DEP_3)
	v_add_f32_e32 v37, v37, v43
	v_dual_mul_f32 v43, v69, v31 :: v_dual_fma_f32 v39, v68, v28, -v39
	s_delay_alu instid0(VALU_DEP_3) | instskip(NEXT) | instid1(VALU_DEP_4)
	v_dual_fmac_f32 v29, v69, v28 :: v_dual_mul_f32 v44, v68, v31
	v_add_f32_e32 v40, v40, v41
	s_delay_alu instid0(VALU_DEP_3) | instskip(NEXT) | instid1(VALU_DEP_3)
	v_dual_fma_f32 v28, v68, v30, -v43 :: v_dual_add_f32 v41, v42, v39
	v_dual_add_f32 v42, v38, v29 :: v_dual_fmac_f32 v44, v69, v30
	s_wait_dscnt 0x0
	s_delay_alu instid0(VALU_DEP_2) | instskip(SKIP_2) | instid1(VALU_DEP_1)
	v_dual_mul_f32 v38, v55, v33 :: v_dual_add_f32 v24, v24, v28
	ds_load_2addr_b64 v[28:31], v25 offset0:128 offset1:144
	v_dual_mul_f32 v39, v54, v33 :: v_dual_mul_f32 v43, v55, v35
	v_dual_fma_f32 v38, v54, v32, -v38 :: v_dual_fmac_f32 v39, v55, v32
	s_delay_alu instid0(VALU_DEP_1) | instskip(NEXT) | instid1(VALU_DEP_3)
	v_dual_add_f32 v26, v26, v44 :: v_dual_add_f32 v16, v16, v38
	v_dual_mul_f32 v44, v54, v35 :: v_dual_fma_f32 v43, v54, v34, -v43
	s_delay_alu instid0(VALU_DEP_3) | instskip(NEXT) | instid1(VALU_DEP_2)
	v_dual_mul_f32 v38, v71, v33 :: v_dual_add_f32 v45, v36, v39
	v_dual_mul_f32 v33, v70, v33 :: v_dual_fmac_f32 v44, v55, v34
	s_delay_alu instid0(VALU_DEP_2)
	v_dual_add_f32 v46, v37, v43 :: v_dual_fma_f32 v43, v70, v32, -v38
	v_mul_f32_e32 v47, v71, v35
	ds_load_b128 v[36:39], v27 offset:1056
	v_add_f32_e32 v44, v40, v44
	v_dual_fmac_f32 v33, v71, v32 :: v_dual_mul_f32 v40, v70, v35
	v_dual_fma_f32 v32, v70, v34, -v47 :: v_dual_add_f32 v47, v41, v43
	s_wait_dscnt 0x1
	v_mul_f32_e32 v35, v57, v29
	s_delay_alu instid0(VALU_DEP_3) | instskip(NEXT) | instid1(VALU_DEP_3)
	v_dual_add_f32 v48, v42, v33 :: v_dual_fmac_f32 v40, v71, v34
	v_add_f32_e32 v24, v24, v32
	s_delay_alu instid0(VALU_DEP_3) | instskip(NEXT) | instid1(VALU_DEP_3)
	v_dual_mul_f32 v49, v56, v29 :: v_dual_fma_f32 v41, v56, v28, -v35
	v_dual_mul_f32 v42, v57, v31 :: v_dual_add_f32 v26, v26, v40
	ds_load_2addr_b64 v[32:35], v25 offset0:160 offset1:176
	v_dual_fmac_f32 v49, v57, v28 :: v_dual_add_f32 v16, v16, v41
	v_dual_fma_f32 v50, v56, v30, -v42 :: v_dual_mul_f32 v51, v56, v31
	ds_load_b128 v[40:43], v27 offset:1072
	s_wait_dscnt 0x2
	v_dual_mul_f32 v52, v37, v29 :: v_dual_mul_f32 v29, v36, v29
	v_dual_add_f32 v45, v45, v49 :: v_dual_add_f32 v46, v46, v50
	s_delay_alu instid0(VALU_DEP_2) | instskip(NEXT) | instid1(VALU_DEP_3)
	v_dual_fmac_f32 v51, v57, v30 :: v_dual_fma_f32 v49, v36, v28, -v52
	v_dual_mul_f32 v50, v37, v31 :: v_dual_fmac_f32 v29, v37, v28
	s_delay_alu instid0(VALU_DEP_2) | instskip(NEXT) | instid1(VALU_DEP_2)
	v_dual_add_f32 v44, v44, v51 :: v_dual_add_f32 v47, v47, v49
	v_dual_mul_f32 v51, v36, v31 :: v_dual_fma_f32 v28, v36, v30, -v50
	s_delay_alu instid0(VALU_DEP_3) | instskip(SKIP_2) | instid1(VALU_DEP_3)
	v_add_f32_e32 v36, v48, v29
	s_wait_dscnt 0x1
	v_dual_mul_f32 v48, v59, v33 :: v_dual_mul_f32 v49, v59, v35
	v_dual_fmac_f32 v51, v37, v30 :: v_dual_add_f32 v24, v24, v28
	ds_load_2addr_b64 v[28:31], v25 offset0:192 offset1:208
	v_dual_mul_f32 v37, v58, v33 :: v_dual_fma_f32 v48, v58, v32, -v48
	s_delay_alu instid0(VALU_DEP_1) | instskip(NEXT) | instid1(VALU_DEP_2)
	v_dual_mul_f32 v50, v58, v35 :: v_dual_fmac_f32 v37, v59, v32
	v_dual_add_f32 v26, v26, v51 :: v_dual_add_f32 v16, v16, v48
	s_delay_alu instid0(VALU_DEP_2) | instskip(NEXT) | instid1(VALU_DEP_3)
	v_dual_fma_f32 v48, v58, v34, -v49 :: v_dual_fmac_f32 v50, v59, v34
	v_add_f32_e32 v37, v45, v37
	v_dual_mul_f32 v45, v39, v33 :: v_dual_mul_f32 v33, v38, v33
	s_delay_alu instid0(VALU_DEP_3) | instskip(NEXT) | instid1(VALU_DEP_2)
	v_dual_add_f32 v48, v46, v48 :: v_dual_mul_f32 v46, v39, v35
	v_dual_add_f32 v49, v44, v50 :: v_dual_fma_f32 v45, v38, v32, -v45
	s_delay_alu instid0(VALU_DEP_3) | instskip(SKIP_1) | instid1(VALU_DEP_3)
	v_dual_fmac_f32 v33, v39, v32 :: v_dual_mul_f32 v32, v38, v35
	s_wait_dscnt 0x0
	v_dual_fma_f32 v35, v38, v34, -v46 :: v_dual_mul_f32 v44, v61, v29
	s_delay_alu instid0(VALU_DEP_3) | instskip(NEXT) | instid1(VALU_DEP_3)
	v_add_f32_e32 v38, v47, v45
	v_dual_fmac_f32 v32, v39, v34 :: v_dual_mul_f32 v34, v60, v29
	s_delay_alu instid0(VALU_DEP_3) | instskip(NEXT) | instid1(VALU_DEP_4)
	v_add_f32_e32 v24, v24, v35
	v_fma_f32 v35, v60, v28, -v44
	ds_load_2addr_b64 v[44:47], v25 offset0:224 offset1:240
	v_dual_add_f32 v33, v36, v33 :: v_dual_add_f32 v26, v26, v32
	v_dual_mul_f32 v32, v61, v31 :: v_dual_fmac_f32 v34, v61, v28
	v_dual_add_f32 v16, v16, v35 :: v_dual_mul_f32 v36, v41, v29
	s_delay_alu instid0(VALU_DEP_2) | instskip(NEXT) | instid1(VALU_DEP_3)
	v_dual_mul_f32 v35, v60, v31 :: v_dual_fma_f32 v32, v60, v30, -v32
	v_dual_mul_f32 v29, v40, v29 :: v_dual_add_f32 v34, v37, v34
	s_delay_alu instid0(VALU_DEP_2) | instskip(NEXT) | instid1(VALU_DEP_3)
	v_dual_fma_f32 v36, v40, v28, -v36 :: v_dual_fmac_f32 v35, v61, v30
	v_add_f32_e32 v32, v48, v32
	s_delay_alu instid0(VALU_DEP_3) | instskip(SKIP_1) | instid1(VALU_DEP_4)
	v_dual_fmac_f32 v29, v41, v28 :: v_dual_mul_f32 v28, v41, v31
	v_mul_f32_e32 v31, v40, v31
	v_dual_add_f32 v35, v49, v35 :: v_dual_add_f32 v37, v38, v36
	s_delay_alu instid0(VALU_DEP_3) | instskip(SKIP_3) | instid1(VALU_DEP_3)
	v_dual_add_f32 v29, v33, v29 :: v_dual_fma_f32 v28, v40, v30, -v28
	s_wait_dscnt 0x0
	v_dual_mul_f32 v33, v63, v45 :: v_dual_mul_f32 v38, v62, v45
	v_dual_fmac_f32 v31, v41, v30 :: v_dual_mul_f32 v30, v63, v47
	v_add_f32_e32 v24, v24, v28
	s_delay_alu instid0(VALU_DEP_3) | instskip(NEXT) | instid1(VALU_DEP_3)
	v_dual_fma_f32 v28, v62, v44, -v33 :: v_dual_fmac_f32 v38, v63, v44
	v_dual_mul_f32 v33, v62, v47 :: v_dual_fma_f32 v30, v62, v46, -v30
	s_delay_alu instid0(VALU_DEP_2) | instskip(NEXT) | instid1(VALU_DEP_3)
	v_dual_add_f32 v26, v26, v31 :: v_dual_add_f32 v36, v16, v28
	v_dual_add_f32 v38, v34, v38 :: v_dual_mul_f32 v16, v43, v45
	s_delay_alu instid0(VALU_DEP_3) | instskip(NEXT) | instid1(VALU_DEP_4)
	v_fmac_f32_e32 v33, v63, v46
	v_dual_add_f32 v32, v32, v30 :: v_dual_mul_f32 v28, v43, v47
	v_dual_mul_f32 v30, v42, v45 :: v_dual_mul_f32 v31, v42, v47
	s_delay_alu instid0(VALU_DEP_3) | instskip(NEXT) | instid1(VALU_DEP_2)
	v_dual_add_f32 v34, v35, v33 :: v_dual_fma_f32 v16, v42, v44, -v16
	v_dual_fma_f32 v33, v42, v46, -v28 :: v_dual_fmac_f32 v30, v43, v44
	s_delay_alu instid0(VALU_DEP_3) | instskip(NEXT) | instid1(VALU_DEP_2)
	v_fmac_f32_e32 v31, v43, v46
	v_dual_add_f32 v28, v37, v16 :: v_dual_add_f32 v24, v24, v33
	s_delay_alu instid0(VALU_DEP_2)
	v_dual_add_f32 v30, v29, v30 :: v_dual_add_f32 v26, v26, v31
	s_barrier_signal -1
	s_barrier_wait -1
	s_cbranch_vccz .LBB531_15
.LBB531_9:                              ;   Parent Loop BB531_6 Depth=1
                                        ; =>  This Inner Loop Header: Depth=2
	v_dual_mov_b32 v40, 0 :: v_dual_mov_b32 v41, 0
	s_and_saveexec_b32 s38, s0
	s_cbranch_execz .LBB531_13
; %bb.10:                               ;   in Loop: Header=BB531_9 Depth=2
	v_dual_mov_b32 v41, 0 :: v_dual_add_nc_u32 v16, s28, v2
	v_mov_b32_e32 v40, 0
	s_mov_b32 s39, exec_lo
	s_delay_alu instid0(VALU_DEP_2)
	v_cmpx_gt_u64_e64 s[16:17], v[16:17]
	s_cbranch_execz .LBB531_12
; %bb.11:                               ;   in Loop: Header=BB531_9 Depth=2
	v_mul_u64_e32 v[40:41], s[10:11], v[16:17]
	s_delay_alu instid0(VALU_DEP_1)
	v_lshl_add_u64 v[40:41], v[40:41], 3, v[20:21]
	flat_load_b64 v[40:41], v[40:41]
.LBB531_12:                             ;   in Loop: Header=BB531_9 Depth=2
	s_wait_xcnt 0x0
	s_or_b32 exec_lo, exec_lo, s39
.LBB531_13:                             ;   in Loop: Header=BB531_9 Depth=2
	s_delay_alu instid0(SALU_CYCLE_1)
	s_or_b32 exec_lo, exec_lo, s38
	v_dual_add_nc_u32 v16, s28, v0 :: v_dual_mov_b32 v42, 0
	v_mov_b32_e32 v43, 0
	s_wait_loadcnt_dscnt 0x0
	ds_store_b64 v1, v[40:41]
	v_cmp_gt_u64_e32 vcc_lo, s[16:17], v[16:17]
	s_and_b32 s39, vcc_lo, s1
	s_delay_alu instid0(SALU_CYCLE_1)
	s_and_saveexec_b32 s38, s39
	s_cbranch_execz .LBB531_8
; %bb.14:                               ;   in Loop: Header=BB531_9 Depth=2
	v_lshl_add_u64 v[40:41], v[16:17], 3, v[22:23]
	flat_load_b64 v[42:43], v[40:41]
	s_branch .LBB531_8
.LBB531_15:                             ;   in Loop: Header=BB531_6 Depth=1
	s_wait_loadcnt 0x0
	v_add_nc_u64_e32 v[18:19], s[22:23], v[18:19]
	s_delay_alu instid0(VALU_DEP_1)
	v_lshl_add_u64 v[20:21], v[10:11], 3, v[18:19]
	s_wait_xcnt 0x0
	s_and_saveexec_b32 s28, s33
	s_cbranch_execz .LBB531_20
; %bb.16:                               ;   in Loop: Header=BB531_6 Depth=1
	v_mov_b64_e32 v[22:23], s[4:5]
	v_mov_b64_e32 v[40:41], s[18:19]
	s_and_b32 vcc_lo, exec_lo, s31
	s_mov_b32 s29, -1
	s_delay_alu instid0(VALU_DEP_2) | instskip(NEXT) | instid1(VALU_DEP_1)
	v_pk_mul_f32 v[22:23], v[38:39], v[22:23] op_sel_hi:[0,1]
	v_pk_fma_f32 v[38:39], v[36:37], v[40:41], v[22:23] op_sel_hi:[0,1,1]
	v_pk_fma_f32 v[22:23], v[36:37], v[40:41], v[22:23] neg_lo:[0,0,1] neg_hi:[0,0,1]
	v_lshl_add_u64 v[36:37], v[8:9], 3, v[20:21]
	s_delay_alu instid0(VALU_DEP_3)
	v_mov_b32_e32 v23, v39
	s_cbranch_vccz .LBB531_18
; %bb.17:                               ;   in Loop: Header=BB531_6 Depth=1
	flat_load_b64 v[38:39], v[36:37]
	v_mov_b64_e32 v[40:41], s[24:25]
	v_mov_b64_e32 v[42:43], s[2:3]
	s_mov_b32 s29, 0
	s_wait_loadcnt_dscnt 0x0
	s_delay_alu instid0(VALU_DEP_2) | instskip(NEXT) | instid1(VALU_DEP_1)
	v_pk_mul_f32 v[40:41], v[38:39], v[40:41]
	v_pk_fma_f32 v[44:45], v[38:39], v[42:43], v[40:41] op_sel:[0,0,1] op_sel_hi:[1,1,0]
	v_pk_fma_f32 v[38:39], v[38:39], v[42:43], v[40:41] op_sel:[0,0,1] op_sel_hi:[1,1,0] neg_lo:[0,0,1] neg_hi:[0,0,1]
	s_delay_alu instid0(VALU_DEP_2) | instskip(NEXT) | instid1(VALU_DEP_1)
	v_mov_b32_e32 v39, v45
	v_pk_add_f32 v[38:39], v[22:23], v[38:39]
	flat_store_b64 v[36:37], v[38:39]
.LBB531_18:                             ;   in Loop: Header=BB531_6 Depth=1
	s_and_not1_b32 vcc_lo, exec_lo, s29
	s_cbranch_vccnz .LBB531_20
; %bb.19:                               ;   in Loop: Header=BB531_6 Depth=1
	flat_store_b64 v[36:37], v[22:23]
.LBB531_20:                             ;   in Loop: Header=BB531_6 Depth=1
	s_wait_xcnt 0x0
	s_or_b32 exec_lo, exec_lo, s28
	s_and_saveexec_b32 s28, s34
	s_cbranch_execz .LBB531_25
; %bb.21:                               ;   in Loop: Header=BB531_6 Depth=1
	v_mov_b64_e32 v[22:23], s[4:5]
	v_mov_b64_e32 v[36:37], s[18:19]
	v_lshl_add_u64 v[20:21], v[14:15], 3, v[20:21]
	s_and_not1_b32 vcc_lo, exec_lo, s31
	s_mov_b32 s29, -1
	s_delay_alu instid0(VALU_DEP_3) | instskip(NEXT) | instid1(VALU_DEP_1)
	v_pk_mul_f32 v[22:23], v[34:35], v[22:23] op_sel_hi:[0,1]
	v_pk_fma_f32 v[34:35], v[32:33], v[36:37], v[22:23] op_sel_hi:[0,1,1]
	v_pk_fma_f32 v[22:23], v[32:33], v[36:37], v[22:23] neg_lo:[0,0,1] neg_hi:[0,0,1]
	s_delay_alu instid0(VALU_DEP_2)
	v_mov_b32_e32 v23, v35
	s_cbranch_vccnz .LBB531_23
; %bb.22:                               ;   in Loop: Header=BB531_6 Depth=1
	flat_load_b64 v[32:33], v[20:21]
	v_mov_b64_e32 v[34:35], s[24:25]
	v_mov_b64_e32 v[36:37], s[2:3]
	s_mov_b32 s29, 0
	s_wait_loadcnt_dscnt 0x0
	s_delay_alu instid0(VALU_DEP_2) | instskip(NEXT) | instid1(VALU_DEP_1)
	v_pk_mul_f32 v[34:35], v[32:33], v[34:35]
	v_pk_fma_f32 v[38:39], v[32:33], v[36:37], v[34:35] op_sel:[0,0,1] op_sel_hi:[1,1,0]
	v_pk_fma_f32 v[32:33], v[32:33], v[36:37], v[34:35] op_sel:[0,0,1] op_sel_hi:[1,1,0] neg_lo:[0,0,1] neg_hi:[0,0,1]
	s_delay_alu instid0(VALU_DEP_2) | instskip(NEXT) | instid1(VALU_DEP_1)
	v_mov_b32_e32 v33, v39
	v_pk_add_f32 v[32:33], v[22:23], v[32:33]
	flat_store_b64 v[20:21], v[32:33]
.LBB531_23:                             ;   in Loop: Header=BB531_6 Depth=1
	s_and_not1_b32 vcc_lo, exec_lo, s29
	s_cbranch_vccnz .LBB531_25
; %bb.24:                               ;   in Loop: Header=BB531_6 Depth=1
	flat_store_b64 v[20:21], v[22:23]
.LBB531_25:                             ;   in Loop: Header=BB531_6 Depth=1
	s_wait_xcnt 0x0
	s_or_b32 exec_lo, exec_lo, s28
	v_lshl_add_u64 v[18:19], v[12:13], 3, v[18:19]
	s_and_saveexec_b32 s28, s35
	s_cbranch_execz .LBB531_30
; %bb.26:                               ;   in Loop: Header=BB531_6 Depth=1
	v_mov_b64_e32 v[20:21], s[4:5]
	v_mov_b64_e32 v[22:23], s[18:19]
	s_and_not1_b32 vcc_lo, exec_lo, s31
	s_mov_b32 s29, -1
	s_delay_alu instid0(VALU_DEP_2) | instskip(NEXT) | instid1(VALU_DEP_1)
	v_pk_mul_f32 v[20:21], v[30:31], v[20:21] op_sel_hi:[0,1]
	v_pk_fma_f32 v[30:31], v[28:29], v[22:23], v[20:21] op_sel_hi:[0,1,1]
	v_pk_fma_f32 v[20:21], v[28:29], v[22:23], v[20:21] neg_lo:[0,0,1] neg_hi:[0,0,1]
	v_lshl_add_u64 v[22:23], v[8:9], 3, v[18:19]
	s_delay_alu instid0(VALU_DEP_3)
	v_mov_b32_e32 v21, v31
	s_cbranch_vccnz .LBB531_28
; %bb.27:                               ;   in Loop: Header=BB531_6 Depth=1
	flat_load_b64 v[28:29], v[22:23]
	v_mov_b64_e32 v[30:31], s[24:25]
	v_mov_b64_e32 v[32:33], s[2:3]
	s_mov_b32 s29, 0
	s_wait_loadcnt_dscnt 0x0
	s_delay_alu instid0(VALU_DEP_2) | instskip(NEXT) | instid1(VALU_DEP_1)
	v_pk_mul_f32 v[30:31], v[28:29], v[30:31]
	v_pk_fma_f32 v[34:35], v[28:29], v[32:33], v[30:31] op_sel:[0,0,1] op_sel_hi:[1,1,0]
	v_pk_fma_f32 v[28:29], v[28:29], v[32:33], v[30:31] op_sel:[0,0,1] op_sel_hi:[1,1,0] neg_lo:[0,0,1] neg_hi:[0,0,1]
	s_delay_alu instid0(VALU_DEP_2) | instskip(NEXT) | instid1(VALU_DEP_1)
	v_mov_b32_e32 v29, v35
	v_pk_add_f32 v[28:29], v[20:21], v[28:29]
	flat_store_b64 v[22:23], v[28:29]
.LBB531_28:                             ;   in Loop: Header=BB531_6 Depth=1
	s_and_not1_b32 vcc_lo, exec_lo, s29
	s_cbranch_vccnz .LBB531_30
; %bb.29:                               ;   in Loop: Header=BB531_6 Depth=1
	flat_store_b64 v[22:23], v[20:21]
.LBB531_30:                             ;   in Loop: Header=BB531_6 Depth=1
	s_wait_xcnt 0x0
	s_or_b32 exec_lo, exec_lo, s28
	s_and_saveexec_b32 s28, s36
	s_cbranch_execz .LBB531_5
; %bb.31:                               ;   in Loop: Header=BB531_6 Depth=1
	v_mov_b64_e32 v[20:21], s[4:5]
	v_mov_b64_e32 v[22:23], s[18:19]
	v_lshl_add_u64 v[18:19], v[14:15], 3, v[18:19]
	s_and_not1_b32 vcc_lo, exec_lo, s31
	s_mov_b32 s29, -1
	s_delay_alu instid0(VALU_DEP_3) | instskip(NEXT) | instid1(VALU_DEP_1)
	v_pk_mul_f32 v[20:21], v[26:27], v[20:21] op_sel_hi:[0,1]
	v_pk_fma_f32 v[28:29], v[24:25], v[22:23], v[20:21] op_sel_hi:[0,1,1]
	v_pk_fma_f32 v[20:21], v[24:25], v[22:23], v[20:21] neg_lo:[0,0,1] neg_hi:[0,0,1]
	s_delay_alu instid0(VALU_DEP_2)
	v_mov_b32_e32 v21, v29
	s_cbranch_vccnz .LBB531_33
; %bb.32:                               ;   in Loop: Header=BB531_6 Depth=1
	flat_load_b64 v[22:23], v[18:19]
	v_mov_b64_e32 v[28:29], s[24:25]
	v_mov_b64_e32 v[30:31], s[2:3]
	s_mov_b32 s29, 0
	s_wait_loadcnt_dscnt 0x0
	s_delay_alu instid0(VALU_DEP_2) | instskip(NEXT) | instid1(VALU_DEP_1)
	v_pk_mul_f32 v[28:29], v[22:23], v[28:29]
	v_pk_fma_f32 v[32:33], v[22:23], v[30:31], v[28:29] op_sel:[0,0,1] op_sel_hi:[1,1,0]
	v_pk_fma_f32 v[22:23], v[22:23], v[30:31], v[28:29] op_sel:[0,0,1] op_sel_hi:[1,1,0] neg_lo:[0,0,1] neg_hi:[0,0,1]
	s_delay_alu instid0(VALU_DEP_2) | instskip(NEXT) | instid1(VALU_DEP_1)
	v_mov_b32_e32 v23, v33
	v_pk_add_f32 v[22:23], v[20:21], v[22:23]
	flat_store_b64 v[18:19], v[22:23]
.LBB531_33:                             ;   in Loop: Header=BB531_6 Depth=1
	s_and_not1_b32 vcc_lo, exec_lo, s29
	s_cbranch_vccnz .LBB531_5
; %bb.34:                               ;   in Loop: Header=BB531_6 Depth=1
	flat_store_b64 v[18:19], v[20:21]
	s_branch .LBB531_5
.LBB531_35:
	s_sendmsg sendmsg(MSG_DEALLOC_VGPRS)
	s_endpgm
	.section	.rodata,"a",@progbits
	.p2align	6, 0x0
	.amdhsa_kernel _ZL29rocblas_internal_gemmt_kernelIlLi16ELi32ELi8ELc78ELc78ELc76ELb0ELb0E19rocblas_complex_numIfES1_PKPKS1_PKPS1_EviT_T9_T10_S9_lSB_S9_lSA_T11_S9_li
		.amdhsa_group_segment_fixed_size 4096
		.amdhsa_private_segment_fixed_size 0
		.amdhsa_kernarg_size 108
		.amdhsa_user_sgpr_count 2
		.amdhsa_user_sgpr_dispatch_ptr 0
		.amdhsa_user_sgpr_queue_ptr 0
		.amdhsa_user_sgpr_kernarg_segment_ptr 1
		.amdhsa_user_sgpr_dispatch_id 0
		.amdhsa_user_sgpr_kernarg_preload_length 0
		.amdhsa_user_sgpr_kernarg_preload_offset 0
		.amdhsa_user_sgpr_private_segment_size 0
		.amdhsa_wavefront_size32 1
		.amdhsa_uses_dynamic_stack 0
		.amdhsa_enable_private_segment 0
		.amdhsa_system_sgpr_workgroup_id_x 1
		.amdhsa_system_sgpr_workgroup_id_y 1
		.amdhsa_system_sgpr_workgroup_id_z 1
		.amdhsa_system_sgpr_workgroup_info 0
		.amdhsa_system_vgpr_workitem_id 1
		.amdhsa_next_free_vgpr 72
		.amdhsa_next_free_sgpr 40
		.amdhsa_named_barrier_count 0
		.amdhsa_reserve_vcc 1
		.amdhsa_float_round_mode_32 0
		.amdhsa_float_round_mode_16_64 0
		.amdhsa_float_denorm_mode_32 3
		.amdhsa_float_denorm_mode_16_64 3
		.amdhsa_fp16_overflow 0
		.amdhsa_memory_ordered 1
		.amdhsa_forward_progress 1
		.amdhsa_inst_pref_size 26
		.amdhsa_round_robin_scheduling 0
		.amdhsa_exception_fp_ieee_invalid_op 0
		.amdhsa_exception_fp_denorm_src 0
		.amdhsa_exception_fp_ieee_div_zero 0
		.amdhsa_exception_fp_ieee_overflow 0
		.amdhsa_exception_fp_ieee_underflow 0
		.amdhsa_exception_fp_ieee_inexact 0
		.amdhsa_exception_int_div_zero 0
	.end_amdhsa_kernel
	.section	.text._ZL29rocblas_internal_gemmt_kernelIlLi16ELi32ELi8ELc78ELc78ELc76ELb0ELb0E19rocblas_complex_numIfES1_PKPKS1_PKPS1_EviT_T9_T10_S9_lSB_S9_lSA_T11_S9_li,"axG",@progbits,_ZL29rocblas_internal_gemmt_kernelIlLi16ELi32ELi8ELc78ELc78ELc76ELb0ELb0E19rocblas_complex_numIfES1_PKPKS1_PKPS1_EviT_T9_T10_S9_lSB_S9_lSA_T11_S9_li,comdat
.Lfunc_end531:
	.size	_ZL29rocblas_internal_gemmt_kernelIlLi16ELi32ELi8ELc78ELc78ELc76ELb0ELb0E19rocblas_complex_numIfES1_PKPKS1_PKPS1_EviT_T9_T10_S9_lSB_S9_lSA_T11_S9_li, .Lfunc_end531-_ZL29rocblas_internal_gemmt_kernelIlLi16ELi32ELi8ELc78ELc78ELc76ELb0ELb0E19rocblas_complex_numIfES1_PKPKS1_PKPS1_EviT_T9_T10_S9_lSB_S9_lSA_T11_S9_li
                                        ; -- End function
	.set _ZL29rocblas_internal_gemmt_kernelIlLi16ELi32ELi8ELc78ELc78ELc76ELb0ELb0E19rocblas_complex_numIfES1_PKPKS1_PKPS1_EviT_T9_T10_S9_lSB_S9_lSA_T11_S9_li.num_vgpr, 72
	.set _ZL29rocblas_internal_gemmt_kernelIlLi16ELi32ELi8ELc78ELc78ELc76ELb0ELb0E19rocblas_complex_numIfES1_PKPKS1_PKPS1_EviT_T9_T10_S9_lSB_S9_lSA_T11_S9_li.num_agpr, 0
	.set _ZL29rocblas_internal_gemmt_kernelIlLi16ELi32ELi8ELc78ELc78ELc76ELb0ELb0E19rocblas_complex_numIfES1_PKPKS1_PKPS1_EviT_T9_T10_S9_lSB_S9_lSA_T11_S9_li.numbered_sgpr, 40
	.set _ZL29rocblas_internal_gemmt_kernelIlLi16ELi32ELi8ELc78ELc78ELc76ELb0ELb0E19rocblas_complex_numIfES1_PKPKS1_PKPS1_EviT_T9_T10_S9_lSB_S9_lSA_T11_S9_li.num_named_barrier, 0
	.set _ZL29rocblas_internal_gemmt_kernelIlLi16ELi32ELi8ELc78ELc78ELc76ELb0ELb0E19rocblas_complex_numIfES1_PKPKS1_PKPS1_EviT_T9_T10_S9_lSB_S9_lSA_T11_S9_li.private_seg_size, 0
	.set _ZL29rocblas_internal_gemmt_kernelIlLi16ELi32ELi8ELc78ELc78ELc76ELb0ELb0E19rocblas_complex_numIfES1_PKPKS1_PKPS1_EviT_T9_T10_S9_lSB_S9_lSA_T11_S9_li.uses_vcc, 1
	.set _ZL29rocblas_internal_gemmt_kernelIlLi16ELi32ELi8ELc78ELc78ELc76ELb0ELb0E19rocblas_complex_numIfES1_PKPKS1_PKPS1_EviT_T9_T10_S9_lSB_S9_lSA_T11_S9_li.uses_flat_scratch, 0
	.set _ZL29rocblas_internal_gemmt_kernelIlLi16ELi32ELi8ELc78ELc78ELc76ELb0ELb0E19rocblas_complex_numIfES1_PKPKS1_PKPS1_EviT_T9_T10_S9_lSB_S9_lSA_T11_S9_li.has_dyn_sized_stack, 0
	.set _ZL29rocblas_internal_gemmt_kernelIlLi16ELi32ELi8ELc78ELc78ELc76ELb0ELb0E19rocblas_complex_numIfES1_PKPKS1_PKPS1_EviT_T9_T10_S9_lSB_S9_lSA_T11_S9_li.has_recursion, 0
	.set _ZL29rocblas_internal_gemmt_kernelIlLi16ELi32ELi8ELc78ELc78ELc76ELb0ELb0E19rocblas_complex_numIfES1_PKPKS1_PKPS1_EviT_T9_T10_S9_lSB_S9_lSA_T11_S9_li.has_indirect_call, 0
	.section	.AMDGPU.csdata,"",@progbits
; Kernel info:
; codeLenInByte = 3224
; TotalNumSgprs: 42
; NumVgprs: 72
; ScratchSize: 0
; MemoryBound: 0
; FloatMode: 240
; IeeeMode: 1
; LDSByteSize: 4096 bytes/workgroup (compile time only)
; SGPRBlocks: 0
; VGPRBlocks: 4
; NumSGPRsForWavesPerEU: 42
; NumVGPRsForWavesPerEU: 72
; NamedBarCnt: 0
; Occupancy: 12
; WaveLimiterHint : 1
; COMPUTE_PGM_RSRC2:SCRATCH_EN: 0
; COMPUTE_PGM_RSRC2:USER_SGPR: 2
; COMPUTE_PGM_RSRC2:TRAP_HANDLER: 0
; COMPUTE_PGM_RSRC2:TGID_X_EN: 1
; COMPUTE_PGM_RSRC2:TGID_Y_EN: 1
; COMPUTE_PGM_RSRC2:TGID_Z_EN: 1
; COMPUTE_PGM_RSRC2:TIDIG_COMP_CNT: 1
	.section	.text._ZL29rocblas_internal_gemmt_kernelIlLi16ELi32ELi8ELc78ELc84ELc76ELb0ELb0E19rocblas_complex_numIfES1_PKPKS1_PKPS1_EviT_T9_T10_S9_lSB_S9_lSA_T11_S9_li,"axG",@progbits,_ZL29rocblas_internal_gemmt_kernelIlLi16ELi32ELi8ELc78ELc84ELc76ELb0ELb0E19rocblas_complex_numIfES1_PKPKS1_PKPS1_EviT_T9_T10_S9_lSB_S9_lSA_T11_S9_li,comdat
	.globl	_ZL29rocblas_internal_gemmt_kernelIlLi16ELi32ELi8ELc78ELc84ELc76ELb0ELb0E19rocblas_complex_numIfES1_PKPKS1_PKPS1_EviT_T9_T10_S9_lSB_S9_lSA_T11_S9_li ; -- Begin function _ZL29rocblas_internal_gemmt_kernelIlLi16ELi32ELi8ELc78ELc84ELc76ELb0ELb0E19rocblas_complex_numIfES1_PKPKS1_PKPS1_EviT_T9_T10_S9_lSB_S9_lSA_T11_S9_li
	.p2align	8
	.type	_ZL29rocblas_internal_gemmt_kernelIlLi16ELi32ELi8ELc78ELc84ELc76ELb0ELb0E19rocblas_complex_numIfES1_PKPKS1_PKPS1_EviT_T9_T10_S9_lSB_S9_lSA_T11_S9_li,@function
_ZL29rocblas_internal_gemmt_kernelIlLi16ELi32ELi8ELc78ELc84ELc76ELb0ELb0E19rocblas_complex_numIfES1_PKPKS1_PKPS1_EviT_T9_T10_S9_lSB_S9_lSA_T11_S9_li: ; @_ZL29rocblas_internal_gemmt_kernelIlLi16ELi32ELi8ELc78ELc84ELc76ELb0ELb0E19rocblas_complex_numIfES1_PKPKS1_PKPS1_EviT_T9_T10_S9_lSB_S9_lSA_T11_S9_li
; %bb.0:
	s_clause 0x1
	s_load_b64 s[6:7], s[0:1], 0x48
	s_load_b128 s[16:19], s[0:1], 0x8
	s_wait_kmcnt 0x0
	s_cmp_neq_f32 s6, 1.0
	s_cselect_b32 s3, -1, 0
	s_and_b32 s4, s7, 0x7fffffff
	s_delay_alu instid0(SALU_CYCLE_1) | instskip(SKIP_3) | instid1(SALU_CYCLE_1)
	s_cmp_eq_u32 s4, 0
	s_cselect_b32 s2, -1, 0
	s_cmp_lg_u32 s4, 0
	s_cselect_b32 s4, -1, 0
	s_or_b32 s3, s3, s4
	s_delay_alu instid0(SALU_CYCLE_1)
	s_and_b32 vcc_lo, exec_lo, s3
	s_cbranch_vccnz .LBB532_2
; %bb.1:
	s_cmp_lg_u64 s[16:17], 0
	s_cselect_b32 s3, -1, 0
	s_cmp_neq_f32 s18, 0
	s_cselect_b32 s4, -1, 0
	s_cmp_neq_f32 s19, 0
	s_cselect_b32 s5, -1, 0
	s_delay_alu instid0(SALU_CYCLE_1) | instskip(NEXT) | instid1(SALU_CYCLE_1)
	s_or_b32 s4, s4, s5
	s_and_b32 s3, s3, s4
.LBB532_2:
	s_delay_alu instid0(SALU_CYCLE_1)
	s_and_not1_b32 vcc_lo, exec_lo, s3
	s_cbranch_vccnz .LBB532_35
; %bb.3:
	s_load_b32 s33, s[0:1], 0x68
	s_bfe_u32 s3, ttmp6, 0x40014
	s_lshr_b32 s4, ttmp7, 16
	s_add_co_i32 s3, s3, 1
	s_bfe_u32 s8, ttmp6, 0x40008
	s_mul_i32 s5, s4, s3
	s_getreg_b32 s3, hwreg(HW_REG_IB_STS2, 6, 4)
	s_add_co_i32 s8, s8, s5
	s_cmp_eq_u32 s3, 0
	s_mov_b32 s29, 0
	s_cselect_b32 s28, s4, s8
	s_wait_kmcnt 0x0
	s_cmp_ge_u32 s28, s33
	s_cbranch_scc1 .LBB532_35
; %bb.4:
	v_and_b32_e32 v9, 0x3ff, v0
	v_bfe_u32 v15, v0, 10, 10
	s_bfe_u32 s8, ttmp6, 0x4000c
	s_bfe_u32 s9, ttmp6, 0x40010
	s_and_b32 s20, ttmp7, 0xffff
	s_add_co_i32 s8, s8, 1
	s_add_co_i32 s9, s9, 1
	s_and_b32 s5, ttmp6, 15
	v_lshl_add_u32 v1, v15, 4, v9
	s_mul_i32 s8, ttmp9, s8
	s_mul_i32 s9, s20, s9
	s_bfe_u32 s10, ttmp6, 0x40004
	s_add_co_i32 s5, s5, s8
	s_add_co_i32 s21, s10, s9
	s_cmp_eq_u32 s3, 0
	v_dual_lshrrev_b32 v2, 5, v1 :: v_dual_bitop2_b32 v0, 7, v0 bitop3:0x40
	s_cselect_b32 s3, ttmp9, s5
	s_cselect_b32 s5, s20, s21
	v_dual_lshrrev_b32 v3, 3, v1 :: v_dual_bitop2_b32 v1, 31, v1 bitop3:0x40
	s_clause 0x1
	s_load_b128 s[20:23], s[0:1], 0x38
	s_load_b128 s[24:27], s[0:1], 0x50
	s_lshl_b32 s3, s3, 5
	s_lshl_b32 s5, s5, 5
	s_load_b32 s4, s[0:1], 0x0
	v_dual_add_nc_u32 v6, s5, v3 :: v_dual_bitop2_b32 v4, s3, v1 bitop3:0x54
	v_dual_lshlrev_b32 v1, 3, v1 :: v_dual_add_nc_u32 v16, s5, v15
	s_cmp_neq_f32 s18, 0
	s_clause 0x1
	s_load_b256 s[8:15], s[0:1], 0x18
	s_load_b64 s[30:31], s[0:1], 0x60
	v_dual_add_nc_u32 v8, s3, v9 :: v_dual_add_nc_u32 v18, 16, v16
	v_ashrrev_i32_e32 v17, 31, v16
	v_lshlrev_b32_e32 v5, 3, v0
	s_cselect_b32 s34, -1, 0
	s_cmp_neq_f32 s19, 0
	v_dual_ashrrev_i32 v19, 31, v18 :: v_dual_add_nc_u32 v14, 16, v8
	s_delay_alu instid0(VALU_DEP_2)
	v_lshl_or_b32 v3, v3, 6, v5
	s_wait_kmcnt 0x0
	v_mul_u64_e32 v[10:11], s[26:27], v[16:17]
	s_cselect_b32 s0, -1, 0
	v_mul_u64_e32 v[12:13], s[26:27], v[18:19]
	s_or_b32 s39, s34, s0
	v_ashrrev_i32_e32 v5, 31, v4
	s_cmp_neq_f32 s6, 0
	v_cmp_le_i32_e32 vcc_lo, v16, v8
	v_cmp_gt_i64_e64 s40, s[16:17], 0
	v_cmp_gt_i32_e64 s0, s4, v4
	s_cselect_b32 s3, -1, 0
	s_xor_b32 s5, s2, -1
	v_cmp_gt_i32_e64 s2, s4, v8
	v_cmp_gt_i32_e64 s1, s4, v6
	v_dual_ashrrev_i32 v7, 31, v6 :: v_dual_lshlrev_b32 v25, 3, v9
	s_or_b32 s34, s3, s5
	s_and_b32 s35, vcc_lo, s2
	v_cmp_le_i32_e32 vcc_lo, v18, v8
	v_ashrrev_i32_e32 v9, 31, v8
	v_cmp_le_i32_e64 s3, v16, v14
	v_cmp_gt_i32_e64 s4, s4, v14
	v_cmp_le_i32_e64 s5, v18, v14
	v_lshl_or_b32 v1, v2, 8, v1
	v_add_nc_u32_e32 v3, 0x800, v3
	v_lshl_add_u32 v27, v15, 6, 0x800
	v_dual_ashrrev_i32 v15, 31, v14 :: v_dual_mov_b32 v17, 0
	s_and_b32 s36, s3, s4
	s_and_b32 s37, vcc_lo, s2
	s_and_b32 s38, s5, s4
	s_mov_b32 s2, s6
	s_mov_b32 s3, s6
	;; [unrolled: 1-line block ×5, first 2 shown]
	s_and_b32 s39, s39, s40
	s_lshl_b64 s[22:23], s[22:23], 3
	s_lshl_b64 s[12:13], s[12:13], 3
	s_lshl_b64 s[26:27], s[30:31], 3
	s_branch .LBB532_6
.LBB532_5:                              ;   in Loop: Header=BB532_6 Depth=1
	s_wait_xcnt 0x0
	s_or_b32 exec_lo, exec_lo, s30
	s_add_co_i32 s28, s28, 0x10000
	s_delay_alu instid0(SALU_CYCLE_1)
	s_cmp_lt_u32 s28, s33
	s_cbranch_scc0 .LBB532_35
.LBB532_6:                              ; =>This Loop Header: Depth=1
                                        ;     Child Loop BB532_9 Depth 2
	v_dual_mov_b32 v16, s28 :: v_dual_mov_b32 v36, v17
	v_dual_mov_b32 v38, v17 :: v_dual_mov_b32 v32, v17
	;; [unrolled: 1-line block ×3, first 2 shown]
	global_load_b64 v[18:19], v16, s[24:25] scale_offset
	v_dual_mov_b32 v30, v17 :: v_dual_mov_b32 v24, v17
	v_mov_b32_e32 v26, v17
	s_and_not1_b32 vcc_lo, exec_lo, s39
	s_cbranch_vccnz .LBB532_15
; %bb.7:                                ;   in Loop: Header=BB532_6 Depth=1
	s_lshl_b64 s[30:31], s[28:29], 3
	v_dual_mov_b32 v26, 0 :: v_dual_mov_b32 v24, 0
	s_add_nc_u64 s[40:41], s[8:9], s[30:31]
	s_add_nc_u64 s[30:31], s[14:15], s[30:31]
	s_clause 0x1
	global_load_b64 v[20:21], v17, s[40:41]
	global_load_b64 v[22:23], v17, s[30:31]
	v_dual_mov_b32 v30, 0 :: v_dual_mov_b32 v28, 0
	v_dual_mov_b32 v34, 0 :: v_dual_mov_b32 v32, 0
	;; [unrolled: 1-line block ×3, first 2 shown]
	s_wait_xcnt 0x0
	s_mov_b64 s[30:31], 0
	s_wait_loadcnt 0x1
	v_add_nc_u64_e32 v[20:21], s[12:13], v[20:21]
	s_wait_loadcnt 0x0
	v_add_nc_u64_e32 v[22:23], s[22:23], v[22:23]
	s_delay_alu instid0(VALU_DEP_2) | instskip(NEXT) | instid1(VALU_DEP_2)
	v_lshl_add_u64 v[20:21], v[4:5], 3, v[20:21]
	v_lshl_add_u64 v[22:23], v[6:7], 3, v[22:23]
	s_branch .LBB532_9
.LBB532_8:                              ;   in Loop: Header=BB532_9 Depth=2
	s_wait_xcnt 0x0
	s_or_b32 exec_lo, exec_lo, s40
	s_wait_loadcnt_dscnt 0x0
	ds_store_b64 v3, v[42:43]
	s_wait_dscnt 0x0
	s_barrier_signal -1
	s_barrier_wait -1
	ds_load_b128 v[40:43], v27
	ds_load_2addr_b64 v[44:47], v25 offset1:16
	ds_load_b128 v[48:51], v27 offset:1024
	ds_load_b128 v[52:55], v27 offset:16
	;; [unrolled: 1-line block ×4, first 2 shown]
	ds_load_2addr_b64 v[64:67], v25 offset0:32 offset1:48
	ds_load_b128 v[68:71], v27 offset:1040
	s_add_nc_u64 s[30:31], s[30:31], 8
	s_delay_alu instid0(SALU_CYCLE_1)
	v_cmp_gt_i64_e64 s40, s[16:17], s[30:31]
	s_and_b32 vcc_lo, exec_lo, s40
	s_wait_dscnt 0x6
	v_dual_mul_f32 v16, v41, v45 :: v_dual_mul_f32 v29, v40, v45
	v_dual_mul_f32 v31, v41, v47 :: v_dual_mul_f32 v33, v40, v47
	s_wait_dscnt 0x5
	v_dual_mul_f32 v35, v49, v45 :: v_dual_mul_f32 v37, v48, v45
	v_dual_mul_f32 v39, v49, v47 :: v_dual_mul_f32 v45, v48, v47
	v_dual_fma_f32 v16, v40, v44, -v16 :: v_dual_fmac_f32 v29, v41, v44
	v_dual_fma_f32 v31, v40, v46, -v31 :: v_dual_fmac_f32 v33, v41, v46
	s_delay_alu instid0(VALU_DEP_4) | instskip(NEXT) | instid1(VALU_DEP_3)
	v_dual_fma_f32 v35, v48, v44, -v35 :: v_dual_fmac_f32 v37, v49, v44
	v_dual_add_f32 v16, v36, v16 :: v_dual_add_f32 v36, v38, v29
	v_fma_f32 v29, v48, v46, -v39
	s_delay_alu instid0(VALU_DEP_4) | instskip(NEXT) | instid1(VALU_DEP_4)
	v_dual_add_f32 v32, v32, v31 :: v_dual_add_f32 v33, v34, v33
	v_dual_add_f32 v34, v28, v35 :: v_dual_add_f32 v35, v30, v37
	s_wait_dscnt 0x1
	v_dual_mul_f32 v37, v43, v65 :: v_dual_fmac_f32 v45, v49, v46
	v_add_f32_e32 v24, v24, v29
	ds_load_2addr_b64 v[28:31], v25 offset0:64 offset1:80
	v_dual_mul_f32 v38, v42, v65 :: v_dual_fma_f32 v37, v42, v64, -v37
	v_dual_mul_f32 v39, v43, v67 :: v_dual_add_f32 v26, v26, v45
	s_delay_alu instid0(VALU_DEP_2) | instskip(NEXT) | instid1(VALU_DEP_2)
	v_dual_mul_f32 v40, v42, v67 :: v_dual_fmac_f32 v38, v43, v64
	v_dual_add_f32 v16, v16, v37 :: v_dual_fma_f32 v37, v42, v66, -v39
	v_mul_f32_e32 v39, v51, v65
	s_delay_alu instid0(VALU_DEP_3) | instskip(NEXT) | instid1(VALU_DEP_4)
	v_fmac_f32_e32 v40, v43, v66
	v_dual_add_f32 v36, v36, v38 :: v_dual_mul_f32 v38, v50, v65
	s_delay_alu instid0(VALU_DEP_3) | instskip(NEXT) | instid1(VALU_DEP_3)
	v_dual_add_f32 v37, v32, v37 :: v_dual_fma_f32 v32, v50, v64, -v39
	v_dual_mul_f32 v39, v51, v67 :: v_dual_add_f32 v40, v33, v40
	s_delay_alu instid0(VALU_DEP_3) | instskip(SKIP_1) | instid1(VALU_DEP_3)
	v_dual_fmac_f32 v38, v51, v64 :: v_dual_mul_f32 v41, v50, v67
	s_wait_dscnt 0x0
	v_dual_add_f32 v42, v34, v32 :: v_dual_mul_f32 v33, v53, v29
	s_delay_alu instid0(VALU_DEP_3) | instskip(NEXT) | instid1(VALU_DEP_3)
	v_fma_f32 v32, v50, v66, -v39
	v_dual_add_f32 v38, v35, v38 :: v_dual_mul_f32 v39, v52, v29
	v_fmac_f32_e32 v41, v51, v66
	s_delay_alu instid0(VALU_DEP_4) | instskip(NEXT) | instid1(VALU_DEP_4)
	v_fma_f32 v43, v52, v28, -v33
	v_dual_add_f32 v24, v24, v32 :: v_dual_mul_f32 v44, v53, v31
	ds_load_2addr_b64 v[32:35], v25 offset0:96 offset1:112
	v_dual_fmac_f32 v39, v53, v28 :: v_dual_add_f32 v26, v26, v41
	v_add_f32_e32 v16, v16, v43
	v_dual_mul_f32 v41, v52, v31 :: v_dual_fma_f32 v43, v52, v30, -v44
	s_delay_alu instid0(VALU_DEP_3) | instskip(NEXT) | instid1(VALU_DEP_2)
	v_dual_add_f32 v36, v36, v39 :: v_dual_mul_f32 v39, v69, v29
	v_dual_mul_f32 v29, v68, v29 :: v_dual_fmac_f32 v41, v53, v30
	s_delay_alu instid0(VALU_DEP_3) | instskip(NEXT) | instid1(VALU_DEP_3)
	v_add_f32_e32 v37, v37, v43
	v_dual_mul_f32 v43, v69, v31 :: v_dual_fma_f32 v39, v68, v28, -v39
	s_delay_alu instid0(VALU_DEP_3) | instskip(NEXT) | instid1(VALU_DEP_4)
	v_dual_fmac_f32 v29, v69, v28 :: v_dual_mul_f32 v44, v68, v31
	v_add_f32_e32 v40, v40, v41
	s_delay_alu instid0(VALU_DEP_3) | instskip(NEXT) | instid1(VALU_DEP_3)
	v_dual_fma_f32 v28, v68, v30, -v43 :: v_dual_add_f32 v41, v42, v39
	v_dual_add_f32 v42, v38, v29 :: v_dual_fmac_f32 v44, v69, v30
	s_wait_dscnt 0x0
	s_delay_alu instid0(VALU_DEP_2) | instskip(SKIP_2) | instid1(VALU_DEP_1)
	v_dual_mul_f32 v38, v55, v33 :: v_dual_add_f32 v24, v24, v28
	ds_load_2addr_b64 v[28:31], v25 offset0:128 offset1:144
	v_dual_mul_f32 v39, v54, v33 :: v_dual_mul_f32 v43, v55, v35
	v_dual_fma_f32 v38, v54, v32, -v38 :: v_dual_fmac_f32 v39, v55, v32
	s_delay_alu instid0(VALU_DEP_1) | instskip(NEXT) | instid1(VALU_DEP_3)
	v_dual_add_f32 v26, v26, v44 :: v_dual_add_f32 v16, v16, v38
	v_dual_mul_f32 v44, v54, v35 :: v_dual_fma_f32 v43, v54, v34, -v43
	s_delay_alu instid0(VALU_DEP_3) | instskip(NEXT) | instid1(VALU_DEP_2)
	v_dual_mul_f32 v38, v71, v33 :: v_dual_add_f32 v45, v36, v39
	v_dual_mul_f32 v33, v70, v33 :: v_dual_fmac_f32 v44, v55, v34
	s_delay_alu instid0(VALU_DEP_2)
	v_dual_add_f32 v46, v37, v43 :: v_dual_fma_f32 v43, v70, v32, -v38
	v_mul_f32_e32 v47, v71, v35
	ds_load_b128 v[36:39], v27 offset:1056
	v_add_f32_e32 v44, v40, v44
	v_dual_fmac_f32 v33, v71, v32 :: v_dual_mul_f32 v40, v70, v35
	v_dual_fma_f32 v32, v70, v34, -v47 :: v_dual_add_f32 v47, v41, v43
	s_wait_dscnt 0x1
	v_mul_f32_e32 v35, v57, v29
	s_delay_alu instid0(VALU_DEP_3) | instskip(NEXT) | instid1(VALU_DEP_3)
	v_dual_add_f32 v48, v42, v33 :: v_dual_fmac_f32 v40, v71, v34
	v_add_f32_e32 v24, v24, v32
	s_delay_alu instid0(VALU_DEP_3) | instskip(NEXT) | instid1(VALU_DEP_3)
	v_dual_mul_f32 v49, v56, v29 :: v_dual_fma_f32 v41, v56, v28, -v35
	v_dual_mul_f32 v42, v57, v31 :: v_dual_add_f32 v26, v26, v40
	ds_load_2addr_b64 v[32:35], v25 offset0:160 offset1:176
	v_dual_fmac_f32 v49, v57, v28 :: v_dual_add_f32 v16, v16, v41
	v_dual_fma_f32 v50, v56, v30, -v42 :: v_dual_mul_f32 v51, v56, v31
	ds_load_b128 v[40:43], v27 offset:1072
	s_wait_dscnt 0x2
	v_dual_mul_f32 v52, v37, v29 :: v_dual_mul_f32 v29, v36, v29
	v_dual_add_f32 v45, v45, v49 :: v_dual_add_f32 v46, v46, v50
	s_delay_alu instid0(VALU_DEP_2) | instskip(NEXT) | instid1(VALU_DEP_3)
	v_dual_fmac_f32 v51, v57, v30 :: v_dual_fma_f32 v49, v36, v28, -v52
	v_dual_mul_f32 v50, v37, v31 :: v_dual_fmac_f32 v29, v37, v28
	s_delay_alu instid0(VALU_DEP_2) | instskip(NEXT) | instid1(VALU_DEP_2)
	v_dual_add_f32 v44, v44, v51 :: v_dual_add_f32 v47, v47, v49
	v_dual_mul_f32 v51, v36, v31 :: v_dual_fma_f32 v28, v36, v30, -v50
	s_delay_alu instid0(VALU_DEP_3) | instskip(SKIP_2) | instid1(VALU_DEP_3)
	v_add_f32_e32 v36, v48, v29
	s_wait_dscnt 0x1
	v_dual_mul_f32 v48, v59, v33 :: v_dual_mul_f32 v49, v59, v35
	v_dual_fmac_f32 v51, v37, v30 :: v_dual_add_f32 v24, v24, v28
	ds_load_2addr_b64 v[28:31], v25 offset0:192 offset1:208
	v_dual_mul_f32 v37, v58, v33 :: v_dual_fma_f32 v48, v58, v32, -v48
	s_delay_alu instid0(VALU_DEP_1) | instskip(NEXT) | instid1(VALU_DEP_2)
	v_dual_mul_f32 v50, v58, v35 :: v_dual_fmac_f32 v37, v59, v32
	v_dual_add_f32 v26, v26, v51 :: v_dual_add_f32 v16, v16, v48
	s_delay_alu instid0(VALU_DEP_2) | instskip(NEXT) | instid1(VALU_DEP_3)
	v_dual_fma_f32 v48, v58, v34, -v49 :: v_dual_fmac_f32 v50, v59, v34
	v_add_f32_e32 v37, v45, v37
	v_dual_mul_f32 v45, v39, v33 :: v_dual_mul_f32 v33, v38, v33
	s_delay_alu instid0(VALU_DEP_3) | instskip(NEXT) | instid1(VALU_DEP_2)
	v_dual_add_f32 v48, v46, v48 :: v_dual_mul_f32 v46, v39, v35
	v_dual_add_f32 v49, v44, v50 :: v_dual_fma_f32 v45, v38, v32, -v45
	s_delay_alu instid0(VALU_DEP_3) | instskip(SKIP_1) | instid1(VALU_DEP_3)
	v_dual_fmac_f32 v33, v39, v32 :: v_dual_mul_f32 v32, v38, v35
	s_wait_dscnt 0x0
	v_dual_fma_f32 v35, v38, v34, -v46 :: v_dual_mul_f32 v44, v61, v29
	s_delay_alu instid0(VALU_DEP_3) | instskip(NEXT) | instid1(VALU_DEP_3)
	v_add_f32_e32 v38, v47, v45
	v_dual_fmac_f32 v32, v39, v34 :: v_dual_mul_f32 v34, v60, v29
	s_delay_alu instid0(VALU_DEP_3) | instskip(NEXT) | instid1(VALU_DEP_4)
	v_add_f32_e32 v24, v24, v35
	v_fma_f32 v35, v60, v28, -v44
	ds_load_2addr_b64 v[44:47], v25 offset0:224 offset1:240
	v_dual_add_f32 v33, v36, v33 :: v_dual_add_f32 v26, v26, v32
	v_dual_mul_f32 v32, v61, v31 :: v_dual_fmac_f32 v34, v61, v28
	v_dual_add_f32 v16, v16, v35 :: v_dual_mul_f32 v36, v41, v29
	s_delay_alu instid0(VALU_DEP_2) | instskip(NEXT) | instid1(VALU_DEP_3)
	v_dual_mul_f32 v35, v60, v31 :: v_dual_fma_f32 v32, v60, v30, -v32
	v_dual_mul_f32 v29, v40, v29 :: v_dual_add_f32 v34, v37, v34
	s_delay_alu instid0(VALU_DEP_2) | instskip(NEXT) | instid1(VALU_DEP_3)
	v_dual_fma_f32 v36, v40, v28, -v36 :: v_dual_fmac_f32 v35, v61, v30
	v_add_f32_e32 v32, v48, v32
	s_delay_alu instid0(VALU_DEP_3) | instskip(SKIP_1) | instid1(VALU_DEP_4)
	v_dual_fmac_f32 v29, v41, v28 :: v_dual_mul_f32 v28, v41, v31
	v_mul_f32_e32 v31, v40, v31
	v_dual_add_f32 v35, v49, v35 :: v_dual_add_f32 v37, v38, v36
	s_delay_alu instid0(VALU_DEP_3) | instskip(SKIP_3) | instid1(VALU_DEP_3)
	v_dual_add_f32 v29, v33, v29 :: v_dual_fma_f32 v28, v40, v30, -v28
	s_wait_dscnt 0x0
	v_dual_mul_f32 v33, v63, v45 :: v_dual_mul_f32 v38, v62, v45
	v_dual_fmac_f32 v31, v41, v30 :: v_dual_mul_f32 v30, v63, v47
	v_add_f32_e32 v24, v24, v28
	s_delay_alu instid0(VALU_DEP_3) | instskip(NEXT) | instid1(VALU_DEP_3)
	v_dual_fma_f32 v28, v62, v44, -v33 :: v_dual_fmac_f32 v38, v63, v44
	v_dual_mul_f32 v33, v62, v47 :: v_dual_fma_f32 v30, v62, v46, -v30
	s_delay_alu instid0(VALU_DEP_2) | instskip(NEXT) | instid1(VALU_DEP_3)
	v_dual_add_f32 v26, v26, v31 :: v_dual_add_f32 v36, v16, v28
	v_dual_add_f32 v38, v34, v38 :: v_dual_mul_f32 v16, v43, v45
	s_delay_alu instid0(VALU_DEP_3) | instskip(NEXT) | instid1(VALU_DEP_4)
	v_fmac_f32_e32 v33, v63, v46
	v_dual_add_f32 v32, v32, v30 :: v_dual_mul_f32 v28, v43, v47
	v_dual_mul_f32 v30, v42, v45 :: v_dual_mul_f32 v31, v42, v47
	s_delay_alu instid0(VALU_DEP_3) | instskip(NEXT) | instid1(VALU_DEP_2)
	v_dual_add_f32 v34, v35, v33 :: v_dual_fma_f32 v16, v42, v44, -v16
	v_dual_fma_f32 v33, v42, v46, -v28 :: v_dual_fmac_f32 v30, v43, v44
	s_delay_alu instid0(VALU_DEP_3) | instskip(NEXT) | instid1(VALU_DEP_2)
	v_fmac_f32_e32 v31, v43, v46
	v_dual_add_f32 v28, v37, v16 :: v_dual_add_f32 v24, v24, v33
	s_delay_alu instid0(VALU_DEP_2)
	v_dual_add_f32 v30, v29, v30 :: v_dual_add_f32 v26, v26, v31
	s_barrier_signal -1
	s_barrier_wait -1
	s_cbranch_vccz .LBB532_15
.LBB532_9:                              ;   Parent Loop BB532_6 Depth=1
                                        ; =>  This Inner Loop Header: Depth=2
	v_dual_mov_b32 v40, 0 :: v_dual_mov_b32 v41, 0
	s_and_saveexec_b32 s40, s0
	s_cbranch_execz .LBB532_13
; %bb.10:                               ;   in Loop: Header=BB532_9 Depth=2
	v_dual_mov_b32 v41, 0 :: v_dual_add_nc_u32 v16, s30, v2
	v_mov_b32_e32 v40, 0
	s_mov_b32 s41, exec_lo
	s_delay_alu instid0(VALU_DEP_2)
	v_cmpx_gt_u64_e64 s[16:17], v[16:17]
	s_cbranch_execz .LBB532_12
; %bb.11:                               ;   in Loop: Header=BB532_9 Depth=2
	v_mul_u64_e32 v[40:41], s[10:11], v[16:17]
	s_delay_alu instid0(VALU_DEP_1)
	v_lshl_add_u64 v[40:41], v[40:41], 3, v[20:21]
	flat_load_b64 v[40:41], v[40:41]
.LBB532_12:                             ;   in Loop: Header=BB532_9 Depth=2
	s_wait_xcnt 0x0
	s_or_b32 exec_lo, exec_lo, s41
.LBB532_13:                             ;   in Loop: Header=BB532_9 Depth=2
	s_delay_alu instid0(SALU_CYCLE_1)
	s_or_b32 exec_lo, exec_lo, s40
	v_dual_add_nc_u32 v16, s30, v0 :: v_dual_mov_b32 v42, 0
	v_mov_b32_e32 v43, 0
	s_wait_loadcnt_dscnt 0x0
	ds_store_b64 v1, v[40:41]
	v_cmp_gt_u64_e32 vcc_lo, s[16:17], v[16:17]
	s_and_b32 s41, vcc_lo, s1
	s_delay_alu instid0(SALU_CYCLE_1)
	s_and_saveexec_b32 s40, s41
	s_cbranch_execz .LBB532_8
; %bb.14:                               ;   in Loop: Header=BB532_9 Depth=2
	v_mul_u64_e32 v[40:41], s[20:21], v[16:17]
	s_delay_alu instid0(VALU_DEP_1)
	v_lshl_add_u64 v[40:41], v[40:41], 3, v[22:23]
	flat_load_b64 v[42:43], v[40:41]
	s_branch .LBB532_8
.LBB532_15:                             ;   in Loop: Header=BB532_6 Depth=1
	s_wait_loadcnt 0x0
	v_add_nc_u64_e32 v[18:19], s[26:27], v[18:19]
	s_delay_alu instid0(VALU_DEP_1)
	v_lshl_add_u64 v[20:21], v[10:11], 3, v[18:19]
	s_wait_xcnt 0x0
	s_and_saveexec_b32 s30, s35
	s_cbranch_execz .LBB532_20
; %bb.16:                               ;   in Loop: Header=BB532_6 Depth=1
	v_mov_b64_e32 v[22:23], s[4:5]
	v_mov_b64_e32 v[40:41], s[18:19]
	s_and_b32 vcc_lo, exec_lo, s34
	s_mov_b32 s31, -1
	s_delay_alu instid0(VALU_DEP_2) | instskip(NEXT) | instid1(VALU_DEP_1)
	v_pk_mul_f32 v[22:23], v[38:39], v[22:23] op_sel_hi:[0,1]
	v_pk_fma_f32 v[38:39], v[36:37], v[40:41], v[22:23] op_sel_hi:[0,1,1]
	v_pk_fma_f32 v[22:23], v[36:37], v[40:41], v[22:23] neg_lo:[0,0,1] neg_hi:[0,0,1]
	v_lshl_add_u64 v[36:37], v[8:9], 3, v[20:21]
	s_delay_alu instid0(VALU_DEP_3)
	v_mov_b32_e32 v23, v39
	s_cbranch_vccz .LBB532_18
; %bb.17:                               ;   in Loop: Header=BB532_6 Depth=1
	flat_load_b64 v[38:39], v[36:37]
	v_mov_b64_e32 v[40:41], s[6:7]
	v_mov_b64_e32 v[42:43], s[2:3]
	s_mov_b32 s31, 0
	s_wait_loadcnt_dscnt 0x0
	s_delay_alu instid0(VALU_DEP_2) | instskip(NEXT) | instid1(VALU_DEP_1)
	v_pk_mul_f32 v[40:41], v[38:39], v[40:41]
	v_pk_fma_f32 v[44:45], v[38:39], v[42:43], v[40:41] op_sel:[0,0,1] op_sel_hi:[1,1,0]
	v_pk_fma_f32 v[38:39], v[38:39], v[42:43], v[40:41] op_sel:[0,0,1] op_sel_hi:[1,1,0] neg_lo:[0,0,1] neg_hi:[0,0,1]
	s_delay_alu instid0(VALU_DEP_2) | instskip(NEXT) | instid1(VALU_DEP_1)
	v_mov_b32_e32 v39, v45
	v_pk_add_f32 v[38:39], v[22:23], v[38:39]
	flat_store_b64 v[36:37], v[38:39]
.LBB532_18:                             ;   in Loop: Header=BB532_6 Depth=1
	s_and_not1_b32 vcc_lo, exec_lo, s31
	s_cbranch_vccnz .LBB532_20
; %bb.19:                               ;   in Loop: Header=BB532_6 Depth=1
	flat_store_b64 v[36:37], v[22:23]
.LBB532_20:                             ;   in Loop: Header=BB532_6 Depth=1
	s_wait_xcnt 0x0
	s_or_b32 exec_lo, exec_lo, s30
	s_and_saveexec_b32 s30, s36
	s_cbranch_execz .LBB532_25
; %bb.21:                               ;   in Loop: Header=BB532_6 Depth=1
	v_mov_b64_e32 v[22:23], s[4:5]
	v_mov_b64_e32 v[36:37], s[18:19]
	v_lshl_add_u64 v[20:21], v[14:15], 3, v[20:21]
	s_and_not1_b32 vcc_lo, exec_lo, s34
	s_mov_b32 s31, -1
	s_delay_alu instid0(VALU_DEP_3) | instskip(NEXT) | instid1(VALU_DEP_1)
	v_pk_mul_f32 v[22:23], v[34:35], v[22:23] op_sel_hi:[0,1]
	v_pk_fma_f32 v[34:35], v[32:33], v[36:37], v[22:23] op_sel_hi:[0,1,1]
	v_pk_fma_f32 v[22:23], v[32:33], v[36:37], v[22:23] neg_lo:[0,0,1] neg_hi:[0,0,1]
	s_delay_alu instid0(VALU_DEP_2)
	v_mov_b32_e32 v23, v35
	s_cbranch_vccnz .LBB532_23
; %bb.22:                               ;   in Loop: Header=BB532_6 Depth=1
	flat_load_b64 v[32:33], v[20:21]
	v_mov_b64_e32 v[34:35], s[6:7]
	v_mov_b64_e32 v[36:37], s[2:3]
	s_mov_b32 s31, 0
	s_wait_loadcnt_dscnt 0x0
	s_delay_alu instid0(VALU_DEP_2) | instskip(NEXT) | instid1(VALU_DEP_1)
	v_pk_mul_f32 v[34:35], v[32:33], v[34:35]
	v_pk_fma_f32 v[38:39], v[32:33], v[36:37], v[34:35] op_sel:[0,0,1] op_sel_hi:[1,1,0]
	v_pk_fma_f32 v[32:33], v[32:33], v[36:37], v[34:35] op_sel:[0,0,1] op_sel_hi:[1,1,0] neg_lo:[0,0,1] neg_hi:[0,0,1]
	s_delay_alu instid0(VALU_DEP_2) | instskip(NEXT) | instid1(VALU_DEP_1)
	v_mov_b32_e32 v33, v39
	v_pk_add_f32 v[32:33], v[22:23], v[32:33]
	flat_store_b64 v[20:21], v[32:33]
.LBB532_23:                             ;   in Loop: Header=BB532_6 Depth=1
	s_and_not1_b32 vcc_lo, exec_lo, s31
	s_cbranch_vccnz .LBB532_25
; %bb.24:                               ;   in Loop: Header=BB532_6 Depth=1
	flat_store_b64 v[20:21], v[22:23]
.LBB532_25:                             ;   in Loop: Header=BB532_6 Depth=1
	s_wait_xcnt 0x0
	s_or_b32 exec_lo, exec_lo, s30
	v_lshl_add_u64 v[18:19], v[12:13], 3, v[18:19]
	s_and_saveexec_b32 s30, s37
	s_cbranch_execz .LBB532_30
; %bb.26:                               ;   in Loop: Header=BB532_6 Depth=1
	v_mov_b64_e32 v[20:21], s[4:5]
	v_mov_b64_e32 v[22:23], s[18:19]
	s_and_not1_b32 vcc_lo, exec_lo, s34
	s_mov_b32 s31, -1
	s_delay_alu instid0(VALU_DEP_2) | instskip(NEXT) | instid1(VALU_DEP_1)
	v_pk_mul_f32 v[20:21], v[30:31], v[20:21] op_sel_hi:[0,1]
	v_pk_fma_f32 v[30:31], v[28:29], v[22:23], v[20:21] op_sel_hi:[0,1,1]
	v_pk_fma_f32 v[20:21], v[28:29], v[22:23], v[20:21] neg_lo:[0,0,1] neg_hi:[0,0,1]
	v_lshl_add_u64 v[22:23], v[8:9], 3, v[18:19]
	s_delay_alu instid0(VALU_DEP_3)
	v_mov_b32_e32 v21, v31
	s_cbranch_vccnz .LBB532_28
; %bb.27:                               ;   in Loop: Header=BB532_6 Depth=1
	flat_load_b64 v[28:29], v[22:23]
	v_mov_b64_e32 v[30:31], s[6:7]
	v_mov_b64_e32 v[32:33], s[2:3]
	s_mov_b32 s31, 0
	s_wait_loadcnt_dscnt 0x0
	s_delay_alu instid0(VALU_DEP_2) | instskip(NEXT) | instid1(VALU_DEP_1)
	v_pk_mul_f32 v[30:31], v[28:29], v[30:31]
	v_pk_fma_f32 v[34:35], v[28:29], v[32:33], v[30:31] op_sel:[0,0,1] op_sel_hi:[1,1,0]
	v_pk_fma_f32 v[28:29], v[28:29], v[32:33], v[30:31] op_sel:[0,0,1] op_sel_hi:[1,1,0] neg_lo:[0,0,1] neg_hi:[0,0,1]
	s_delay_alu instid0(VALU_DEP_2) | instskip(NEXT) | instid1(VALU_DEP_1)
	v_mov_b32_e32 v29, v35
	v_pk_add_f32 v[28:29], v[20:21], v[28:29]
	flat_store_b64 v[22:23], v[28:29]
.LBB532_28:                             ;   in Loop: Header=BB532_6 Depth=1
	s_and_not1_b32 vcc_lo, exec_lo, s31
	s_cbranch_vccnz .LBB532_30
; %bb.29:                               ;   in Loop: Header=BB532_6 Depth=1
	flat_store_b64 v[22:23], v[20:21]
.LBB532_30:                             ;   in Loop: Header=BB532_6 Depth=1
	s_wait_xcnt 0x0
	s_or_b32 exec_lo, exec_lo, s30
	s_and_saveexec_b32 s30, s38
	s_cbranch_execz .LBB532_5
; %bb.31:                               ;   in Loop: Header=BB532_6 Depth=1
	v_mov_b64_e32 v[20:21], s[4:5]
	v_mov_b64_e32 v[22:23], s[18:19]
	v_lshl_add_u64 v[18:19], v[14:15], 3, v[18:19]
	s_and_not1_b32 vcc_lo, exec_lo, s34
	s_mov_b32 s31, -1
	s_delay_alu instid0(VALU_DEP_3) | instskip(NEXT) | instid1(VALU_DEP_1)
	v_pk_mul_f32 v[20:21], v[26:27], v[20:21] op_sel_hi:[0,1]
	v_pk_fma_f32 v[28:29], v[24:25], v[22:23], v[20:21] op_sel_hi:[0,1,1]
	v_pk_fma_f32 v[20:21], v[24:25], v[22:23], v[20:21] neg_lo:[0,0,1] neg_hi:[0,0,1]
	s_delay_alu instid0(VALU_DEP_2)
	v_mov_b32_e32 v21, v29
	s_cbranch_vccnz .LBB532_33
; %bb.32:                               ;   in Loop: Header=BB532_6 Depth=1
	flat_load_b64 v[22:23], v[18:19]
	v_mov_b64_e32 v[28:29], s[6:7]
	v_mov_b64_e32 v[30:31], s[2:3]
	s_mov_b32 s31, 0
	s_wait_loadcnt_dscnt 0x0
	s_delay_alu instid0(VALU_DEP_2) | instskip(NEXT) | instid1(VALU_DEP_1)
	v_pk_mul_f32 v[28:29], v[22:23], v[28:29]
	v_pk_fma_f32 v[32:33], v[22:23], v[30:31], v[28:29] op_sel:[0,0,1] op_sel_hi:[1,1,0]
	v_pk_fma_f32 v[22:23], v[22:23], v[30:31], v[28:29] op_sel:[0,0,1] op_sel_hi:[1,1,0] neg_lo:[0,0,1] neg_hi:[0,0,1]
	s_delay_alu instid0(VALU_DEP_2) | instskip(NEXT) | instid1(VALU_DEP_1)
	v_mov_b32_e32 v23, v33
	v_pk_add_f32 v[22:23], v[20:21], v[22:23]
	flat_store_b64 v[18:19], v[22:23]
.LBB532_33:                             ;   in Loop: Header=BB532_6 Depth=1
	s_and_not1_b32 vcc_lo, exec_lo, s31
	s_cbranch_vccnz .LBB532_5
; %bb.34:                               ;   in Loop: Header=BB532_6 Depth=1
	flat_store_b64 v[18:19], v[20:21]
	s_branch .LBB532_5
.LBB532_35:
	s_sendmsg sendmsg(MSG_DEALLOC_VGPRS)
	s_endpgm
	.section	.rodata,"a",@progbits
	.p2align	6, 0x0
	.amdhsa_kernel _ZL29rocblas_internal_gemmt_kernelIlLi16ELi32ELi8ELc78ELc84ELc76ELb0ELb0E19rocblas_complex_numIfES1_PKPKS1_PKPS1_EviT_T9_T10_S9_lSB_S9_lSA_T11_S9_li
		.amdhsa_group_segment_fixed_size 4096
		.amdhsa_private_segment_fixed_size 0
		.amdhsa_kernarg_size 108
		.amdhsa_user_sgpr_count 2
		.amdhsa_user_sgpr_dispatch_ptr 0
		.amdhsa_user_sgpr_queue_ptr 0
		.amdhsa_user_sgpr_kernarg_segment_ptr 1
		.amdhsa_user_sgpr_dispatch_id 0
		.amdhsa_user_sgpr_kernarg_preload_length 0
		.amdhsa_user_sgpr_kernarg_preload_offset 0
		.amdhsa_user_sgpr_private_segment_size 0
		.amdhsa_wavefront_size32 1
		.amdhsa_uses_dynamic_stack 0
		.amdhsa_enable_private_segment 0
		.amdhsa_system_sgpr_workgroup_id_x 1
		.amdhsa_system_sgpr_workgroup_id_y 1
		.amdhsa_system_sgpr_workgroup_id_z 1
		.amdhsa_system_sgpr_workgroup_info 0
		.amdhsa_system_vgpr_workitem_id 1
		.amdhsa_next_free_vgpr 72
		.amdhsa_next_free_sgpr 42
		.amdhsa_named_barrier_count 0
		.amdhsa_reserve_vcc 1
		.amdhsa_float_round_mode_32 0
		.amdhsa_float_round_mode_16_64 0
		.amdhsa_float_denorm_mode_32 3
		.amdhsa_float_denorm_mode_16_64 3
		.amdhsa_fp16_overflow 0
		.amdhsa_memory_ordered 1
		.amdhsa_forward_progress 1
		.amdhsa_inst_pref_size 26
		.amdhsa_round_robin_scheduling 0
		.amdhsa_exception_fp_ieee_invalid_op 0
		.amdhsa_exception_fp_denorm_src 0
		.amdhsa_exception_fp_ieee_div_zero 0
		.amdhsa_exception_fp_ieee_overflow 0
		.amdhsa_exception_fp_ieee_underflow 0
		.amdhsa_exception_fp_ieee_inexact 0
		.amdhsa_exception_int_div_zero 0
	.end_amdhsa_kernel
	.section	.text._ZL29rocblas_internal_gemmt_kernelIlLi16ELi32ELi8ELc78ELc84ELc76ELb0ELb0E19rocblas_complex_numIfES1_PKPKS1_PKPS1_EviT_T9_T10_S9_lSB_S9_lSA_T11_S9_li,"axG",@progbits,_ZL29rocblas_internal_gemmt_kernelIlLi16ELi32ELi8ELc78ELc84ELc76ELb0ELb0E19rocblas_complex_numIfES1_PKPKS1_PKPS1_EviT_T9_T10_S9_lSB_S9_lSA_T11_S9_li,comdat
.Lfunc_end532:
	.size	_ZL29rocblas_internal_gemmt_kernelIlLi16ELi32ELi8ELc78ELc84ELc76ELb0ELb0E19rocblas_complex_numIfES1_PKPKS1_PKPS1_EviT_T9_T10_S9_lSB_S9_lSA_T11_S9_li, .Lfunc_end532-_ZL29rocblas_internal_gemmt_kernelIlLi16ELi32ELi8ELc78ELc84ELc76ELb0ELb0E19rocblas_complex_numIfES1_PKPKS1_PKPS1_EviT_T9_T10_S9_lSB_S9_lSA_T11_S9_li
                                        ; -- End function
	.set _ZL29rocblas_internal_gemmt_kernelIlLi16ELi32ELi8ELc78ELc84ELc76ELb0ELb0E19rocblas_complex_numIfES1_PKPKS1_PKPS1_EviT_T9_T10_S9_lSB_S9_lSA_T11_S9_li.num_vgpr, 72
	.set _ZL29rocblas_internal_gemmt_kernelIlLi16ELi32ELi8ELc78ELc84ELc76ELb0ELb0E19rocblas_complex_numIfES1_PKPKS1_PKPS1_EviT_T9_T10_S9_lSB_S9_lSA_T11_S9_li.num_agpr, 0
	.set _ZL29rocblas_internal_gemmt_kernelIlLi16ELi32ELi8ELc78ELc84ELc76ELb0ELb0E19rocblas_complex_numIfES1_PKPKS1_PKPS1_EviT_T9_T10_S9_lSB_S9_lSA_T11_S9_li.numbered_sgpr, 42
	.set _ZL29rocblas_internal_gemmt_kernelIlLi16ELi32ELi8ELc78ELc84ELc76ELb0ELb0E19rocblas_complex_numIfES1_PKPKS1_PKPS1_EviT_T9_T10_S9_lSB_S9_lSA_T11_S9_li.num_named_barrier, 0
	.set _ZL29rocblas_internal_gemmt_kernelIlLi16ELi32ELi8ELc78ELc84ELc76ELb0ELb0E19rocblas_complex_numIfES1_PKPKS1_PKPS1_EviT_T9_T10_S9_lSB_S9_lSA_T11_S9_li.private_seg_size, 0
	.set _ZL29rocblas_internal_gemmt_kernelIlLi16ELi32ELi8ELc78ELc84ELc76ELb0ELb0E19rocblas_complex_numIfES1_PKPKS1_PKPS1_EviT_T9_T10_S9_lSB_S9_lSA_T11_S9_li.uses_vcc, 1
	.set _ZL29rocblas_internal_gemmt_kernelIlLi16ELi32ELi8ELc78ELc84ELc76ELb0ELb0E19rocblas_complex_numIfES1_PKPKS1_PKPS1_EviT_T9_T10_S9_lSB_S9_lSA_T11_S9_li.uses_flat_scratch, 0
	.set _ZL29rocblas_internal_gemmt_kernelIlLi16ELi32ELi8ELc78ELc84ELc76ELb0ELb0E19rocblas_complex_numIfES1_PKPKS1_PKPS1_EviT_T9_T10_S9_lSB_S9_lSA_T11_S9_li.has_dyn_sized_stack, 0
	.set _ZL29rocblas_internal_gemmt_kernelIlLi16ELi32ELi8ELc78ELc84ELc76ELb0ELb0E19rocblas_complex_numIfES1_PKPKS1_PKPS1_EviT_T9_T10_S9_lSB_S9_lSA_T11_S9_li.has_recursion, 0
	.set _ZL29rocblas_internal_gemmt_kernelIlLi16ELi32ELi8ELc78ELc84ELc76ELb0ELb0E19rocblas_complex_numIfES1_PKPKS1_PKPS1_EviT_T9_T10_S9_lSB_S9_lSA_T11_S9_li.has_indirect_call, 0
	.section	.AMDGPU.csdata,"",@progbits
; Kernel info:
; codeLenInByte = 3228
; TotalNumSgprs: 44
; NumVgprs: 72
; ScratchSize: 0
; MemoryBound: 0
; FloatMode: 240
; IeeeMode: 1
; LDSByteSize: 4096 bytes/workgroup (compile time only)
; SGPRBlocks: 0
; VGPRBlocks: 4
; NumSGPRsForWavesPerEU: 44
; NumVGPRsForWavesPerEU: 72
; NamedBarCnt: 0
; Occupancy: 12
; WaveLimiterHint : 1
; COMPUTE_PGM_RSRC2:SCRATCH_EN: 0
; COMPUTE_PGM_RSRC2:USER_SGPR: 2
; COMPUTE_PGM_RSRC2:TRAP_HANDLER: 0
; COMPUTE_PGM_RSRC2:TGID_X_EN: 1
; COMPUTE_PGM_RSRC2:TGID_Y_EN: 1
; COMPUTE_PGM_RSRC2:TGID_Z_EN: 1
; COMPUTE_PGM_RSRC2:TIDIG_COMP_CNT: 1
	.section	.text._ZL29rocblas_internal_gemmt_kernelIlLi16ELi32ELi8ELc78ELc67ELc76ELb0ELb1E19rocblas_complex_numIfES1_PKPKS1_PKPS1_EviT_T9_T10_S9_lSB_S9_lSA_T11_S9_li,"axG",@progbits,_ZL29rocblas_internal_gemmt_kernelIlLi16ELi32ELi8ELc78ELc67ELc76ELb0ELb1E19rocblas_complex_numIfES1_PKPKS1_PKPS1_EviT_T9_T10_S9_lSB_S9_lSA_T11_S9_li,comdat
	.globl	_ZL29rocblas_internal_gemmt_kernelIlLi16ELi32ELi8ELc78ELc67ELc76ELb0ELb1E19rocblas_complex_numIfES1_PKPKS1_PKPS1_EviT_T9_T10_S9_lSB_S9_lSA_T11_S9_li ; -- Begin function _ZL29rocblas_internal_gemmt_kernelIlLi16ELi32ELi8ELc78ELc67ELc76ELb0ELb1E19rocblas_complex_numIfES1_PKPKS1_PKPS1_EviT_T9_T10_S9_lSB_S9_lSA_T11_S9_li
	.p2align	8
	.type	_ZL29rocblas_internal_gemmt_kernelIlLi16ELi32ELi8ELc78ELc67ELc76ELb0ELb1E19rocblas_complex_numIfES1_PKPKS1_PKPS1_EviT_T9_T10_S9_lSB_S9_lSA_T11_S9_li,@function
_ZL29rocblas_internal_gemmt_kernelIlLi16ELi32ELi8ELc78ELc67ELc76ELb0ELb1E19rocblas_complex_numIfES1_PKPKS1_PKPS1_EviT_T9_T10_S9_lSB_S9_lSA_T11_S9_li: ; @_ZL29rocblas_internal_gemmt_kernelIlLi16ELi32ELi8ELc78ELc67ELc76ELb0ELb1E19rocblas_complex_numIfES1_PKPKS1_PKPS1_EviT_T9_T10_S9_lSB_S9_lSA_T11_S9_li
; %bb.0:
	s_clause 0x1
	s_load_b64 s[6:7], s[0:1], 0x48
	s_load_b128 s[16:19], s[0:1], 0x8
	s_wait_kmcnt 0x0
	s_cmp_neq_f32 s6, 1.0
	s_cselect_b32 s3, -1, 0
	s_and_b32 s4, s7, 0x7fffffff
	s_delay_alu instid0(SALU_CYCLE_1) | instskip(SKIP_3) | instid1(SALU_CYCLE_1)
	s_cmp_eq_u32 s4, 0
	s_cselect_b32 s2, -1, 0
	s_cmp_lg_u32 s4, 0
	s_cselect_b32 s4, -1, 0
	s_or_b32 s3, s3, s4
	s_delay_alu instid0(SALU_CYCLE_1)
	s_and_b32 vcc_lo, exec_lo, s3
	s_cbranch_vccnz .LBB533_2
; %bb.1:
	s_cmp_lg_u64 s[16:17], 0
	s_cselect_b32 s3, -1, 0
	s_cmp_neq_f32 s18, 0
	s_cselect_b32 s4, -1, 0
	s_cmp_neq_f32 s19, 0
	s_cselect_b32 s5, -1, 0
	s_delay_alu instid0(SALU_CYCLE_1) | instskip(NEXT) | instid1(SALU_CYCLE_1)
	s_or_b32 s4, s4, s5
	s_and_b32 s3, s3, s4
.LBB533_2:
	s_delay_alu instid0(SALU_CYCLE_1)
	s_and_not1_b32 vcc_lo, exec_lo, s3
	s_cbranch_vccnz .LBB533_37
; %bb.3:
	s_load_b32 s33, s[0:1], 0x68
	s_bfe_u32 s3, ttmp6, 0x40014
	s_lshr_b32 s4, ttmp7, 16
	s_add_co_i32 s3, s3, 1
	s_bfe_u32 s8, ttmp6, 0x40008
	s_mul_i32 s5, s4, s3
	s_getreg_b32 s3, hwreg(HW_REG_IB_STS2, 6, 4)
	s_add_co_i32 s8, s8, s5
	s_cmp_eq_u32 s3, 0
	s_mov_b32 s29, 0
	s_cselect_b32 s28, s4, s8
	s_wait_kmcnt 0x0
	s_cmp_ge_u32 s28, s33
	s_cbranch_scc1 .LBB533_37
; %bb.4:
	v_and_b32_e32 v9, 0x3ff, v0
	v_bfe_u32 v15, v0, 10, 10
	s_bfe_u32 s8, ttmp6, 0x4000c
	s_bfe_u32 s9, ttmp6, 0x40010
	s_and_b32 s20, ttmp7, 0xffff
	s_add_co_i32 s8, s8, 1
	s_add_co_i32 s9, s9, 1
	s_and_b32 s5, ttmp6, 15
	v_lshl_add_u32 v1, v15, 4, v9
	s_mul_i32 s8, ttmp9, s8
	s_mul_i32 s9, s20, s9
	s_bfe_u32 s10, ttmp6, 0x40004
	s_add_co_i32 s5, s5, s8
	s_add_co_i32 s21, s10, s9
	s_cmp_eq_u32 s3, 0
	v_dual_lshrrev_b32 v2, 5, v1 :: v_dual_bitop2_b32 v0, 7, v0 bitop3:0x40
	s_cselect_b32 s3, ttmp9, s5
	s_cselect_b32 s5, s20, s21
	v_dual_lshrrev_b32 v3, 3, v1 :: v_dual_bitop2_b32 v1, 31, v1 bitop3:0x40
	s_clause 0x1
	s_load_b128 s[20:23], s[0:1], 0x38
	s_load_b128 s[24:27], s[0:1], 0x50
	s_lshl_b32 s3, s3, 5
	s_lshl_b32 s5, s5, 5
	v_dual_lshlrev_b32 v5, 3, v0 :: v_dual_bitop2_b32 v4, s3, v1 bitop3:0x54
	v_add_nc_u32_e32 v6, s5, v3
	v_dual_add_nc_u32 v16, s5, v15 :: v_dual_lshlrev_b32 v1, 3, v1
	s_delay_alu instid0(VALU_DEP_3) | instskip(NEXT) | instid1(VALU_DEP_4)
	v_lshl_or_b32 v3, v3, 6, v5
	v_ashrrev_i32_e32 v5, 31, v4
	s_load_b32 s4, s[0:1], 0x0
	s_delay_alu instid0(VALU_DEP_3) | instskip(SKIP_3) | instid1(VALU_DEP_2)
	v_dual_add_nc_u32 v18, 16, v16 :: v_dual_ashrrev_i32 v17, 31, v16
	v_add_nc_u32_e32 v8, s3, v9
	s_cmp_neq_f32 s18, 0
	s_load_b256 s[8:15], s[0:1], 0x18
	v_ashrrev_i32_e32 v19, 31, v18
	s_load_b64 s[30:31], s[0:1], 0x60
	s_cselect_b32 s34, -1, 0
	s_cmp_neq_f32 s19, 0
	s_wait_kmcnt 0x0
	v_mul_u64_e32 v[10:11], s[26:27], v[16:17]
	v_mul_u64_e32 v[12:13], s[26:27], v[18:19]
	v_add_nc_u32_e32 v14, 16, v8
	s_cselect_b32 s0, -1, 0
	v_cmp_le_i32_e64 s1, v16, v8
	s_or_b32 s38, s34, s0
	s_cmp_neq_f32 s6, 0
	v_cmp_gt_i64_e64 s39, s[16:17], 0
	v_dual_ashrrev_i32 v7, 31, v6 :: v_dual_lshlrev_b32 v25, 3, v9
	s_cselect_b32 s3, -1, 0
	s_xor_b32 s5, s2, -1
	v_cmp_gt_i32_e64 s2, s4, v8
	v_cmp_gt_i32_e64 s0, s4, v4
	v_cmp_gt_i32_e32 vcc_lo, s4, v6
	s_or_b32 s34, s3, s5
	v_ashrrev_i32_e32 v9, 31, v8
	v_cmp_le_i32_e64 s3, v16, v14
	v_cmp_gt_i32_e64 s4, s4, v14
	s_and_b32 s35, s1, s2
	v_cmp_le_i32_e64 s1, v18, v8
	v_cmp_le_i32_e64 s5, v18, v14
	v_lshl_or_b32 v1, v2, 8, v1
	v_add_nc_u32_e32 v3, 0x800, v3
	v_lshl_add_u32 v27, v15, 6, 0x800
	v_dual_ashrrev_i32 v15, 31, v14 :: v_dual_mov_b32 v17, 0
	s_and_b32 s36, s3, s4
	s_and_b32 s1, s1, s2
	;; [unrolled: 1-line block ×3, first 2 shown]
	s_mov_b32 s2, s6
	s_mov_b32 s3, s6
	;; [unrolled: 1-line block ×5, first 2 shown]
	s_and_b32 s38, s38, s39
	s_lshl_b64 s[22:23], s[22:23], 3
	s_lshl_b64 s[12:13], s[12:13], 3
	s_xor_b32 s39, vcc_lo, -1
	s_lshl_b64 s[26:27], s[30:31], 3
	s_branch .LBB533_6
.LBB533_5:                              ;   in Loop: Header=BB533_6 Depth=1
	s_wait_xcnt 0x0
	s_or_b32 exec_lo, exec_lo, s30
	s_add_co_i32 s28, s28, 0x10000
	s_delay_alu instid0(SALU_CYCLE_1)
	s_cmp_lt_u32 s28, s33
	s_cbranch_scc0 .LBB533_37
.LBB533_6:                              ; =>This Loop Header: Depth=1
                                        ;     Child Loop BB533_9 Depth 2
	v_dual_mov_b32 v16, s28 :: v_dual_mov_b32 v36, v17
	v_dual_mov_b32 v38, v17 :: v_dual_mov_b32 v32, v17
	;; [unrolled: 1-line block ×3, first 2 shown]
	global_load_b64 v[18:19], v16, s[24:25] scale_offset
	v_dual_mov_b32 v30, v17 :: v_dual_mov_b32 v24, v17
	v_mov_b32_e32 v26, v17
	s_and_not1_b32 vcc_lo, exec_lo, s38
	s_cbranch_vccnz .LBB533_17
; %bb.7:                                ;   in Loop: Header=BB533_6 Depth=1
	s_lshl_b64 s[30:31], s[28:29], 3
	v_dual_mov_b32 v26, 0 :: v_dual_mov_b32 v24, 0
	s_add_nc_u64 s[40:41], s[8:9], s[30:31]
	s_add_nc_u64 s[30:31], s[14:15], s[30:31]
	s_clause 0x1
	global_load_b64 v[20:21], v17, s[40:41]
	global_load_b64 v[22:23], v17, s[30:31]
	v_dual_mov_b32 v30, 0 :: v_dual_mov_b32 v28, 0
	v_dual_mov_b32 v34, 0 :: v_dual_mov_b32 v32, 0
	;; [unrolled: 1-line block ×3, first 2 shown]
	s_wait_xcnt 0x0
	s_mov_b64 s[30:31], 0
	s_wait_loadcnt 0x1
	v_add_nc_u64_e32 v[20:21], s[12:13], v[20:21]
	s_wait_loadcnt 0x0
	v_add_nc_u64_e32 v[22:23], s[22:23], v[22:23]
	s_delay_alu instid0(VALU_DEP_2) | instskip(NEXT) | instid1(VALU_DEP_2)
	v_lshl_add_u64 v[20:21], v[4:5], 3, v[20:21]
	v_lshl_add_u64 v[22:23], v[6:7], 3, v[22:23]
	s_branch .LBB533_9
.LBB533_8:                              ;   in Loop: Header=BB533_9 Depth=2
	s_wait_xcnt 0x0
	s_or_b32 exec_lo, exec_lo, s40
	ds_store_b32 v3, v29 offset:4
	s_wait_dscnt 0x0
	s_barrier_signal -1
	s_barrier_wait -1
	ds_load_b128 v[40:43], v27
	ds_load_2addr_b64 v[44:47], v25 offset1:16
	ds_load_b128 v[48:51], v27 offset:1024
	ds_load_b128 v[52:55], v27 offset:16
	;; [unrolled: 1-line block ×4, first 2 shown]
	ds_load_2addr_b64 v[64:67], v25 offset0:32 offset1:48
	ds_load_b128 v[68:71], v27 offset:1040
	s_add_nc_u64 s[30:31], s[30:31], 8
	s_delay_alu instid0(SALU_CYCLE_1)
	v_cmp_gt_i64_e64 s40, s[16:17], s[30:31]
	s_and_b32 vcc_lo, exec_lo, s40
	s_wait_dscnt 0x6
	v_dual_mul_f32 v16, v41, v45 :: v_dual_mul_f32 v29, v40, v45
	v_dual_mul_f32 v31, v41, v47 :: v_dual_mul_f32 v33, v40, v47
	s_wait_dscnt 0x5
	v_dual_mul_f32 v35, v49, v45 :: v_dual_mul_f32 v37, v48, v45
	v_dual_mul_f32 v39, v49, v47 :: v_dual_mul_f32 v45, v48, v47
	v_dual_fma_f32 v16, v40, v44, -v16 :: v_dual_fmac_f32 v29, v41, v44
	v_dual_fma_f32 v31, v40, v46, -v31 :: v_dual_fmac_f32 v33, v41, v46
	s_delay_alu instid0(VALU_DEP_4) | instskip(NEXT) | instid1(VALU_DEP_3)
	v_dual_fma_f32 v35, v48, v44, -v35 :: v_dual_fmac_f32 v37, v49, v44
	v_dual_add_f32 v16, v36, v16 :: v_dual_add_f32 v36, v38, v29
	v_fma_f32 v29, v48, v46, -v39
	s_delay_alu instid0(VALU_DEP_4) | instskip(NEXT) | instid1(VALU_DEP_4)
	v_dual_add_f32 v32, v32, v31 :: v_dual_add_f32 v33, v34, v33
	v_dual_add_f32 v34, v28, v35 :: v_dual_add_f32 v35, v30, v37
	s_wait_dscnt 0x1
	v_dual_mul_f32 v37, v43, v65 :: v_dual_fmac_f32 v45, v49, v46
	v_add_f32_e32 v24, v24, v29
	ds_load_2addr_b64 v[28:31], v25 offset0:64 offset1:80
	v_dual_mul_f32 v38, v42, v65 :: v_dual_fma_f32 v37, v42, v64, -v37
	v_dual_mul_f32 v39, v43, v67 :: v_dual_add_f32 v26, v26, v45
	s_delay_alu instid0(VALU_DEP_2) | instskip(NEXT) | instid1(VALU_DEP_2)
	v_dual_mul_f32 v40, v42, v67 :: v_dual_fmac_f32 v38, v43, v64
	v_dual_add_f32 v16, v16, v37 :: v_dual_fma_f32 v37, v42, v66, -v39
	v_mul_f32_e32 v39, v51, v65
	s_delay_alu instid0(VALU_DEP_3) | instskip(NEXT) | instid1(VALU_DEP_4)
	v_fmac_f32_e32 v40, v43, v66
	v_dual_add_f32 v36, v36, v38 :: v_dual_mul_f32 v38, v50, v65
	s_delay_alu instid0(VALU_DEP_3) | instskip(NEXT) | instid1(VALU_DEP_3)
	v_dual_add_f32 v37, v32, v37 :: v_dual_fma_f32 v32, v50, v64, -v39
	v_dual_mul_f32 v39, v51, v67 :: v_dual_add_f32 v40, v33, v40
	s_delay_alu instid0(VALU_DEP_3) | instskip(SKIP_1) | instid1(VALU_DEP_3)
	v_dual_fmac_f32 v38, v51, v64 :: v_dual_mul_f32 v41, v50, v67
	s_wait_dscnt 0x0
	v_dual_add_f32 v42, v34, v32 :: v_dual_mul_f32 v33, v53, v29
	s_delay_alu instid0(VALU_DEP_3) | instskip(NEXT) | instid1(VALU_DEP_3)
	v_fma_f32 v32, v50, v66, -v39
	v_dual_add_f32 v38, v35, v38 :: v_dual_mul_f32 v39, v52, v29
	v_fmac_f32_e32 v41, v51, v66
	s_delay_alu instid0(VALU_DEP_4) | instskip(NEXT) | instid1(VALU_DEP_4)
	v_fma_f32 v43, v52, v28, -v33
	v_dual_add_f32 v24, v24, v32 :: v_dual_mul_f32 v44, v53, v31
	ds_load_2addr_b64 v[32:35], v25 offset0:96 offset1:112
	v_dual_fmac_f32 v39, v53, v28 :: v_dual_add_f32 v26, v26, v41
	v_add_f32_e32 v16, v16, v43
	v_dual_mul_f32 v41, v52, v31 :: v_dual_fma_f32 v43, v52, v30, -v44
	s_delay_alu instid0(VALU_DEP_3) | instskip(NEXT) | instid1(VALU_DEP_2)
	v_dual_add_f32 v36, v36, v39 :: v_dual_mul_f32 v39, v69, v29
	v_dual_mul_f32 v29, v68, v29 :: v_dual_fmac_f32 v41, v53, v30
	s_delay_alu instid0(VALU_DEP_3) | instskip(NEXT) | instid1(VALU_DEP_3)
	v_add_f32_e32 v37, v37, v43
	v_dual_mul_f32 v43, v69, v31 :: v_dual_fma_f32 v39, v68, v28, -v39
	s_delay_alu instid0(VALU_DEP_3) | instskip(NEXT) | instid1(VALU_DEP_4)
	v_dual_fmac_f32 v29, v69, v28 :: v_dual_mul_f32 v44, v68, v31
	v_add_f32_e32 v40, v40, v41
	s_delay_alu instid0(VALU_DEP_3) | instskip(NEXT) | instid1(VALU_DEP_3)
	v_dual_fma_f32 v28, v68, v30, -v43 :: v_dual_add_f32 v41, v42, v39
	v_dual_add_f32 v42, v38, v29 :: v_dual_fmac_f32 v44, v69, v30
	s_wait_dscnt 0x0
	s_delay_alu instid0(VALU_DEP_2) | instskip(SKIP_2) | instid1(VALU_DEP_1)
	v_dual_mul_f32 v38, v55, v33 :: v_dual_add_f32 v24, v24, v28
	ds_load_2addr_b64 v[28:31], v25 offset0:128 offset1:144
	v_dual_mul_f32 v39, v54, v33 :: v_dual_mul_f32 v43, v55, v35
	v_dual_fma_f32 v38, v54, v32, -v38 :: v_dual_fmac_f32 v39, v55, v32
	s_delay_alu instid0(VALU_DEP_1) | instskip(NEXT) | instid1(VALU_DEP_3)
	v_dual_add_f32 v26, v26, v44 :: v_dual_add_f32 v16, v16, v38
	v_dual_mul_f32 v44, v54, v35 :: v_dual_fma_f32 v43, v54, v34, -v43
	s_delay_alu instid0(VALU_DEP_3) | instskip(NEXT) | instid1(VALU_DEP_2)
	v_dual_mul_f32 v38, v71, v33 :: v_dual_add_f32 v45, v36, v39
	v_dual_mul_f32 v33, v70, v33 :: v_dual_fmac_f32 v44, v55, v34
	s_delay_alu instid0(VALU_DEP_2)
	v_dual_add_f32 v46, v37, v43 :: v_dual_fma_f32 v43, v70, v32, -v38
	v_mul_f32_e32 v47, v71, v35
	ds_load_b128 v[36:39], v27 offset:1056
	v_add_f32_e32 v44, v40, v44
	v_dual_fmac_f32 v33, v71, v32 :: v_dual_mul_f32 v40, v70, v35
	v_dual_fma_f32 v32, v70, v34, -v47 :: v_dual_add_f32 v47, v41, v43
	s_wait_dscnt 0x1
	v_mul_f32_e32 v35, v57, v29
	s_delay_alu instid0(VALU_DEP_3) | instskip(NEXT) | instid1(VALU_DEP_3)
	v_dual_add_f32 v48, v42, v33 :: v_dual_fmac_f32 v40, v71, v34
	v_add_f32_e32 v24, v24, v32
	s_delay_alu instid0(VALU_DEP_3) | instskip(NEXT) | instid1(VALU_DEP_3)
	v_dual_mul_f32 v49, v56, v29 :: v_dual_fma_f32 v41, v56, v28, -v35
	v_dual_mul_f32 v42, v57, v31 :: v_dual_add_f32 v26, v26, v40
	ds_load_2addr_b64 v[32:35], v25 offset0:160 offset1:176
	v_dual_fmac_f32 v49, v57, v28 :: v_dual_add_f32 v16, v16, v41
	v_dual_fma_f32 v50, v56, v30, -v42 :: v_dual_mul_f32 v51, v56, v31
	ds_load_b128 v[40:43], v27 offset:1072
	s_wait_dscnt 0x2
	v_dual_mul_f32 v52, v37, v29 :: v_dual_mul_f32 v29, v36, v29
	v_dual_add_f32 v45, v45, v49 :: v_dual_add_f32 v46, v46, v50
	s_delay_alu instid0(VALU_DEP_2) | instskip(NEXT) | instid1(VALU_DEP_3)
	v_dual_fmac_f32 v51, v57, v30 :: v_dual_fma_f32 v49, v36, v28, -v52
	v_dual_mul_f32 v50, v37, v31 :: v_dual_fmac_f32 v29, v37, v28
	s_delay_alu instid0(VALU_DEP_2) | instskip(NEXT) | instid1(VALU_DEP_2)
	v_dual_add_f32 v44, v44, v51 :: v_dual_add_f32 v47, v47, v49
	v_dual_mul_f32 v51, v36, v31 :: v_dual_fma_f32 v28, v36, v30, -v50
	s_delay_alu instid0(VALU_DEP_3) | instskip(SKIP_2) | instid1(VALU_DEP_3)
	v_add_f32_e32 v36, v48, v29
	s_wait_dscnt 0x1
	v_dual_mul_f32 v48, v59, v33 :: v_dual_mul_f32 v49, v59, v35
	v_dual_fmac_f32 v51, v37, v30 :: v_dual_add_f32 v24, v24, v28
	ds_load_2addr_b64 v[28:31], v25 offset0:192 offset1:208
	v_dual_mul_f32 v37, v58, v33 :: v_dual_fma_f32 v48, v58, v32, -v48
	s_delay_alu instid0(VALU_DEP_1) | instskip(NEXT) | instid1(VALU_DEP_2)
	v_dual_mul_f32 v50, v58, v35 :: v_dual_fmac_f32 v37, v59, v32
	v_dual_add_f32 v26, v26, v51 :: v_dual_add_f32 v16, v16, v48
	s_delay_alu instid0(VALU_DEP_2) | instskip(NEXT) | instid1(VALU_DEP_3)
	v_dual_fma_f32 v48, v58, v34, -v49 :: v_dual_fmac_f32 v50, v59, v34
	v_add_f32_e32 v37, v45, v37
	v_dual_mul_f32 v45, v39, v33 :: v_dual_mul_f32 v33, v38, v33
	s_delay_alu instid0(VALU_DEP_3) | instskip(NEXT) | instid1(VALU_DEP_2)
	v_dual_add_f32 v48, v46, v48 :: v_dual_mul_f32 v46, v39, v35
	v_dual_add_f32 v49, v44, v50 :: v_dual_fma_f32 v45, v38, v32, -v45
	s_delay_alu instid0(VALU_DEP_3) | instskip(SKIP_1) | instid1(VALU_DEP_3)
	v_dual_fmac_f32 v33, v39, v32 :: v_dual_mul_f32 v32, v38, v35
	s_wait_dscnt 0x0
	v_dual_fma_f32 v35, v38, v34, -v46 :: v_dual_mul_f32 v44, v61, v29
	s_delay_alu instid0(VALU_DEP_3) | instskip(NEXT) | instid1(VALU_DEP_3)
	v_add_f32_e32 v38, v47, v45
	v_dual_fmac_f32 v32, v39, v34 :: v_dual_mul_f32 v34, v60, v29
	s_delay_alu instid0(VALU_DEP_3) | instskip(NEXT) | instid1(VALU_DEP_4)
	v_add_f32_e32 v24, v24, v35
	v_fma_f32 v35, v60, v28, -v44
	ds_load_2addr_b64 v[44:47], v25 offset0:224 offset1:240
	v_dual_add_f32 v33, v36, v33 :: v_dual_add_f32 v26, v26, v32
	v_dual_mul_f32 v32, v61, v31 :: v_dual_fmac_f32 v34, v61, v28
	v_dual_add_f32 v16, v16, v35 :: v_dual_mul_f32 v36, v41, v29
	s_delay_alu instid0(VALU_DEP_2) | instskip(NEXT) | instid1(VALU_DEP_3)
	v_dual_mul_f32 v35, v60, v31 :: v_dual_fma_f32 v32, v60, v30, -v32
	v_dual_mul_f32 v29, v40, v29 :: v_dual_add_f32 v34, v37, v34
	s_delay_alu instid0(VALU_DEP_2) | instskip(NEXT) | instid1(VALU_DEP_3)
	v_dual_fma_f32 v36, v40, v28, -v36 :: v_dual_fmac_f32 v35, v61, v30
	v_add_f32_e32 v32, v48, v32
	s_delay_alu instid0(VALU_DEP_3) | instskip(SKIP_1) | instid1(VALU_DEP_4)
	v_dual_fmac_f32 v29, v41, v28 :: v_dual_mul_f32 v28, v41, v31
	v_mul_f32_e32 v31, v40, v31
	v_dual_add_f32 v35, v49, v35 :: v_dual_add_f32 v37, v38, v36
	s_delay_alu instid0(VALU_DEP_3) | instskip(SKIP_3) | instid1(VALU_DEP_3)
	v_dual_add_f32 v29, v33, v29 :: v_dual_fma_f32 v28, v40, v30, -v28
	s_wait_dscnt 0x0
	v_dual_mul_f32 v33, v63, v45 :: v_dual_mul_f32 v38, v62, v45
	v_dual_fmac_f32 v31, v41, v30 :: v_dual_mul_f32 v30, v63, v47
	v_add_f32_e32 v24, v24, v28
	s_delay_alu instid0(VALU_DEP_3) | instskip(NEXT) | instid1(VALU_DEP_3)
	v_dual_fma_f32 v28, v62, v44, -v33 :: v_dual_fmac_f32 v38, v63, v44
	v_dual_mul_f32 v33, v62, v47 :: v_dual_fma_f32 v30, v62, v46, -v30
	s_delay_alu instid0(VALU_DEP_2) | instskip(NEXT) | instid1(VALU_DEP_3)
	v_dual_add_f32 v26, v26, v31 :: v_dual_add_f32 v36, v16, v28
	v_dual_add_f32 v38, v34, v38 :: v_dual_mul_f32 v16, v43, v45
	s_delay_alu instid0(VALU_DEP_3) | instskip(NEXT) | instid1(VALU_DEP_4)
	v_fmac_f32_e32 v33, v63, v46
	v_dual_add_f32 v32, v32, v30 :: v_dual_mul_f32 v28, v43, v47
	v_dual_mul_f32 v30, v42, v45 :: v_dual_mul_f32 v31, v42, v47
	s_delay_alu instid0(VALU_DEP_3) | instskip(NEXT) | instid1(VALU_DEP_2)
	v_dual_add_f32 v34, v35, v33 :: v_dual_fma_f32 v16, v42, v44, -v16
	v_dual_fma_f32 v33, v42, v46, -v28 :: v_dual_fmac_f32 v30, v43, v44
	s_delay_alu instid0(VALU_DEP_3) | instskip(NEXT) | instid1(VALU_DEP_2)
	v_fmac_f32_e32 v31, v43, v46
	v_dual_add_f32 v28, v37, v16 :: v_dual_add_f32 v24, v24, v33
	s_delay_alu instid0(VALU_DEP_2)
	v_dual_add_f32 v30, v29, v30 :: v_dual_add_f32 v26, v26, v31
	s_barrier_signal -1
	s_barrier_wait -1
	s_cbranch_vccz .LBB533_17
.LBB533_9:                              ;   Parent Loop BB533_6 Depth=1
                                        ; =>  This Inner Loop Header: Depth=2
	v_dual_mov_b32 v40, 0 :: v_dual_mov_b32 v41, 0
	s_and_saveexec_b32 s40, s0
	s_cbranch_execz .LBB533_13
; %bb.10:                               ;   in Loop: Header=BB533_9 Depth=2
	v_dual_mov_b32 v41, 0 :: v_dual_add_nc_u32 v16, s30, v2
	v_mov_b32_e32 v40, 0
	s_mov_b32 s41, exec_lo
	s_delay_alu instid0(VALU_DEP_2)
	v_cmpx_gt_u64_e64 s[16:17], v[16:17]
	s_cbranch_execz .LBB533_12
; %bb.11:                               ;   in Loop: Header=BB533_9 Depth=2
	v_mul_u64_e32 v[40:41], s[10:11], v[16:17]
	s_delay_alu instid0(VALU_DEP_1)
	v_lshl_add_u64 v[40:41], v[40:41], 3, v[20:21]
	flat_load_b64 v[40:41], v[40:41]
.LBB533_12:                             ;   in Loop: Header=BB533_9 Depth=2
	s_wait_xcnt 0x0
	s_or_b32 exec_lo, exec_lo, s41
.LBB533_13:                             ;   in Loop: Header=BB533_9 Depth=2
	s_delay_alu instid0(SALU_CYCLE_1)
	s_or_b32 exec_lo, exec_lo, s40
	v_add_nc_u32_e32 v16, s30, v0
	s_wait_loadcnt_dscnt 0x0
	ds_store_b64 v1, v[40:41]
	v_cmp_le_u64_e32 vcc_lo, s[16:17], v[16:17]
	s_or_b32 s40, vcc_lo, s39
	s_delay_alu instid0(SALU_CYCLE_1) | instskip(NEXT) | instid1(SALU_CYCLE_1)
	s_and_saveexec_b32 s41, s40
	s_xor_b32 s40, exec_lo, s41
; %bb.14:                               ;   in Loop: Header=BB533_9 Depth=2
	ds_store_b32 v3, v17
; %bb.15:                               ;   in Loop: Header=BB533_9 Depth=2
	s_or_saveexec_b32 s40, s40
	v_mov_b32_e32 v29, 0
	s_xor_b32 exec_lo, exec_lo, s40
	s_cbranch_execz .LBB533_8
; %bb.16:                               ;   in Loop: Header=BB533_9 Depth=2
	v_mul_u64_e32 v[40:41], s[20:21], v[16:17]
	s_delay_alu instid0(VALU_DEP_1)
	v_lshl_add_u64 v[40:41], v[40:41], 3, v[22:23]
	flat_load_b64 v[40:41], v[40:41]
	s_wait_loadcnt_dscnt 0x0
	v_xor_b32_e32 v29, 0x80000000, v41
	ds_store_b32 v3, v40
	s_branch .LBB533_8
.LBB533_17:                             ;   in Loop: Header=BB533_6 Depth=1
	s_wait_loadcnt 0x0
	v_add_nc_u64_e32 v[18:19], s[26:27], v[18:19]
	s_delay_alu instid0(VALU_DEP_1)
	v_lshl_add_u64 v[20:21], v[10:11], 3, v[18:19]
	s_wait_xcnt 0x0
	s_and_saveexec_b32 s30, s35
	s_cbranch_execz .LBB533_22
; %bb.18:                               ;   in Loop: Header=BB533_6 Depth=1
	v_mov_b64_e32 v[22:23], s[4:5]
	v_mov_b64_e32 v[40:41], s[18:19]
	s_and_b32 vcc_lo, exec_lo, s34
	s_mov_b32 s31, -1
	s_delay_alu instid0(VALU_DEP_2) | instskip(NEXT) | instid1(VALU_DEP_1)
	v_pk_mul_f32 v[22:23], v[38:39], v[22:23] op_sel_hi:[0,1]
	v_pk_fma_f32 v[38:39], v[36:37], v[40:41], v[22:23] op_sel_hi:[0,1,1]
	v_pk_fma_f32 v[22:23], v[36:37], v[40:41], v[22:23] neg_lo:[0,0,1] neg_hi:[0,0,1]
	v_lshl_add_u64 v[36:37], v[8:9], 3, v[20:21]
	s_delay_alu instid0(VALU_DEP_3)
	v_mov_b32_e32 v23, v39
	s_cbranch_vccz .LBB533_20
; %bb.19:                               ;   in Loop: Header=BB533_6 Depth=1
	flat_load_b64 v[38:39], v[36:37]
	v_mov_b64_e32 v[40:41], s[6:7]
	v_mov_b64_e32 v[42:43], s[2:3]
	s_mov_b32 s31, 0
	s_wait_loadcnt_dscnt 0x0
	s_delay_alu instid0(VALU_DEP_2) | instskip(NEXT) | instid1(VALU_DEP_1)
	v_pk_mul_f32 v[40:41], v[38:39], v[40:41]
	v_pk_fma_f32 v[44:45], v[38:39], v[42:43], v[40:41] op_sel:[0,0,1] op_sel_hi:[1,1,0]
	v_pk_fma_f32 v[38:39], v[38:39], v[42:43], v[40:41] op_sel:[0,0,1] op_sel_hi:[1,1,0] neg_lo:[0,0,1] neg_hi:[0,0,1]
	s_delay_alu instid0(VALU_DEP_2) | instskip(NEXT) | instid1(VALU_DEP_1)
	v_mov_b32_e32 v39, v45
	v_pk_add_f32 v[38:39], v[22:23], v[38:39]
	flat_store_b64 v[36:37], v[38:39]
.LBB533_20:                             ;   in Loop: Header=BB533_6 Depth=1
	s_and_not1_b32 vcc_lo, exec_lo, s31
	s_cbranch_vccnz .LBB533_22
; %bb.21:                               ;   in Loop: Header=BB533_6 Depth=1
	flat_store_b64 v[36:37], v[22:23]
.LBB533_22:                             ;   in Loop: Header=BB533_6 Depth=1
	s_wait_xcnt 0x0
	s_or_b32 exec_lo, exec_lo, s30
	s_and_saveexec_b32 s30, s36
	s_cbranch_execz .LBB533_27
; %bb.23:                               ;   in Loop: Header=BB533_6 Depth=1
	v_mov_b64_e32 v[22:23], s[4:5]
	v_mov_b64_e32 v[36:37], s[18:19]
	v_lshl_add_u64 v[20:21], v[14:15], 3, v[20:21]
	s_and_not1_b32 vcc_lo, exec_lo, s34
	s_mov_b32 s31, -1
	s_delay_alu instid0(VALU_DEP_3) | instskip(NEXT) | instid1(VALU_DEP_1)
	v_pk_mul_f32 v[22:23], v[34:35], v[22:23] op_sel_hi:[0,1]
	v_pk_fma_f32 v[34:35], v[32:33], v[36:37], v[22:23] op_sel_hi:[0,1,1]
	v_pk_fma_f32 v[22:23], v[32:33], v[36:37], v[22:23] neg_lo:[0,0,1] neg_hi:[0,0,1]
	s_delay_alu instid0(VALU_DEP_2)
	v_mov_b32_e32 v23, v35
	s_cbranch_vccnz .LBB533_25
; %bb.24:                               ;   in Loop: Header=BB533_6 Depth=1
	flat_load_b64 v[32:33], v[20:21]
	v_mov_b64_e32 v[34:35], s[6:7]
	v_mov_b64_e32 v[36:37], s[2:3]
	s_mov_b32 s31, 0
	s_wait_loadcnt_dscnt 0x0
	s_delay_alu instid0(VALU_DEP_2) | instskip(NEXT) | instid1(VALU_DEP_1)
	v_pk_mul_f32 v[34:35], v[32:33], v[34:35]
	v_pk_fma_f32 v[38:39], v[32:33], v[36:37], v[34:35] op_sel:[0,0,1] op_sel_hi:[1,1,0]
	v_pk_fma_f32 v[32:33], v[32:33], v[36:37], v[34:35] op_sel:[0,0,1] op_sel_hi:[1,1,0] neg_lo:[0,0,1] neg_hi:[0,0,1]
	s_delay_alu instid0(VALU_DEP_2) | instskip(NEXT) | instid1(VALU_DEP_1)
	v_mov_b32_e32 v33, v39
	v_pk_add_f32 v[32:33], v[22:23], v[32:33]
	flat_store_b64 v[20:21], v[32:33]
.LBB533_25:                             ;   in Loop: Header=BB533_6 Depth=1
	s_and_not1_b32 vcc_lo, exec_lo, s31
	s_cbranch_vccnz .LBB533_27
; %bb.26:                               ;   in Loop: Header=BB533_6 Depth=1
	flat_store_b64 v[20:21], v[22:23]
.LBB533_27:                             ;   in Loop: Header=BB533_6 Depth=1
	s_wait_xcnt 0x0
	s_or_b32 exec_lo, exec_lo, s30
	v_lshl_add_u64 v[18:19], v[12:13], 3, v[18:19]
	s_and_saveexec_b32 s30, s1
	s_cbranch_execz .LBB533_32
; %bb.28:                               ;   in Loop: Header=BB533_6 Depth=1
	v_mov_b64_e32 v[20:21], s[4:5]
	v_mov_b64_e32 v[22:23], s[18:19]
	s_and_not1_b32 vcc_lo, exec_lo, s34
	s_mov_b32 s31, -1
	s_delay_alu instid0(VALU_DEP_2) | instskip(NEXT) | instid1(VALU_DEP_1)
	v_pk_mul_f32 v[20:21], v[30:31], v[20:21] op_sel_hi:[0,1]
	v_pk_fma_f32 v[30:31], v[28:29], v[22:23], v[20:21] op_sel_hi:[0,1,1]
	v_pk_fma_f32 v[20:21], v[28:29], v[22:23], v[20:21] neg_lo:[0,0,1] neg_hi:[0,0,1]
	v_lshl_add_u64 v[22:23], v[8:9], 3, v[18:19]
	s_delay_alu instid0(VALU_DEP_3)
	v_mov_b32_e32 v21, v31
	s_cbranch_vccnz .LBB533_30
; %bb.29:                               ;   in Loop: Header=BB533_6 Depth=1
	flat_load_b64 v[28:29], v[22:23]
	v_mov_b64_e32 v[30:31], s[6:7]
	v_mov_b64_e32 v[32:33], s[2:3]
	s_mov_b32 s31, 0
	s_wait_loadcnt_dscnt 0x0
	s_delay_alu instid0(VALU_DEP_2) | instskip(NEXT) | instid1(VALU_DEP_1)
	v_pk_mul_f32 v[30:31], v[28:29], v[30:31]
	v_pk_fma_f32 v[34:35], v[28:29], v[32:33], v[30:31] op_sel:[0,0,1] op_sel_hi:[1,1,0]
	v_pk_fma_f32 v[28:29], v[28:29], v[32:33], v[30:31] op_sel:[0,0,1] op_sel_hi:[1,1,0] neg_lo:[0,0,1] neg_hi:[0,0,1]
	s_delay_alu instid0(VALU_DEP_2) | instskip(NEXT) | instid1(VALU_DEP_1)
	v_mov_b32_e32 v29, v35
	v_pk_add_f32 v[28:29], v[20:21], v[28:29]
	flat_store_b64 v[22:23], v[28:29]
.LBB533_30:                             ;   in Loop: Header=BB533_6 Depth=1
	s_and_not1_b32 vcc_lo, exec_lo, s31
	s_cbranch_vccnz .LBB533_32
; %bb.31:                               ;   in Loop: Header=BB533_6 Depth=1
	flat_store_b64 v[22:23], v[20:21]
.LBB533_32:                             ;   in Loop: Header=BB533_6 Depth=1
	s_wait_xcnt 0x0
	s_or_b32 exec_lo, exec_lo, s30
	s_and_saveexec_b32 s30, s37
	s_cbranch_execz .LBB533_5
; %bb.33:                               ;   in Loop: Header=BB533_6 Depth=1
	v_mov_b64_e32 v[20:21], s[4:5]
	v_mov_b64_e32 v[22:23], s[18:19]
	v_lshl_add_u64 v[18:19], v[14:15], 3, v[18:19]
	s_and_not1_b32 vcc_lo, exec_lo, s34
	s_mov_b32 s31, -1
	s_delay_alu instid0(VALU_DEP_3) | instskip(NEXT) | instid1(VALU_DEP_1)
	v_pk_mul_f32 v[20:21], v[26:27], v[20:21] op_sel_hi:[0,1]
	v_pk_fma_f32 v[28:29], v[24:25], v[22:23], v[20:21] op_sel_hi:[0,1,1]
	v_pk_fma_f32 v[20:21], v[24:25], v[22:23], v[20:21] neg_lo:[0,0,1] neg_hi:[0,0,1]
	s_delay_alu instid0(VALU_DEP_2)
	v_mov_b32_e32 v21, v29
	s_cbranch_vccnz .LBB533_35
; %bb.34:                               ;   in Loop: Header=BB533_6 Depth=1
	flat_load_b64 v[22:23], v[18:19]
	v_mov_b64_e32 v[28:29], s[6:7]
	v_mov_b64_e32 v[30:31], s[2:3]
	s_mov_b32 s31, 0
	s_wait_loadcnt_dscnt 0x0
	s_delay_alu instid0(VALU_DEP_2) | instskip(NEXT) | instid1(VALU_DEP_1)
	v_pk_mul_f32 v[28:29], v[22:23], v[28:29]
	v_pk_fma_f32 v[32:33], v[22:23], v[30:31], v[28:29] op_sel:[0,0,1] op_sel_hi:[1,1,0]
	v_pk_fma_f32 v[22:23], v[22:23], v[30:31], v[28:29] op_sel:[0,0,1] op_sel_hi:[1,1,0] neg_lo:[0,0,1] neg_hi:[0,0,1]
	s_delay_alu instid0(VALU_DEP_2) | instskip(NEXT) | instid1(VALU_DEP_1)
	v_mov_b32_e32 v23, v33
	v_pk_add_f32 v[22:23], v[20:21], v[22:23]
	flat_store_b64 v[18:19], v[22:23]
.LBB533_35:                             ;   in Loop: Header=BB533_6 Depth=1
	s_and_not1_b32 vcc_lo, exec_lo, s31
	s_cbranch_vccnz .LBB533_5
; %bb.36:                               ;   in Loop: Header=BB533_6 Depth=1
	flat_store_b64 v[18:19], v[20:21]
	s_branch .LBB533_5
.LBB533_37:
	s_sendmsg sendmsg(MSG_DEALLOC_VGPRS)
	s_endpgm
	.section	.rodata,"a",@progbits
	.p2align	6, 0x0
	.amdhsa_kernel _ZL29rocblas_internal_gemmt_kernelIlLi16ELi32ELi8ELc78ELc67ELc76ELb0ELb1E19rocblas_complex_numIfES1_PKPKS1_PKPS1_EviT_T9_T10_S9_lSB_S9_lSA_T11_S9_li
		.amdhsa_group_segment_fixed_size 4096
		.amdhsa_private_segment_fixed_size 0
		.amdhsa_kernarg_size 108
		.amdhsa_user_sgpr_count 2
		.amdhsa_user_sgpr_dispatch_ptr 0
		.amdhsa_user_sgpr_queue_ptr 0
		.amdhsa_user_sgpr_kernarg_segment_ptr 1
		.amdhsa_user_sgpr_dispatch_id 0
		.amdhsa_user_sgpr_kernarg_preload_length 0
		.amdhsa_user_sgpr_kernarg_preload_offset 0
		.amdhsa_user_sgpr_private_segment_size 0
		.amdhsa_wavefront_size32 1
		.amdhsa_uses_dynamic_stack 0
		.amdhsa_enable_private_segment 0
		.amdhsa_system_sgpr_workgroup_id_x 1
		.amdhsa_system_sgpr_workgroup_id_y 1
		.amdhsa_system_sgpr_workgroup_id_z 1
		.amdhsa_system_sgpr_workgroup_info 0
		.amdhsa_system_vgpr_workitem_id 1
		.amdhsa_next_free_vgpr 72
		.amdhsa_next_free_sgpr 42
		.amdhsa_named_barrier_count 0
		.amdhsa_reserve_vcc 1
		.amdhsa_float_round_mode_32 0
		.amdhsa_float_round_mode_16_64 0
		.amdhsa_float_denorm_mode_32 3
		.amdhsa_float_denorm_mode_16_64 3
		.amdhsa_fp16_overflow 0
		.amdhsa_memory_ordered 1
		.amdhsa_forward_progress 1
		.amdhsa_inst_pref_size 26
		.amdhsa_round_robin_scheduling 0
		.amdhsa_exception_fp_ieee_invalid_op 0
		.amdhsa_exception_fp_denorm_src 0
		.amdhsa_exception_fp_ieee_div_zero 0
		.amdhsa_exception_fp_ieee_overflow 0
		.amdhsa_exception_fp_ieee_underflow 0
		.amdhsa_exception_fp_ieee_inexact 0
		.amdhsa_exception_int_div_zero 0
	.end_amdhsa_kernel
	.section	.text._ZL29rocblas_internal_gemmt_kernelIlLi16ELi32ELi8ELc78ELc67ELc76ELb0ELb1E19rocblas_complex_numIfES1_PKPKS1_PKPS1_EviT_T9_T10_S9_lSB_S9_lSA_T11_S9_li,"axG",@progbits,_ZL29rocblas_internal_gemmt_kernelIlLi16ELi32ELi8ELc78ELc67ELc76ELb0ELb1E19rocblas_complex_numIfES1_PKPKS1_PKPS1_EviT_T9_T10_S9_lSB_S9_lSA_T11_S9_li,comdat
.Lfunc_end533:
	.size	_ZL29rocblas_internal_gemmt_kernelIlLi16ELi32ELi8ELc78ELc67ELc76ELb0ELb1E19rocblas_complex_numIfES1_PKPKS1_PKPS1_EviT_T9_T10_S9_lSB_S9_lSA_T11_S9_li, .Lfunc_end533-_ZL29rocblas_internal_gemmt_kernelIlLi16ELi32ELi8ELc78ELc67ELc76ELb0ELb1E19rocblas_complex_numIfES1_PKPKS1_PKPS1_EviT_T9_T10_S9_lSB_S9_lSA_T11_S9_li
                                        ; -- End function
	.set _ZL29rocblas_internal_gemmt_kernelIlLi16ELi32ELi8ELc78ELc67ELc76ELb0ELb1E19rocblas_complex_numIfES1_PKPKS1_PKPS1_EviT_T9_T10_S9_lSB_S9_lSA_T11_S9_li.num_vgpr, 72
	.set _ZL29rocblas_internal_gemmt_kernelIlLi16ELi32ELi8ELc78ELc67ELc76ELb0ELb1E19rocblas_complex_numIfES1_PKPKS1_PKPS1_EviT_T9_T10_S9_lSB_S9_lSA_T11_S9_li.num_agpr, 0
	.set _ZL29rocblas_internal_gemmt_kernelIlLi16ELi32ELi8ELc78ELc67ELc76ELb0ELb1E19rocblas_complex_numIfES1_PKPKS1_PKPS1_EviT_T9_T10_S9_lSB_S9_lSA_T11_S9_li.numbered_sgpr, 42
	.set _ZL29rocblas_internal_gemmt_kernelIlLi16ELi32ELi8ELc78ELc67ELc76ELb0ELb1E19rocblas_complex_numIfES1_PKPKS1_PKPS1_EviT_T9_T10_S9_lSB_S9_lSA_T11_S9_li.num_named_barrier, 0
	.set _ZL29rocblas_internal_gemmt_kernelIlLi16ELi32ELi8ELc78ELc67ELc76ELb0ELb1E19rocblas_complex_numIfES1_PKPKS1_PKPS1_EviT_T9_T10_S9_lSB_S9_lSA_T11_S9_li.private_seg_size, 0
	.set _ZL29rocblas_internal_gemmt_kernelIlLi16ELi32ELi8ELc78ELc67ELc76ELb0ELb1E19rocblas_complex_numIfES1_PKPKS1_PKPS1_EviT_T9_T10_S9_lSB_S9_lSA_T11_S9_li.uses_vcc, 1
	.set _ZL29rocblas_internal_gemmt_kernelIlLi16ELi32ELi8ELc78ELc67ELc76ELb0ELb1E19rocblas_complex_numIfES1_PKPKS1_PKPS1_EviT_T9_T10_S9_lSB_S9_lSA_T11_S9_li.uses_flat_scratch, 0
	.set _ZL29rocblas_internal_gemmt_kernelIlLi16ELi32ELi8ELc78ELc67ELc76ELb0ELb1E19rocblas_complex_numIfES1_PKPKS1_PKPS1_EviT_T9_T10_S9_lSB_S9_lSA_T11_S9_li.has_dyn_sized_stack, 0
	.set _ZL29rocblas_internal_gemmt_kernelIlLi16ELi32ELi8ELc78ELc67ELc76ELb0ELb1E19rocblas_complex_numIfES1_PKPKS1_PKPS1_EviT_T9_T10_S9_lSB_S9_lSA_T11_S9_li.has_recursion, 0
	.set _ZL29rocblas_internal_gemmt_kernelIlLi16ELi32ELi8ELc78ELc67ELc76ELb0ELb1E19rocblas_complex_numIfES1_PKPKS1_PKPS1_EviT_T9_T10_S9_lSB_S9_lSA_T11_S9_li.has_indirect_call, 0
	.section	.AMDGPU.csdata,"",@progbits
; Kernel info:
; codeLenInByte = 3260
; TotalNumSgprs: 44
; NumVgprs: 72
; ScratchSize: 0
; MemoryBound: 0
; FloatMode: 240
; IeeeMode: 1
; LDSByteSize: 4096 bytes/workgroup (compile time only)
; SGPRBlocks: 0
; VGPRBlocks: 4
; NumSGPRsForWavesPerEU: 44
; NumVGPRsForWavesPerEU: 72
; NamedBarCnt: 0
; Occupancy: 12
; WaveLimiterHint : 1
; COMPUTE_PGM_RSRC2:SCRATCH_EN: 0
; COMPUTE_PGM_RSRC2:USER_SGPR: 2
; COMPUTE_PGM_RSRC2:TRAP_HANDLER: 0
; COMPUTE_PGM_RSRC2:TGID_X_EN: 1
; COMPUTE_PGM_RSRC2:TGID_Y_EN: 1
; COMPUTE_PGM_RSRC2:TGID_Z_EN: 1
; COMPUTE_PGM_RSRC2:TIDIG_COMP_CNT: 1
	.section	.text._ZL29rocblas_internal_gemmt_kernelIlLi16ELi32ELi8ELc84ELc78ELc76ELb0ELb0E19rocblas_complex_numIfES1_PKPKS1_PKPS1_EviT_T9_T10_S9_lSB_S9_lSA_T11_S9_li,"axG",@progbits,_ZL29rocblas_internal_gemmt_kernelIlLi16ELi32ELi8ELc84ELc78ELc76ELb0ELb0E19rocblas_complex_numIfES1_PKPKS1_PKPS1_EviT_T9_T10_S9_lSB_S9_lSA_T11_S9_li,comdat
	.globl	_ZL29rocblas_internal_gemmt_kernelIlLi16ELi32ELi8ELc84ELc78ELc76ELb0ELb0E19rocblas_complex_numIfES1_PKPKS1_PKPS1_EviT_T9_T10_S9_lSB_S9_lSA_T11_S9_li ; -- Begin function _ZL29rocblas_internal_gemmt_kernelIlLi16ELi32ELi8ELc84ELc78ELc76ELb0ELb0E19rocblas_complex_numIfES1_PKPKS1_PKPS1_EviT_T9_T10_S9_lSB_S9_lSA_T11_S9_li
	.p2align	8
	.type	_ZL29rocblas_internal_gemmt_kernelIlLi16ELi32ELi8ELc84ELc78ELc76ELb0ELb0E19rocblas_complex_numIfES1_PKPKS1_PKPS1_EviT_T9_T10_S9_lSB_S9_lSA_T11_S9_li,@function
_ZL29rocblas_internal_gemmt_kernelIlLi16ELi32ELi8ELc84ELc78ELc76ELb0ELb0E19rocblas_complex_numIfES1_PKPKS1_PKPS1_EviT_T9_T10_S9_lSB_S9_lSA_T11_S9_li: ; @_ZL29rocblas_internal_gemmt_kernelIlLi16ELi32ELi8ELc84ELc78ELc76ELb0ELb0E19rocblas_complex_numIfES1_PKPKS1_PKPS1_EviT_T9_T10_S9_lSB_S9_lSA_T11_S9_li
; %bb.0:
	s_clause 0x1
	s_load_b64 s[24:25], s[0:1], 0x48
	s_load_b128 s[16:19], s[0:1], 0x8
	s_wait_kmcnt 0x0
	s_cmp_neq_f32 s24, 1.0
	s_cselect_b32 s3, -1, 0
	s_and_b32 s4, s25, 0x7fffffff
	s_delay_alu instid0(SALU_CYCLE_1) | instskip(SKIP_3) | instid1(SALU_CYCLE_1)
	s_cmp_eq_u32 s4, 0
	s_cselect_b32 s2, -1, 0
	s_cmp_lg_u32 s4, 0
	s_cselect_b32 s4, -1, 0
	s_or_b32 s3, s3, s4
	s_delay_alu instid0(SALU_CYCLE_1)
	s_and_b32 vcc_lo, exec_lo, s3
	s_cbranch_vccnz .LBB534_2
; %bb.1:
	s_cmp_lg_u64 s[16:17], 0
	s_cselect_b32 s3, -1, 0
	s_cmp_neq_f32 s18, 0
	s_cselect_b32 s4, -1, 0
	s_cmp_neq_f32 s19, 0
	s_cselect_b32 s5, -1, 0
	s_delay_alu instid0(SALU_CYCLE_1) | instskip(NEXT) | instid1(SALU_CYCLE_1)
	s_or_b32 s4, s4, s5
	s_and_b32 s3, s3, s4
.LBB534_2:
	s_delay_alu instid0(SALU_CYCLE_1)
	s_and_not1_b32 vcc_lo, exec_lo, s3
	s_cbranch_vccnz .LBB534_35
; %bb.3:
	s_load_b32 s30, s[0:1], 0x68
	s_bfe_u32 s3, ttmp6, 0x40014
	s_lshr_b32 s4, ttmp7, 16
	s_add_co_i32 s3, s3, 1
	s_bfe_u32 s6, ttmp6, 0x40008
	s_mul_i32 s5, s4, s3
	s_getreg_b32 s3, hwreg(HW_REG_IB_STS2, 6, 4)
	s_add_co_i32 s6, s6, s5
	s_cmp_eq_u32 s3, 0
	s_mov_b32 s27, 0
	s_cselect_b32 s26, s4, s6
	s_wait_kmcnt 0x0
	s_cmp_ge_u32 s26, s30
	s_cbranch_scc1 .LBB534_35
; %bb.4:
	s_bfe_u32 s5, ttmp6, 0x4000c
	s_bfe_u32 s7, ttmp6, 0x40010
	s_and_b32 s6, ttmp7, 0xffff
	s_add_co_i32 s5, s5, 1
	s_add_co_i32 s7, s7, 1
	s_and_b32 s4, ttmp6, 15
	s_mul_i32 s5, ttmp9, s5
	s_mul_i32 s7, s6, s7
	s_bfe_u32 s8, ttmp6, 0x40004
	v_and_b32_e32 v9, 0x3ff, v0
	v_bfe_u32 v15, v0, 10, 10
	s_add_co_i32 s4, s4, s5
	s_add_co_i32 s5, s8, s7
	s_cmp_eq_u32 s3, 0
	s_load_b32 s33, s[0:1], 0x0
	s_cselect_b32 s3, ttmp9, s4
	s_cselect_b32 s4, s6, s5
	v_lshl_add_u32 v1, v15, 4, v9
	s_load_b256 s[8:15], s[0:1], 0x18
	s_lshl_b32 s31, s4, 5
	s_clause 0x1
	s_load_b128 s[4:7], s[0:1], 0x38
	s_load_b128 s[20:23], s[0:1], 0x50
	v_dual_lshrrev_b32 v2, 5, v1 :: v_dual_bitop2_b32 v0, 7, v0 bitop3:0x40
	v_dual_lshrrev_b32 v3, 3, v1 :: v_dual_bitop2_b32 v1, 31, v1 bitop3:0x40
	s_delay_alu instid0(VALU_DEP_2) | instskip(SKIP_2) | instid1(VALU_DEP_2)
	v_dual_add_nc_u32 v16, s31, v15 :: v_dual_lshlrev_b32 v8, 3, v0
	s_lshl_b32 s3, s3, 5
	s_cmp_neq_f32 s18, 0
	v_dual_add_nc_u32 v6, s31, v3 :: v_dual_bitop2_b32 v4, s3, v1 bitop3:0x54
	s_delay_alu instid0(VALU_DEP_2) | instskip(SKIP_2) | instid1(VALU_DEP_2)
	v_add_nc_u32_e32 v18, 16, v16
	s_cselect_b32 s34, -1, 0
	s_cmp_neq_f32 s19, 0
	v_dual_lshlrev_b32 v1, 3, v1 :: v_dual_ashrrev_i32 v5, 31, v4
	v_dual_ashrrev_i32 v7, 31, v6 :: v_dual_ashrrev_i32 v17, 31, v16
	v_ashrrev_i32_e32 v19, 31, v18
	s_load_b64 s[28:29], s[0:1], 0x60
	s_wait_xcnt 0x0
	s_cselect_b32 s0, -1, 0
	s_wait_kmcnt 0x0
	v_cmp_gt_i32_e64 s1, s33, v6
	s_or_b32 s37, s34, s0
	v_cmp_gt_i32_e64 s0, s33, v4
	v_mul_u64_e32 v[4:5], s[10:11], v[4:5]
	v_mul_u64_e32 v[6:7], s[4:5], v[6:7]
	;; [unrolled: 1-line block ×4, first 2 shown]
	v_lshl_or_b32 v3, v3, 6, v8
	v_dual_add_nc_u32 v8, s3, v9 :: v_dual_lshlrev_b32 v25, 3, v9
	s_cmp_neq_f32 s24, 0
	v_cmp_gt_i64_e64 s38, s[16:17], 0
	v_lshl_or_b32 v1, v2, 8, v1
	s_delay_alu instid0(VALU_DEP_3)
	v_dual_add_nc_u32 v14, 16, v8 :: v_dual_ashrrev_i32 v9, 31, v8
	s_cselect_b32 s3, -1, 0
	s_xor_b32 s4, s2, -1
	v_cmp_le_i32_e32 vcc_lo, v16, v8
	v_cmp_gt_i32_e64 s2, s33, v8
	s_or_b32 s31, s3, s4
	v_cmp_le_i32_e64 s3, v16, v14
	v_cmp_gt_i32_e64 s4, s33, v14
	v_cmp_le_i32_e64 s5, v18, v14
	s_and_b32 s33, vcc_lo, s2
	v_cmp_le_i32_e32 vcc_lo, v18, v8
	v_add_nc_u32_e32 v3, 0x800, v3
	v_lshl_add_u32 v27, v15, 6, 0x800
	v_dual_ashrrev_i32 v15, 31, v14 :: v_dual_mov_b32 v17, 0
	s_and_b32 s34, s3, s4
	s_and_b32 s35, vcc_lo, s2
	s_and_b32 s36, s5, s4
	s_mov_b32 s2, s24
	s_mov_b32 s3, s24
	;; [unrolled: 1-line block ×5, first 2 shown]
	s_and_b32 s37, s37, s38
	s_lshl_b64 s[6:7], s[6:7], 3
	s_lshl_b64 s[10:11], s[12:13], 3
	;; [unrolled: 1-line block ×3, first 2 shown]
	s_branch .LBB534_6
.LBB534_5:                              ;   in Loop: Header=BB534_6 Depth=1
	s_wait_xcnt 0x0
	s_or_b32 exec_lo, exec_lo, s22
	s_add_co_i32 s26, s26, 0x10000
	s_delay_alu instid0(SALU_CYCLE_1)
	s_cmp_lt_u32 s26, s30
	s_cbranch_scc0 .LBB534_35
.LBB534_6:                              ; =>This Loop Header: Depth=1
                                        ;     Child Loop BB534_9 Depth 2
	v_dual_mov_b32 v16, s26 :: v_dual_mov_b32 v36, v17
	v_dual_mov_b32 v38, v17 :: v_dual_mov_b32 v32, v17
	;; [unrolled: 1-line block ×3, first 2 shown]
	global_load_b64 v[18:19], v16, s[20:21] scale_offset
	v_dual_mov_b32 v30, v17 :: v_dual_mov_b32 v24, v17
	v_mov_b32_e32 v26, v17
	s_and_not1_b32 vcc_lo, exec_lo, s37
	s_cbranch_vccnz .LBB534_15
; %bb.7:                                ;   in Loop: Header=BB534_6 Depth=1
	s_lshl_b64 s[22:23], s[26:27], 3
	v_dual_mov_b32 v26, 0 :: v_dual_mov_b32 v24, 0
	s_add_nc_u64 s[28:29], s[8:9], s[22:23]
	s_add_nc_u64 s[22:23], s[14:15], s[22:23]
	s_clause 0x1
	global_load_b64 v[20:21], v17, s[28:29]
	global_load_b64 v[22:23], v17, s[22:23]
	v_dual_mov_b32 v30, 0 :: v_dual_mov_b32 v28, 0
	v_dual_mov_b32 v34, 0 :: v_dual_mov_b32 v32, 0
	;; [unrolled: 1-line block ×3, first 2 shown]
	s_wait_xcnt 0x0
	s_mov_b64 s[22:23], 0
	s_wait_loadcnt 0x1
	v_add_nc_u64_e32 v[20:21], s[10:11], v[20:21]
	s_wait_loadcnt 0x0
	v_add_nc_u64_e32 v[22:23], s[6:7], v[22:23]
	s_delay_alu instid0(VALU_DEP_2) | instskip(NEXT) | instid1(VALU_DEP_2)
	v_lshl_add_u64 v[20:21], v[4:5], 3, v[20:21]
	v_lshl_add_u64 v[22:23], v[6:7], 3, v[22:23]
	s_branch .LBB534_9
.LBB534_8:                              ;   in Loop: Header=BB534_9 Depth=2
	s_wait_xcnt 0x0
	s_or_b32 exec_lo, exec_lo, s28
	s_wait_loadcnt_dscnt 0x0
	ds_store_b64 v3, v[42:43]
	s_wait_dscnt 0x0
	s_barrier_signal -1
	s_barrier_wait -1
	ds_load_b128 v[40:43], v27
	ds_load_2addr_b64 v[44:47], v25 offset1:16
	ds_load_b128 v[48:51], v27 offset:1024
	ds_load_b128 v[52:55], v27 offset:16
	;; [unrolled: 1-line block ×4, first 2 shown]
	ds_load_2addr_b64 v[64:67], v25 offset0:32 offset1:48
	ds_load_b128 v[68:71], v27 offset:1040
	s_add_nc_u64 s[22:23], s[22:23], 8
	s_delay_alu instid0(SALU_CYCLE_1)
	v_cmp_gt_i64_e64 s28, s[16:17], s[22:23]
	s_and_b32 vcc_lo, exec_lo, s28
	s_wait_dscnt 0x6
	v_dual_mul_f32 v16, v41, v45 :: v_dual_mul_f32 v29, v40, v45
	v_dual_mul_f32 v31, v41, v47 :: v_dual_mul_f32 v33, v40, v47
	s_wait_dscnt 0x5
	v_dual_mul_f32 v35, v49, v45 :: v_dual_mul_f32 v37, v48, v45
	v_dual_mul_f32 v39, v49, v47 :: v_dual_mul_f32 v45, v48, v47
	v_dual_fma_f32 v16, v40, v44, -v16 :: v_dual_fmac_f32 v29, v41, v44
	v_dual_fma_f32 v31, v40, v46, -v31 :: v_dual_fmac_f32 v33, v41, v46
	s_delay_alu instid0(VALU_DEP_4) | instskip(NEXT) | instid1(VALU_DEP_3)
	v_dual_fma_f32 v35, v48, v44, -v35 :: v_dual_fmac_f32 v37, v49, v44
	v_dual_add_f32 v16, v36, v16 :: v_dual_add_f32 v36, v38, v29
	v_fma_f32 v29, v48, v46, -v39
	s_delay_alu instid0(VALU_DEP_4) | instskip(NEXT) | instid1(VALU_DEP_4)
	v_dual_add_f32 v32, v32, v31 :: v_dual_add_f32 v33, v34, v33
	v_dual_add_f32 v34, v28, v35 :: v_dual_add_f32 v35, v30, v37
	s_wait_dscnt 0x1
	v_dual_mul_f32 v37, v43, v65 :: v_dual_fmac_f32 v45, v49, v46
	v_add_f32_e32 v24, v24, v29
	ds_load_2addr_b64 v[28:31], v25 offset0:64 offset1:80
	v_dual_mul_f32 v38, v42, v65 :: v_dual_fma_f32 v37, v42, v64, -v37
	v_dual_mul_f32 v39, v43, v67 :: v_dual_add_f32 v26, v26, v45
	s_delay_alu instid0(VALU_DEP_2) | instskip(NEXT) | instid1(VALU_DEP_2)
	v_dual_mul_f32 v40, v42, v67 :: v_dual_fmac_f32 v38, v43, v64
	v_dual_add_f32 v16, v16, v37 :: v_dual_fma_f32 v37, v42, v66, -v39
	v_mul_f32_e32 v39, v51, v65
	s_delay_alu instid0(VALU_DEP_3) | instskip(NEXT) | instid1(VALU_DEP_4)
	v_fmac_f32_e32 v40, v43, v66
	v_dual_add_f32 v36, v36, v38 :: v_dual_mul_f32 v38, v50, v65
	s_delay_alu instid0(VALU_DEP_3) | instskip(NEXT) | instid1(VALU_DEP_3)
	v_dual_add_f32 v37, v32, v37 :: v_dual_fma_f32 v32, v50, v64, -v39
	v_dual_mul_f32 v39, v51, v67 :: v_dual_add_f32 v40, v33, v40
	s_delay_alu instid0(VALU_DEP_3) | instskip(SKIP_1) | instid1(VALU_DEP_3)
	v_dual_fmac_f32 v38, v51, v64 :: v_dual_mul_f32 v41, v50, v67
	s_wait_dscnt 0x0
	v_dual_add_f32 v42, v34, v32 :: v_dual_mul_f32 v33, v53, v29
	s_delay_alu instid0(VALU_DEP_3) | instskip(NEXT) | instid1(VALU_DEP_3)
	v_fma_f32 v32, v50, v66, -v39
	v_dual_add_f32 v38, v35, v38 :: v_dual_mul_f32 v39, v52, v29
	v_fmac_f32_e32 v41, v51, v66
	s_delay_alu instid0(VALU_DEP_4) | instskip(NEXT) | instid1(VALU_DEP_4)
	v_fma_f32 v43, v52, v28, -v33
	v_dual_add_f32 v24, v24, v32 :: v_dual_mul_f32 v44, v53, v31
	ds_load_2addr_b64 v[32:35], v25 offset0:96 offset1:112
	v_dual_fmac_f32 v39, v53, v28 :: v_dual_add_f32 v26, v26, v41
	v_add_f32_e32 v16, v16, v43
	v_dual_mul_f32 v41, v52, v31 :: v_dual_fma_f32 v43, v52, v30, -v44
	s_delay_alu instid0(VALU_DEP_3) | instskip(NEXT) | instid1(VALU_DEP_2)
	v_dual_add_f32 v36, v36, v39 :: v_dual_mul_f32 v39, v69, v29
	v_dual_mul_f32 v29, v68, v29 :: v_dual_fmac_f32 v41, v53, v30
	s_delay_alu instid0(VALU_DEP_3) | instskip(NEXT) | instid1(VALU_DEP_3)
	v_add_f32_e32 v37, v37, v43
	v_dual_mul_f32 v43, v69, v31 :: v_dual_fma_f32 v39, v68, v28, -v39
	s_delay_alu instid0(VALU_DEP_3) | instskip(NEXT) | instid1(VALU_DEP_4)
	v_dual_fmac_f32 v29, v69, v28 :: v_dual_mul_f32 v44, v68, v31
	v_add_f32_e32 v40, v40, v41
	s_delay_alu instid0(VALU_DEP_3) | instskip(NEXT) | instid1(VALU_DEP_3)
	v_dual_fma_f32 v28, v68, v30, -v43 :: v_dual_add_f32 v41, v42, v39
	v_dual_add_f32 v42, v38, v29 :: v_dual_fmac_f32 v44, v69, v30
	s_wait_dscnt 0x0
	s_delay_alu instid0(VALU_DEP_2) | instskip(SKIP_2) | instid1(VALU_DEP_1)
	v_dual_mul_f32 v38, v55, v33 :: v_dual_add_f32 v24, v24, v28
	ds_load_2addr_b64 v[28:31], v25 offset0:128 offset1:144
	v_dual_mul_f32 v39, v54, v33 :: v_dual_mul_f32 v43, v55, v35
	v_dual_fma_f32 v38, v54, v32, -v38 :: v_dual_fmac_f32 v39, v55, v32
	s_delay_alu instid0(VALU_DEP_1) | instskip(NEXT) | instid1(VALU_DEP_3)
	v_dual_add_f32 v26, v26, v44 :: v_dual_add_f32 v16, v16, v38
	v_dual_mul_f32 v44, v54, v35 :: v_dual_fma_f32 v43, v54, v34, -v43
	s_delay_alu instid0(VALU_DEP_3) | instskip(NEXT) | instid1(VALU_DEP_2)
	v_dual_mul_f32 v38, v71, v33 :: v_dual_add_f32 v45, v36, v39
	v_dual_mul_f32 v33, v70, v33 :: v_dual_fmac_f32 v44, v55, v34
	s_delay_alu instid0(VALU_DEP_2)
	v_dual_add_f32 v46, v37, v43 :: v_dual_fma_f32 v43, v70, v32, -v38
	v_mul_f32_e32 v47, v71, v35
	ds_load_b128 v[36:39], v27 offset:1056
	v_add_f32_e32 v44, v40, v44
	v_dual_fmac_f32 v33, v71, v32 :: v_dual_mul_f32 v40, v70, v35
	v_dual_fma_f32 v32, v70, v34, -v47 :: v_dual_add_f32 v47, v41, v43
	s_wait_dscnt 0x1
	v_mul_f32_e32 v35, v57, v29
	s_delay_alu instid0(VALU_DEP_3) | instskip(NEXT) | instid1(VALU_DEP_3)
	v_dual_add_f32 v48, v42, v33 :: v_dual_fmac_f32 v40, v71, v34
	v_add_f32_e32 v24, v24, v32
	s_delay_alu instid0(VALU_DEP_3) | instskip(NEXT) | instid1(VALU_DEP_3)
	v_dual_mul_f32 v49, v56, v29 :: v_dual_fma_f32 v41, v56, v28, -v35
	v_dual_mul_f32 v42, v57, v31 :: v_dual_add_f32 v26, v26, v40
	ds_load_2addr_b64 v[32:35], v25 offset0:160 offset1:176
	v_dual_fmac_f32 v49, v57, v28 :: v_dual_add_f32 v16, v16, v41
	v_dual_fma_f32 v50, v56, v30, -v42 :: v_dual_mul_f32 v51, v56, v31
	ds_load_b128 v[40:43], v27 offset:1072
	s_wait_dscnt 0x2
	v_dual_mul_f32 v52, v37, v29 :: v_dual_mul_f32 v29, v36, v29
	v_dual_add_f32 v45, v45, v49 :: v_dual_add_f32 v46, v46, v50
	s_delay_alu instid0(VALU_DEP_2) | instskip(NEXT) | instid1(VALU_DEP_3)
	v_dual_fmac_f32 v51, v57, v30 :: v_dual_fma_f32 v49, v36, v28, -v52
	v_dual_mul_f32 v50, v37, v31 :: v_dual_fmac_f32 v29, v37, v28
	s_delay_alu instid0(VALU_DEP_2) | instskip(NEXT) | instid1(VALU_DEP_2)
	v_dual_add_f32 v44, v44, v51 :: v_dual_add_f32 v47, v47, v49
	v_dual_mul_f32 v51, v36, v31 :: v_dual_fma_f32 v28, v36, v30, -v50
	s_delay_alu instid0(VALU_DEP_3) | instskip(SKIP_2) | instid1(VALU_DEP_3)
	v_add_f32_e32 v36, v48, v29
	s_wait_dscnt 0x1
	v_dual_mul_f32 v48, v59, v33 :: v_dual_mul_f32 v49, v59, v35
	v_dual_fmac_f32 v51, v37, v30 :: v_dual_add_f32 v24, v24, v28
	ds_load_2addr_b64 v[28:31], v25 offset0:192 offset1:208
	v_dual_mul_f32 v37, v58, v33 :: v_dual_fma_f32 v48, v58, v32, -v48
	s_delay_alu instid0(VALU_DEP_1) | instskip(NEXT) | instid1(VALU_DEP_2)
	v_dual_mul_f32 v50, v58, v35 :: v_dual_fmac_f32 v37, v59, v32
	v_dual_add_f32 v26, v26, v51 :: v_dual_add_f32 v16, v16, v48
	s_delay_alu instid0(VALU_DEP_2) | instskip(NEXT) | instid1(VALU_DEP_3)
	v_dual_fma_f32 v48, v58, v34, -v49 :: v_dual_fmac_f32 v50, v59, v34
	v_add_f32_e32 v37, v45, v37
	v_dual_mul_f32 v45, v39, v33 :: v_dual_mul_f32 v33, v38, v33
	s_delay_alu instid0(VALU_DEP_3) | instskip(NEXT) | instid1(VALU_DEP_2)
	v_dual_add_f32 v48, v46, v48 :: v_dual_mul_f32 v46, v39, v35
	v_dual_add_f32 v49, v44, v50 :: v_dual_fma_f32 v45, v38, v32, -v45
	s_delay_alu instid0(VALU_DEP_3) | instskip(SKIP_1) | instid1(VALU_DEP_3)
	v_dual_fmac_f32 v33, v39, v32 :: v_dual_mul_f32 v32, v38, v35
	s_wait_dscnt 0x0
	v_dual_fma_f32 v35, v38, v34, -v46 :: v_dual_mul_f32 v44, v61, v29
	s_delay_alu instid0(VALU_DEP_3) | instskip(NEXT) | instid1(VALU_DEP_3)
	v_add_f32_e32 v38, v47, v45
	v_dual_fmac_f32 v32, v39, v34 :: v_dual_mul_f32 v34, v60, v29
	s_delay_alu instid0(VALU_DEP_3) | instskip(NEXT) | instid1(VALU_DEP_4)
	v_add_f32_e32 v24, v24, v35
	v_fma_f32 v35, v60, v28, -v44
	ds_load_2addr_b64 v[44:47], v25 offset0:224 offset1:240
	v_dual_add_f32 v33, v36, v33 :: v_dual_add_f32 v26, v26, v32
	v_dual_mul_f32 v32, v61, v31 :: v_dual_fmac_f32 v34, v61, v28
	v_dual_add_f32 v16, v16, v35 :: v_dual_mul_f32 v36, v41, v29
	s_delay_alu instid0(VALU_DEP_2) | instskip(NEXT) | instid1(VALU_DEP_3)
	v_dual_mul_f32 v35, v60, v31 :: v_dual_fma_f32 v32, v60, v30, -v32
	v_dual_mul_f32 v29, v40, v29 :: v_dual_add_f32 v34, v37, v34
	s_delay_alu instid0(VALU_DEP_2) | instskip(NEXT) | instid1(VALU_DEP_3)
	v_dual_fma_f32 v36, v40, v28, -v36 :: v_dual_fmac_f32 v35, v61, v30
	v_add_f32_e32 v32, v48, v32
	s_delay_alu instid0(VALU_DEP_3) | instskip(SKIP_1) | instid1(VALU_DEP_4)
	v_dual_fmac_f32 v29, v41, v28 :: v_dual_mul_f32 v28, v41, v31
	v_mul_f32_e32 v31, v40, v31
	v_dual_add_f32 v35, v49, v35 :: v_dual_add_f32 v37, v38, v36
	s_delay_alu instid0(VALU_DEP_3) | instskip(SKIP_3) | instid1(VALU_DEP_3)
	v_dual_add_f32 v29, v33, v29 :: v_dual_fma_f32 v28, v40, v30, -v28
	s_wait_dscnt 0x0
	v_dual_mul_f32 v33, v63, v45 :: v_dual_mul_f32 v38, v62, v45
	v_dual_fmac_f32 v31, v41, v30 :: v_dual_mul_f32 v30, v63, v47
	v_add_f32_e32 v24, v24, v28
	s_delay_alu instid0(VALU_DEP_3) | instskip(NEXT) | instid1(VALU_DEP_3)
	v_dual_fma_f32 v28, v62, v44, -v33 :: v_dual_fmac_f32 v38, v63, v44
	v_dual_mul_f32 v33, v62, v47 :: v_dual_fma_f32 v30, v62, v46, -v30
	s_delay_alu instid0(VALU_DEP_2) | instskip(NEXT) | instid1(VALU_DEP_3)
	v_dual_add_f32 v26, v26, v31 :: v_dual_add_f32 v36, v16, v28
	v_dual_add_f32 v38, v34, v38 :: v_dual_mul_f32 v16, v43, v45
	s_delay_alu instid0(VALU_DEP_3) | instskip(NEXT) | instid1(VALU_DEP_4)
	v_fmac_f32_e32 v33, v63, v46
	v_dual_add_f32 v32, v32, v30 :: v_dual_mul_f32 v28, v43, v47
	v_dual_mul_f32 v30, v42, v45 :: v_dual_mul_f32 v31, v42, v47
	s_delay_alu instid0(VALU_DEP_3) | instskip(NEXT) | instid1(VALU_DEP_2)
	v_dual_add_f32 v34, v35, v33 :: v_dual_fma_f32 v16, v42, v44, -v16
	v_dual_fma_f32 v33, v42, v46, -v28 :: v_dual_fmac_f32 v30, v43, v44
	s_delay_alu instid0(VALU_DEP_3) | instskip(NEXT) | instid1(VALU_DEP_2)
	v_fmac_f32_e32 v31, v43, v46
	v_dual_add_f32 v28, v37, v16 :: v_dual_add_f32 v24, v24, v33
	s_delay_alu instid0(VALU_DEP_2)
	v_dual_add_f32 v30, v29, v30 :: v_dual_add_f32 v26, v26, v31
	s_barrier_signal -1
	s_barrier_wait -1
	s_cbranch_vccz .LBB534_15
.LBB534_9:                              ;   Parent Loop BB534_6 Depth=1
                                        ; =>  This Inner Loop Header: Depth=2
	v_dual_mov_b32 v40, 0 :: v_dual_mov_b32 v41, 0
	s_and_saveexec_b32 s28, s0
	s_cbranch_execz .LBB534_13
; %bb.10:                               ;   in Loop: Header=BB534_9 Depth=2
	v_dual_mov_b32 v41, 0 :: v_dual_add_nc_u32 v16, s22, v2
	v_mov_b32_e32 v40, 0
	s_mov_b32 s29, exec_lo
	s_delay_alu instid0(VALU_DEP_2)
	v_cmpx_gt_u64_e64 s[16:17], v[16:17]
	s_cbranch_execz .LBB534_12
; %bb.11:                               ;   in Loop: Header=BB534_9 Depth=2
	v_lshl_add_u64 v[40:41], v[16:17], 3, v[20:21]
	flat_load_b64 v[40:41], v[40:41]
.LBB534_12:                             ;   in Loop: Header=BB534_9 Depth=2
	s_wait_xcnt 0x0
	s_or_b32 exec_lo, exec_lo, s29
.LBB534_13:                             ;   in Loop: Header=BB534_9 Depth=2
	s_delay_alu instid0(SALU_CYCLE_1)
	s_or_b32 exec_lo, exec_lo, s28
	v_dual_add_nc_u32 v16, s22, v0 :: v_dual_mov_b32 v42, 0
	v_mov_b32_e32 v43, 0
	s_wait_loadcnt_dscnt 0x0
	ds_store_b64 v1, v[40:41]
	v_cmp_gt_u64_e32 vcc_lo, s[16:17], v[16:17]
	s_and_b32 s29, vcc_lo, s1
	s_delay_alu instid0(SALU_CYCLE_1)
	s_and_saveexec_b32 s28, s29
	s_cbranch_execz .LBB534_8
; %bb.14:                               ;   in Loop: Header=BB534_9 Depth=2
	v_lshl_add_u64 v[40:41], v[16:17], 3, v[22:23]
	flat_load_b64 v[42:43], v[40:41]
	s_branch .LBB534_8
.LBB534_15:                             ;   in Loop: Header=BB534_6 Depth=1
	s_wait_loadcnt 0x0
	v_add_nc_u64_e32 v[18:19], s[12:13], v[18:19]
	s_delay_alu instid0(VALU_DEP_1)
	v_lshl_add_u64 v[20:21], v[10:11], 3, v[18:19]
	s_wait_xcnt 0x0
	s_and_saveexec_b32 s22, s33
	s_cbranch_execz .LBB534_20
; %bb.16:                               ;   in Loop: Header=BB534_6 Depth=1
	v_mov_b64_e32 v[22:23], s[4:5]
	v_mov_b64_e32 v[40:41], s[18:19]
	s_and_b32 vcc_lo, exec_lo, s31
	s_mov_b32 s23, -1
	s_delay_alu instid0(VALU_DEP_2) | instskip(NEXT) | instid1(VALU_DEP_1)
	v_pk_mul_f32 v[22:23], v[38:39], v[22:23] op_sel_hi:[0,1]
	v_pk_fma_f32 v[38:39], v[36:37], v[40:41], v[22:23] op_sel_hi:[0,1,1]
	v_pk_fma_f32 v[22:23], v[36:37], v[40:41], v[22:23] neg_lo:[0,0,1] neg_hi:[0,0,1]
	v_lshl_add_u64 v[36:37], v[8:9], 3, v[20:21]
	s_delay_alu instid0(VALU_DEP_3)
	v_mov_b32_e32 v23, v39
	s_cbranch_vccz .LBB534_18
; %bb.17:                               ;   in Loop: Header=BB534_6 Depth=1
	flat_load_b64 v[38:39], v[36:37]
	v_mov_b64_e32 v[40:41], s[24:25]
	v_mov_b64_e32 v[42:43], s[2:3]
	s_mov_b32 s23, 0
	s_wait_loadcnt_dscnt 0x0
	s_delay_alu instid0(VALU_DEP_2) | instskip(NEXT) | instid1(VALU_DEP_1)
	v_pk_mul_f32 v[40:41], v[38:39], v[40:41]
	v_pk_fma_f32 v[44:45], v[38:39], v[42:43], v[40:41] op_sel:[0,0,1] op_sel_hi:[1,1,0]
	v_pk_fma_f32 v[38:39], v[38:39], v[42:43], v[40:41] op_sel:[0,0,1] op_sel_hi:[1,1,0] neg_lo:[0,0,1] neg_hi:[0,0,1]
	s_delay_alu instid0(VALU_DEP_2) | instskip(NEXT) | instid1(VALU_DEP_1)
	v_mov_b32_e32 v39, v45
	v_pk_add_f32 v[38:39], v[22:23], v[38:39]
	flat_store_b64 v[36:37], v[38:39]
.LBB534_18:                             ;   in Loop: Header=BB534_6 Depth=1
	s_and_not1_b32 vcc_lo, exec_lo, s23
	s_cbranch_vccnz .LBB534_20
; %bb.19:                               ;   in Loop: Header=BB534_6 Depth=1
	flat_store_b64 v[36:37], v[22:23]
.LBB534_20:                             ;   in Loop: Header=BB534_6 Depth=1
	s_wait_xcnt 0x0
	s_or_b32 exec_lo, exec_lo, s22
	s_and_saveexec_b32 s22, s34
	s_cbranch_execz .LBB534_25
; %bb.21:                               ;   in Loop: Header=BB534_6 Depth=1
	v_mov_b64_e32 v[22:23], s[4:5]
	v_mov_b64_e32 v[36:37], s[18:19]
	v_lshl_add_u64 v[20:21], v[14:15], 3, v[20:21]
	s_and_not1_b32 vcc_lo, exec_lo, s31
	s_mov_b32 s23, -1
	s_delay_alu instid0(VALU_DEP_3) | instskip(NEXT) | instid1(VALU_DEP_1)
	v_pk_mul_f32 v[22:23], v[34:35], v[22:23] op_sel_hi:[0,1]
	v_pk_fma_f32 v[34:35], v[32:33], v[36:37], v[22:23] op_sel_hi:[0,1,1]
	v_pk_fma_f32 v[22:23], v[32:33], v[36:37], v[22:23] neg_lo:[0,0,1] neg_hi:[0,0,1]
	s_delay_alu instid0(VALU_DEP_2)
	v_mov_b32_e32 v23, v35
	s_cbranch_vccnz .LBB534_23
; %bb.22:                               ;   in Loop: Header=BB534_6 Depth=1
	flat_load_b64 v[32:33], v[20:21]
	v_mov_b64_e32 v[34:35], s[24:25]
	v_mov_b64_e32 v[36:37], s[2:3]
	s_mov_b32 s23, 0
	s_wait_loadcnt_dscnt 0x0
	s_delay_alu instid0(VALU_DEP_2) | instskip(NEXT) | instid1(VALU_DEP_1)
	v_pk_mul_f32 v[34:35], v[32:33], v[34:35]
	v_pk_fma_f32 v[38:39], v[32:33], v[36:37], v[34:35] op_sel:[0,0,1] op_sel_hi:[1,1,0]
	v_pk_fma_f32 v[32:33], v[32:33], v[36:37], v[34:35] op_sel:[0,0,1] op_sel_hi:[1,1,0] neg_lo:[0,0,1] neg_hi:[0,0,1]
	s_delay_alu instid0(VALU_DEP_2) | instskip(NEXT) | instid1(VALU_DEP_1)
	v_mov_b32_e32 v33, v39
	v_pk_add_f32 v[32:33], v[22:23], v[32:33]
	flat_store_b64 v[20:21], v[32:33]
.LBB534_23:                             ;   in Loop: Header=BB534_6 Depth=1
	s_and_not1_b32 vcc_lo, exec_lo, s23
	s_cbranch_vccnz .LBB534_25
; %bb.24:                               ;   in Loop: Header=BB534_6 Depth=1
	flat_store_b64 v[20:21], v[22:23]
.LBB534_25:                             ;   in Loop: Header=BB534_6 Depth=1
	s_wait_xcnt 0x0
	s_or_b32 exec_lo, exec_lo, s22
	v_lshl_add_u64 v[18:19], v[12:13], 3, v[18:19]
	s_and_saveexec_b32 s22, s35
	s_cbranch_execz .LBB534_30
; %bb.26:                               ;   in Loop: Header=BB534_6 Depth=1
	v_mov_b64_e32 v[20:21], s[4:5]
	v_mov_b64_e32 v[22:23], s[18:19]
	s_and_not1_b32 vcc_lo, exec_lo, s31
	s_mov_b32 s23, -1
	s_delay_alu instid0(VALU_DEP_2) | instskip(NEXT) | instid1(VALU_DEP_1)
	v_pk_mul_f32 v[20:21], v[30:31], v[20:21] op_sel_hi:[0,1]
	v_pk_fma_f32 v[30:31], v[28:29], v[22:23], v[20:21] op_sel_hi:[0,1,1]
	v_pk_fma_f32 v[20:21], v[28:29], v[22:23], v[20:21] neg_lo:[0,0,1] neg_hi:[0,0,1]
	v_lshl_add_u64 v[22:23], v[8:9], 3, v[18:19]
	s_delay_alu instid0(VALU_DEP_3)
	v_mov_b32_e32 v21, v31
	s_cbranch_vccnz .LBB534_28
; %bb.27:                               ;   in Loop: Header=BB534_6 Depth=1
	flat_load_b64 v[28:29], v[22:23]
	v_mov_b64_e32 v[30:31], s[24:25]
	v_mov_b64_e32 v[32:33], s[2:3]
	s_mov_b32 s23, 0
	s_wait_loadcnt_dscnt 0x0
	s_delay_alu instid0(VALU_DEP_2) | instskip(NEXT) | instid1(VALU_DEP_1)
	v_pk_mul_f32 v[30:31], v[28:29], v[30:31]
	v_pk_fma_f32 v[34:35], v[28:29], v[32:33], v[30:31] op_sel:[0,0,1] op_sel_hi:[1,1,0]
	v_pk_fma_f32 v[28:29], v[28:29], v[32:33], v[30:31] op_sel:[0,0,1] op_sel_hi:[1,1,0] neg_lo:[0,0,1] neg_hi:[0,0,1]
	s_delay_alu instid0(VALU_DEP_2) | instskip(NEXT) | instid1(VALU_DEP_1)
	v_mov_b32_e32 v29, v35
	v_pk_add_f32 v[28:29], v[20:21], v[28:29]
	flat_store_b64 v[22:23], v[28:29]
.LBB534_28:                             ;   in Loop: Header=BB534_6 Depth=1
	s_and_not1_b32 vcc_lo, exec_lo, s23
	s_cbranch_vccnz .LBB534_30
; %bb.29:                               ;   in Loop: Header=BB534_6 Depth=1
	flat_store_b64 v[22:23], v[20:21]
.LBB534_30:                             ;   in Loop: Header=BB534_6 Depth=1
	s_wait_xcnt 0x0
	s_or_b32 exec_lo, exec_lo, s22
	s_and_saveexec_b32 s22, s36
	s_cbranch_execz .LBB534_5
; %bb.31:                               ;   in Loop: Header=BB534_6 Depth=1
	v_mov_b64_e32 v[20:21], s[4:5]
	v_mov_b64_e32 v[22:23], s[18:19]
	v_lshl_add_u64 v[18:19], v[14:15], 3, v[18:19]
	s_and_not1_b32 vcc_lo, exec_lo, s31
	s_mov_b32 s23, -1
	s_delay_alu instid0(VALU_DEP_3) | instskip(NEXT) | instid1(VALU_DEP_1)
	v_pk_mul_f32 v[20:21], v[26:27], v[20:21] op_sel_hi:[0,1]
	v_pk_fma_f32 v[28:29], v[24:25], v[22:23], v[20:21] op_sel_hi:[0,1,1]
	v_pk_fma_f32 v[20:21], v[24:25], v[22:23], v[20:21] neg_lo:[0,0,1] neg_hi:[0,0,1]
	s_delay_alu instid0(VALU_DEP_2)
	v_mov_b32_e32 v21, v29
	s_cbranch_vccnz .LBB534_33
; %bb.32:                               ;   in Loop: Header=BB534_6 Depth=1
	flat_load_b64 v[22:23], v[18:19]
	v_mov_b64_e32 v[28:29], s[24:25]
	v_mov_b64_e32 v[30:31], s[2:3]
	s_mov_b32 s23, 0
	s_wait_loadcnt_dscnt 0x0
	s_delay_alu instid0(VALU_DEP_2) | instskip(NEXT) | instid1(VALU_DEP_1)
	v_pk_mul_f32 v[28:29], v[22:23], v[28:29]
	v_pk_fma_f32 v[32:33], v[22:23], v[30:31], v[28:29] op_sel:[0,0,1] op_sel_hi:[1,1,0]
	v_pk_fma_f32 v[22:23], v[22:23], v[30:31], v[28:29] op_sel:[0,0,1] op_sel_hi:[1,1,0] neg_lo:[0,0,1] neg_hi:[0,0,1]
	s_delay_alu instid0(VALU_DEP_2) | instskip(NEXT) | instid1(VALU_DEP_1)
	v_mov_b32_e32 v23, v33
	v_pk_add_f32 v[22:23], v[20:21], v[22:23]
	flat_store_b64 v[18:19], v[22:23]
.LBB534_33:                             ;   in Loop: Header=BB534_6 Depth=1
	s_and_not1_b32 vcc_lo, exec_lo, s23
	s_cbranch_vccnz .LBB534_5
; %bb.34:                               ;   in Loop: Header=BB534_6 Depth=1
	flat_store_b64 v[18:19], v[20:21]
	s_branch .LBB534_5
.LBB534_35:
	s_sendmsg sendmsg(MSG_DEALLOC_VGPRS)
	s_endpgm
	.section	.rodata,"a",@progbits
	.p2align	6, 0x0
	.amdhsa_kernel _ZL29rocblas_internal_gemmt_kernelIlLi16ELi32ELi8ELc84ELc78ELc76ELb0ELb0E19rocblas_complex_numIfES1_PKPKS1_PKPS1_EviT_T9_T10_S9_lSB_S9_lSA_T11_S9_li
		.amdhsa_group_segment_fixed_size 4096
		.amdhsa_private_segment_fixed_size 0
		.amdhsa_kernarg_size 108
		.amdhsa_user_sgpr_count 2
		.amdhsa_user_sgpr_dispatch_ptr 0
		.amdhsa_user_sgpr_queue_ptr 0
		.amdhsa_user_sgpr_kernarg_segment_ptr 1
		.amdhsa_user_sgpr_dispatch_id 0
		.amdhsa_user_sgpr_kernarg_preload_length 0
		.amdhsa_user_sgpr_kernarg_preload_offset 0
		.amdhsa_user_sgpr_private_segment_size 0
		.amdhsa_wavefront_size32 1
		.amdhsa_uses_dynamic_stack 0
		.amdhsa_enable_private_segment 0
		.amdhsa_system_sgpr_workgroup_id_x 1
		.amdhsa_system_sgpr_workgroup_id_y 1
		.amdhsa_system_sgpr_workgroup_id_z 1
		.amdhsa_system_sgpr_workgroup_info 0
		.amdhsa_system_vgpr_workitem_id 1
		.amdhsa_next_free_vgpr 72
		.amdhsa_next_free_sgpr 39
		.amdhsa_named_barrier_count 0
		.amdhsa_reserve_vcc 1
		.amdhsa_float_round_mode_32 0
		.amdhsa_float_round_mode_16_64 0
		.amdhsa_float_denorm_mode_32 3
		.amdhsa_float_denorm_mode_16_64 3
		.amdhsa_fp16_overflow 0
		.amdhsa_memory_ordered 1
		.amdhsa_forward_progress 1
		.amdhsa_inst_pref_size 26
		.amdhsa_round_robin_scheduling 0
		.amdhsa_exception_fp_ieee_invalid_op 0
		.amdhsa_exception_fp_denorm_src 0
		.amdhsa_exception_fp_ieee_div_zero 0
		.amdhsa_exception_fp_ieee_overflow 0
		.amdhsa_exception_fp_ieee_underflow 0
		.amdhsa_exception_fp_ieee_inexact 0
		.amdhsa_exception_int_div_zero 0
	.end_amdhsa_kernel
	.section	.text._ZL29rocblas_internal_gemmt_kernelIlLi16ELi32ELi8ELc84ELc78ELc76ELb0ELb0E19rocblas_complex_numIfES1_PKPKS1_PKPS1_EviT_T9_T10_S9_lSB_S9_lSA_T11_S9_li,"axG",@progbits,_ZL29rocblas_internal_gemmt_kernelIlLi16ELi32ELi8ELc84ELc78ELc76ELb0ELb0E19rocblas_complex_numIfES1_PKPKS1_PKPS1_EviT_T9_T10_S9_lSB_S9_lSA_T11_S9_li,comdat
.Lfunc_end534:
	.size	_ZL29rocblas_internal_gemmt_kernelIlLi16ELi32ELi8ELc84ELc78ELc76ELb0ELb0E19rocblas_complex_numIfES1_PKPKS1_PKPS1_EviT_T9_T10_S9_lSB_S9_lSA_T11_S9_li, .Lfunc_end534-_ZL29rocblas_internal_gemmt_kernelIlLi16ELi32ELi8ELc84ELc78ELc76ELb0ELb0E19rocblas_complex_numIfES1_PKPKS1_PKPS1_EviT_T9_T10_S9_lSB_S9_lSA_T11_S9_li
                                        ; -- End function
	.set _ZL29rocblas_internal_gemmt_kernelIlLi16ELi32ELi8ELc84ELc78ELc76ELb0ELb0E19rocblas_complex_numIfES1_PKPKS1_PKPS1_EviT_T9_T10_S9_lSB_S9_lSA_T11_S9_li.num_vgpr, 72
	.set _ZL29rocblas_internal_gemmt_kernelIlLi16ELi32ELi8ELc84ELc78ELc76ELb0ELb0E19rocblas_complex_numIfES1_PKPKS1_PKPS1_EviT_T9_T10_S9_lSB_S9_lSA_T11_S9_li.num_agpr, 0
	.set _ZL29rocblas_internal_gemmt_kernelIlLi16ELi32ELi8ELc84ELc78ELc76ELb0ELb0E19rocblas_complex_numIfES1_PKPKS1_PKPS1_EviT_T9_T10_S9_lSB_S9_lSA_T11_S9_li.numbered_sgpr, 39
	.set _ZL29rocblas_internal_gemmt_kernelIlLi16ELi32ELi8ELc84ELc78ELc76ELb0ELb0E19rocblas_complex_numIfES1_PKPKS1_PKPS1_EviT_T9_T10_S9_lSB_S9_lSA_T11_S9_li.num_named_barrier, 0
	.set _ZL29rocblas_internal_gemmt_kernelIlLi16ELi32ELi8ELc84ELc78ELc76ELb0ELb0E19rocblas_complex_numIfES1_PKPKS1_PKPS1_EviT_T9_T10_S9_lSB_S9_lSA_T11_S9_li.private_seg_size, 0
	.set _ZL29rocblas_internal_gemmt_kernelIlLi16ELi32ELi8ELc84ELc78ELc76ELb0ELb0E19rocblas_complex_numIfES1_PKPKS1_PKPS1_EviT_T9_T10_S9_lSB_S9_lSA_T11_S9_li.uses_vcc, 1
	.set _ZL29rocblas_internal_gemmt_kernelIlLi16ELi32ELi8ELc84ELc78ELc76ELb0ELb0E19rocblas_complex_numIfES1_PKPKS1_PKPS1_EviT_T9_T10_S9_lSB_S9_lSA_T11_S9_li.uses_flat_scratch, 0
	.set _ZL29rocblas_internal_gemmt_kernelIlLi16ELi32ELi8ELc84ELc78ELc76ELb0ELb0E19rocblas_complex_numIfES1_PKPKS1_PKPS1_EviT_T9_T10_S9_lSB_S9_lSA_T11_S9_li.has_dyn_sized_stack, 0
	.set _ZL29rocblas_internal_gemmt_kernelIlLi16ELi32ELi8ELc84ELc78ELc76ELb0ELb0E19rocblas_complex_numIfES1_PKPKS1_PKPS1_EviT_T9_T10_S9_lSB_S9_lSA_T11_S9_li.has_recursion, 0
	.set _ZL29rocblas_internal_gemmt_kernelIlLi16ELi32ELi8ELc84ELc78ELc76ELb0ELb0E19rocblas_complex_numIfES1_PKPKS1_PKPS1_EviT_T9_T10_S9_lSB_S9_lSA_T11_S9_li.has_indirect_call, 0
	.section	.AMDGPU.csdata,"",@progbits
; Kernel info:
; codeLenInByte = 3232
; TotalNumSgprs: 41
; NumVgprs: 72
; ScratchSize: 0
; MemoryBound: 0
; FloatMode: 240
; IeeeMode: 1
; LDSByteSize: 4096 bytes/workgroup (compile time only)
; SGPRBlocks: 0
; VGPRBlocks: 4
; NumSGPRsForWavesPerEU: 41
; NumVGPRsForWavesPerEU: 72
; NamedBarCnt: 0
; Occupancy: 12
; WaveLimiterHint : 1
; COMPUTE_PGM_RSRC2:SCRATCH_EN: 0
; COMPUTE_PGM_RSRC2:USER_SGPR: 2
; COMPUTE_PGM_RSRC2:TRAP_HANDLER: 0
; COMPUTE_PGM_RSRC2:TGID_X_EN: 1
; COMPUTE_PGM_RSRC2:TGID_Y_EN: 1
; COMPUTE_PGM_RSRC2:TGID_Z_EN: 1
; COMPUTE_PGM_RSRC2:TIDIG_COMP_CNT: 1
	.section	.text._ZL29rocblas_internal_gemmt_kernelIlLi16ELi32ELi8ELc84ELc84ELc76ELb0ELb0E19rocblas_complex_numIfES1_PKPKS1_PKPS1_EviT_T9_T10_S9_lSB_S9_lSA_T11_S9_li,"axG",@progbits,_ZL29rocblas_internal_gemmt_kernelIlLi16ELi32ELi8ELc84ELc84ELc76ELb0ELb0E19rocblas_complex_numIfES1_PKPKS1_PKPS1_EviT_T9_T10_S9_lSB_S9_lSA_T11_S9_li,comdat
	.globl	_ZL29rocblas_internal_gemmt_kernelIlLi16ELi32ELi8ELc84ELc84ELc76ELb0ELb0E19rocblas_complex_numIfES1_PKPKS1_PKPS1_EviT_T9_T10_S9_lSB_S9_lSA_T11_S9_li ; -- Begin function _ZL29rocblas_internal_gemmt_kernelIlLi16ELi32ELi8ELc84ELc84ELc76ELb0ELb0E19rocblas_complex_numIfES1_PKPKS1_PKPS1_EviT_T9_T10_S9_lSB_S9_lSA_T11_S9_li
	.p2align	8
	.type	_ZL29rocblas_internal_gemmt_kernelIlLi16ELi32ELi8ELc84ELc84ELc76ELb0ELb0E19rocblas_complex_numIfES1_PKPKS1_PKPS1_EviT_T9_T10_S9_lSB_S9_lSA_T11_S9_li,@function
_ZL29rocblas_internal_gemmt_kernelIlLi16ELi32ELi8ELc84ELc84ELc76ELb0ELb0E19rocblas_complex_numIfES1_PKPKS1_PKPS1_EviT_T9_T10_S9_lSB_S9_lSA_T11_S9_li: ; @_ZL29rocblas_internal_gemmt_kernelIlLi16ELi32ELi8ELc84ELc84ELc76ELb0ELb0E19rocblas_complex_numIfES1_PKPKS1_PKPS1_EviT_T9_T10_S9_lSB_S9_lSA_T11_S9_li
; %bb.0:
	s_clause 0x1
	s_load_b64 s[6:7], s[0:1], 0x48
	s_load_b128 s[16:19], s[0:1], 0x8
	s_wait_kmcnt 0x0
	s_cmp_neq_f32 s6, 1.0
	s_cselect_b32 s3, -1, 0
	s_and_b32 s4, s7, 0x7fffffff
	s_delay_alu instid0(SALU_CYCLE_1) | instskip(SKIP_3) | instid1(SALU_CYCLE_1)
	s_cmp_eq_u32 s4, 0
	s_cselect_b32 s2, -1, 0
	s_cmp_lg_u32 s4, 0
	s_cselect_b32 s4, -1, 0
	s_or_b32 s3, s3, s4
	s_delay_alu instid0(SALU_CYCLE_1)
	s_and_b32 vcc_lo, exec_lo, s3
	s_cbranch_vccnz .LBB535_2
; %bb.1:
	s_cmp_lg_u64 s[16:17], 0
	s_cselect_b32 s3, -1, 0
	s_cmp_neq_f32 s18, 0
	s_cselect_b32 s4, -1, 0
	s_cmp_neq_f32 s19, 0
	s_cselect_b32 s5, -1, 0
	s_delay_alu instid0(SALU_CYCLE_1) | instskip(NEXT) | instid1(SALU_CYCLE_1)
	s_or_b32 s4, s4, s5
	s_and_b32 s3, s3, s4
.LBB535_2:
	s_delay_alu instid0(SALU_CYCLE_1)
	s_and_not1_b32 vcc_lo, exec_lo, s3
	s_cbranch_vccnz .LBB535_35
; %bb.3:
	s_load_b32 s30, s[0:1], 0x68
	s_bfe_u32 s3, ttmp6, 0x40014
	s_lshr_b32 s4, ttmp7, 16
	s_add_co_i32 s3, s3, 1
	s_bfe_u32 s8, ttmp6, 0x40008
	s_mul_i32 s5, s4, s3
	s_getreg_b32 s3, hwreg(HW_REG_IB_STS2, 6, 4)
	s_add_co_i32 s8, s8, s5
	s_cmp_eq_u32 s3, 0
	s_mov_b32 s29, 0
	s_cselect_b32 s28, s4, s8
	s_wait_kmcnt 0x0
	s_cmp_ge_u32 s28, s30
	s_cbranch_scc1 .LBB535_35
; %bb.4:
	v_and_b32_e32 v9, 0x3ff, v0
	v_bfe_u32 v15, v0, 10, 10
	s_bfe_u32 s8, ttmp6, 0x4000c
	s_bfe_u32 s9, ttmp6, 0x40010
	s_and_b32 s20, ttmp7, 0xffff
	s_add_co_i32 s8, s8, 1
	s_add_co_i32 s9, s9, 1
	s_and_b32 s5, ttmp6, 15
	v_lshl_add_u32 v1, v15, 4, v9
	s_mul_i32 s8, ttmp9, s8
	s_mul_i32 s9, s20, s9
	s_bfe_u32 s10, ttmp6, 0x40004
	s_add_co_i32 s5, s5, s8
	s_add_co_i32 s21, s10, s9
	s_cmp_eq_u32 s3, 0
	v_dual_lshrrev_b32 v2, 5, v1 :: v_dual_bitop2_b32 v0, 7, v0 bitop3:0x40
	s_clause 0x1
	s_load_b32 s4, s[0:1], 0x0
	s_load_b256 s[8:15], s[0:1], 0x18
	s_cselect_b32 s3, ttmp9, s5
	s_cselect_b32 s5, s20, s21
	v_dual_lshrrev_b32 v3, 3, v1 :: v_dual_bitop2_b32 v1, 31, v1 bitop3:0x40
	s_clause 0x1
	s_load_b128 s[20:23], s[0:1], 0x38
	s_load_b128 s[24:27], s[0:1], 0x50
	s_lshl_b32 s3, s3, 5
	s_lshl_b32 s5, s5, 5
	s_cmp_neq_f32 s18, 0
	v_dual_add_nc_u32 v4, s5, v3 :: v_dual_bitop2_b32 v6, s3, v1 bitop3:0x54
	v_dual_lshlrev_b32 v1, 3, v1 :: v_dual_add_nc_u32 v16, s5, v15
	s_cselect_b32 s31, -1, 0
	s_cmp_neq_f32 s19, 0
	s_delay_alu instid0(VALU_DEP_2) | instskip(NEXT) | instid1(VALU_DEP_2)
	v_dual_lshlrev_b32 v5, 3, v0 :: v_dual_ashrrev_i32 v7, 31, v6
	v_dual_add_nc_u32 v18, 16, v16 :: v_dual_ashrrev_i32 v17, 31, v16
	s_load_b64 s[38:39], s[0:1], 0x60
	s_wait_xcnt 0x0
	s_cselect_b32 s0, -1, 0
	s_delay_alu instid0(VALU_DEP_1)
	v_dual_add_nc_u32 v8, s3, v9 :: v_dual_ashrrev_i32 v19, 31, v18
	s_or_b32 s37, s31, s0
	s_wait_kmcnt 0x0
	v_cmp_gt_i32_e64 s0, s4, v6
	v_mul_u64_e32 v[6:7], s[10:11], v[6:7]
	v_mul_u64_e32 v[10:11], s[26:27], v[16:17]
	;; [unrolled: 1-line block ×3, first 2 shown]
	s_cmp_neq_f32 s6, 0
	v_add_nc_u32_e32 v14, 16, v8
	v_cmp_le_i32_e32 vcc_lo, v16, v8
	v_lshl_or_b32 v3, v3, 6, v5
	s_cselect_b32 s3, -1, 0
	s_xor_b32 s5, s2, -1
	v_cmp_gt_i32_e64 s2, s4, v8
	v_cmp_gt_i64_e64 s40, s[16:17], 0
	v_cmp_gt_i32_e64 s1, s4, v4
	v_dual_ashrrev_i32 v5, 31, v4 :: v_dual_lshlrev_b32 v25, 3, v9
	s_or_b32 s31, s3, s5
	s_and_b32 s33, vcc_lo, s2
	v_cmp_le_i32_e32 vcc_lo, v18, v8
	v_ashrrev_i32_e32 v9, 31, v8
	v_cmp_le_i32_e64 s3, v16, v14
	v_cmp_gt_i32_e64 s4, s4, v14
	v_cmp_le_i32_e64 s5, v18, v14
	v_lshl_or_b32 v1, v2, 8, v1
	v_add_nc_u32_e32 v3, 0x800, v3
	v_lshl_add_u32 v27, v15, 6, 0x800
	v_dual_ashrrev_i32 v15, 31, v14 :: v_dual_mov_b32 v17, 0
	s_and_b32 s34, s3, s4
	s_and_b32 s35, vcc_lo, s2
	s_and_b32 s36, s5, s4
	s_mov_b32 s2, s6
	s_mov_b32 s3, s6
	s_mov_b32 s6, s7
	s_mov_b32 s4, s19
	s_mov_b32 s5, s18
	s_and_b32 s37, s37, s40
	s_lshl_b64 s[10:11], s[22:23], 3
	s_lshl_b64 s[12:13], s[12:13], 3
	;; [unrolled: 1-line block ×3, first 2 shown]
	s_branch .LBB535_6
.LBB535_5:                              ;   in Loop: Header=BB535_6 Depth=1
	s_wait_xcnt 0x0
	s_or_b32 exec_lo, exec_lo, s26
	s_add_co_i32 s28, s28, 0x10000
	s_delay_alu instid0(SALU_CYCLE_1)
	s_cmp_lt_u32 s28, s30
	s_cbranch_scc0 .LBB535_35
.LBB535_6:                              ; =>This Loop Header: Depth=1
                                        ;     Child Loop BB535_9 Depth 2
	v_dual_mov_b32 v16, s28 :: v_dual_mov_b32 v36, v17
	v_dual_mov_b32 v38, v17 :: v_dual_mov_b32 v32, v17
	;; [unrolled: 1-line block ×3, first 2 shown]
	global_load_b64 v[18:19], v16, s[24:25] scale_offset
	v_dual_mov_b32 v30, v17 :: v_dual_mov_b32 v24, v17
	v_mov_b32_e32 v26, v17
	s_and_not1_b32 vcc_lo, exec_lo, s37
	s_cbranch_vccnz .LBB535_15
; %bb.7:                                ;   in Loop: Header=BB535_6 Depth=1
	s_lshl_b64 s[26:27], s[28:29], 3
	v_dual_mov_b32 v26, 0 :: v_dual_mov_b32 v24, 0
	s_add_nc_u64 s[38:39], s[8:9], s[26:27]
	s_add_nc_u64 s[26:27], s[14:15], s[26:27]
	s_clause 0x1
	global_load_b64 v[20:21], v17, s[38:39]
	global_load_b64 v[22:23], v17, s[26:27]
	v_dual_mov_b32 v30, 0 :: v_dual_mov_b32 v28, 0
	v_dual_mov_b32 v34, 0 :: v_dual_mov_b32 v32, 0
	;; [unrolled: 1-line block ×3, first 2 shown]
	s_wait_xcnt 0x0
	s_mov_b64 s[26:27], 0
	s_wait_loadcnt 0x1
	v_add_nc_u64_e32 v[20:21], s[12:13], v[20:21]
	s_wait_loadcnt 0x0
	v_add_nc_u64_e32 v[22:23], s[10:11], v[22:23]
	s_delay_alu instid0(VALU_DEP_2) | instskip(NEXT) | instid1(VALU_DEP_2)
	v_lshl_add_u64 v[20:21], v[6:7], 3, v[20:21]
	v_lshl_add_u64 v[22:23], v[4:5], 3, v[22:23]
	s_branch .LBB535_9
.LBB535_8:                              ;   in Loop: Header=BB535_9 Depth=2
	s_wait_xcnt 0x0
	s_or_b32 exec_lo, exec_lo, s38
	s_wait_loadcnt_dscnt 0x0
	ds_store_b64 v3, v[42:43]
	s_wait_dscnt 0x0
	s_barrier_signal -1
	s_barrier_wait -1
	ds_load_b128 v[40:43], v27
	ds_load_2addr_b64 v[44:47], v25 offset1:16
	ds_load_b128 v[48:51], v27 offset:1024
	ds_load_b128 v[52:55], v27 offset:16
	;; [unrolled: 1-line block ×4, first 2 shown]
	ds_load_2addr_b64 v[64:67], v25 offset0:32 offset1:48
	ds_load_b128 v[68:71], v27 offset:1040
	s_add_nc_u64 s[26:27], s[26:27], 8
	s_delay_alu instid0(SALU_CYCLE_1)
	v_cmp_gt_i64_e64 s38, s[16:17], s[26:27]
	s_and_b32 vcc_lo, exec_lo, s38
	s_wait_dscnt 0x6
	v_dual_mul_f32 v16, v41, v45 :: v_dual_mul_f32 v29, v40, v45
	v_dual_mul_f32 v31, v41, v47 :: v_dual_mul_f32 v33, v40, v47
	s_wait_dscnt 0x5
	v_dual_mul_f32 v35, v49, v45 :: v_dual_mul_f32 v37, v48, v45
	v_dual_mul_f32 v39, v49, v47 :: v_dual_mul_f32 v45, v48, v47
	v_dual_fma_f32 v16, v40, v44, -v16 :: v_dual_fmac_f32 v29, v41, v44
	v_dual_fma_f32 v31, v40, v46, -v31 :: v_dual_fmac_f32 v33, v41, v46
	s_delay_alu instid0(VALU_DEP_4) | instskip(NEXT) | instid1(VALU_DEP_3)
	v_dual_fma_f32 v35, v48, v44, -v35 :: v_dual_fmac_f32 v37, v49, v44
	v_dual_add_f32 v16, v36, v16 :: v_dual_add_f32 v36, v38, v29
	v_fma_f32 v29, v48, v46, -v39
	s_delay_alu instid0(VALU_DEP_4) | instskip(NEXT) | instid1(VALU_DEP_4)
	v_dual_add_f32 v32, v32, v31 :: v_dual_add_f32 v33, v34, v33
	v_dual_add_f32 v34, v28, v35 :: v_dual_add_f32 v35, v30, v37
	s_wait_dscnt 0x1
	v_dual_mul_f32 v37, v43, v65 :: v_dual_fmac_f32 v45, v49, v46
	v_add_f32_e32 v24, v24, v29
	ds_load_2addr_b64 v[28:31], v25 offset0:64 offset1:80
	v_dual_mul_f32 v38, v42, v65 :: v_dual_fma_f32 v37, v42, v64, -v37
	v_dual_mul_f32 v39, v43, v67 :: v_dual_add_f32 v26, v26, v45
	s_delay_alu instid0(VALU_DEP_2) | instskip(NEXT) | instid1(VALU_DEP_2)
	v_dual_mul_f32 v40, v42, v67 :: v_dual_fmac_f32 v38, v43, v64
	v_dual_add_f32 v16, v16, v37 :: v_dual_fma_f32 v37, v42, v66, -v39
	v_mul_f32_e32 v39, v51, v65
	s_delay_alu instid0(VALU_DEP_3) | instskip(NEXT) | instid1(VALU_DEP_4)
	v_fmac_f32_e32 v40, v43, v66
	v_dual_add_f32 v36, v36, v38 :: v_dual_mul_f32 v38, v50, v65
	s_delay_alu instid0(VALU_DEP_3) | instskip(NEXT) | instid1(VALU_DEP_3)
	v_dual_add_f32 v37, v32, v37 :: v_dual_fma_f32 v32, v50, v64, -v39
	v_dual_mul_f32 v39, v51, v67 :: v_dual_add_f32 v40, v33, v40
	s_delay_alu instid0(VALU_DEP_3) | instskip(SKIP_1) | instid1(VALU_DEP_3)
	v_dual_fmac_f32 v38, v51, v64 :: v_dual_mul_f32 v41, v50, v67
	s_wait_dscnt 0x0
	v_dual_add_f32 v42, v34, v32 :: v_dual_mul_f32 v33, v53, v29
	s_delay_alu instid0(VALU_DEP_3) | instskip(NEXT) | instid1(VALU_DEP_3)
	v_fma_f32 v32, v50, v66, -v39
	v_dual_add_f32 v38, v35, v38 :: v_dual_mul_f32 v39, v52, v29
	v_fmac_f32_e32 v41, v51, v66
	s_delay_alu instid0(VALU_DEP_4) | instskip(NEXT) | instid1(VALU_DEP_4)
	v_fma_f32 v43, v52, v28, -v33
	v_dual_add_f32 v24, v24, v32 :: v_dual_mul_f32 v44, v53, v31
	ds_load_2addr_b64 v[32:35], v25 offset0:96 offset1:112
	v_dual_fmac_f32 v39, v53, v28 :: v_dual_add_f32 v26, v26, v41
	v_add_f32_e32 v16, v16, v43
	v_dual_mul_f32 v41, v52, v31 :: v_dual_fma_f32 v43, v52, v30, -v44
	s_delay_alu instid0(VALU_DEP_3) | instskip(NEXT) | instid1(VALU_DEP_2)
	v_dual_add_f32 v36, v36, v39 :: v_dual_mul_f32 v39, v69, v29
	v_dual_mul_f32 v29, v68, v29 :: v_dual_fmac_f32 v41, v53, v30
	s_delay_alu instid0(VALU_DEP_3) | instskip(NEXT) | instid1(VALU_DEP_3)
	v_add_f32_e32 v37, v37, v43
	v_dual_mul_f32 v43, v69, v31 :: v_dual_fma_f32 v39, v68, v28, -v39
	s_delay_alu instid0(VALU_DEP_3) | instskip(NEXT) | instid1(VALU_DEP_4)
	v_dual_fmac_f32 v29, v69, v28 :: v_dual_mul_f32 v44, v68, v31
	v_add_f32_e32 v40, v40, v41
	s_delay_alu instid0(VALU_DEP_3) | instskip(NEXT) | instid1(VALU_DEP_3)
	v_dual_fma_f32 v28, v68, v30, -v43 :: v_dual_add_f32 v41, v42, v39
	v_dual_add_f32 v42, v38, v29 :: v_dual_fmac_f32 v44, v69, v30
	s_wait_dscnt 0x0
	s_delay_alu instid0(VALU_DEP_2) | instskip(SKIP_2) | instid1(VALU_DEP_1)
	v_dual_mul_f32 v38, v55, v33 :: v_dual_add_f32 v24, v24, v28
	ds_load_2addr_b64 v[28:31], v25 offset0:128 offset1:144
	v_dual_mul_f32 v39, v54, v33 :: v_dual_mul_f32 v43, v55, v35
	v_dual_fma_f32 v38, v54, v32, -v38 :: v_dual_fmac_f32 v39, v55, v32
	s_delay_alu instid0(VALU_DEP_1) | instskip(NEXT) | instid1(VALU_DEP_3)
	v_dual_add_f32 v26, v26, v44 :: v_dual_add_f32 v16, v16, v38
	v_dual_mul_f32 v44, v54, v35 :: v_dual_fma_f32 v43, v54, v34, -v43
	s_delay_alu instid0(VALU_DEP_3) | instskip(NEXT) | instid1(VALU_DEP_2)
	v_dual_mul_f32 v38, v71, v33 :: v_dual_add_f32 v45, v36, v39
	v_dual_mul_f32 v33, v70, v33 :: v_dual_fmac_f32 v44, v55, v34
	s_delay_alu instid0(VALU_DEP_2)
	v_dual_add_f32 v46, v37, v43 :: v_dual_fma_f32 v43, v70, v32, -v38
	v_mul_f32_e32 v47, v71, v35
	ds_load_b128 v[36:39], v27 offset:1056
	v_add_f32_e32 v44, v40, v44
	v_dual_fmac_f32 v33, v71, v32 :: v_dual_mul_f32 v40, v70, v35
	v_dual_fma_f32 v32, v70, v34, -v47 :: v_dual_add_f32 v47, v41, v43
	s_wait_dscnt 0x1
	v_mul_f32_e32 v35, v57, v29
	s_delay_alu instid0(VALU_DEP_3) | instskip(NEXT) | instid1(VALU_DEP_3)
	v_dual_add_f32 v48, v42, v33 :: v_dual_fmac_f32 v40, v71, v34
	v_add_f32_e32 v24, v24, v32
	s_delay_alu instid0(VALU_DEP_3) | instskip(NEXT) | instid1(VALU_DEP_3)
	v_dual_mul_f32 v49, v56, v29 :: v_dual_fma_f32 v41, v56, v28, -v35
	v_dual_mul_f32 v42, v57, v31 :: v_dual_add_f32 v26, v26, v40
	ds_load_2addr_b64 v[32:35], v25 offset0:160 offset1:176
	v_dual_fmac_f32 v49, v57, v28 :: v_dual_add_f32 v16, v16, v41
	v_dual_fma_f32 v50, v56, v30, -v42 :: v_dual_mul_f32 v51, v56, v31
	ds_load_b128 v[40:43], v27 offset:1072
	s_wait_dscnt 0x2
	v_dual_mul_f32 v52, v37, v29 :: v_dual_mul_f32 v29, v36, v29
	v_dual_add_f32 v45, v45, v49 :: v_dual_add_f32 v46, v46, v50
	s_delay_alu instid0(VALU_DEP_2) | instskip(NEXT) | instid1(VALU_DEP_3)
	v_dual_fmac_f32 v51, v57, v30 :: v_dual_fma_f32 v49, v36, v28, -v52
	v_dual_mul_f32 v50, v37, v31 :: v_dual_fmac_f32 v29, v37, v28
	s_delay_alu instid0(VALU_DEP_2) | instskip(NEXT) | instid1(VALU_DEP_2)
	v_dual_add_f32 v44, v44, v51 :: v_dual_add_f32 v47, v47, v49
	v_dual_mul_f32 v51, v36, v31 :: v_dual_fma_f32 v28, v36, v30, -v50
	s_delay_alu instid0(VALU_DEP_3) | instskip(SKIP_2) | instid1(VALU_DEP_3)
	v_add_f32_e32 v36, v48, v29
	s_wait_dscnt 0x1
	v_dual_mul_f32 v48, v59, v33 :: v_dual_mul_f32 v49, v59, v35
	v_dual_fmac_f32 v51, v37, v30 :: v_dual_add_f32 v24, v24, v28
	ds_load_2addr_b64 v[28:31], v25 offset0:192 offset1:208
	v_dual_mul_f32 v37, v58, v33 :: v_dual_fma_f32 v48, v58, v32, -v48
	s_delay_alu instid0(VALU_DEP_1) | instskip(NEXT) | instid1(VALU_DEP_2)
	v_dual_mul_f32 v50, v58, v35 :: v_dual_fmac_f32 v37, v59, v32
	v_dual_add_f32 v26, v26, v51 :: v_dual_add_f32 v16, v16, v48
	s_delay_alu instid0(VALU_DEP_2) | instskip(NEXT) | instid1(VALU_DEP_3)
	v_dual_fma_f32 v48, v58, v34, -v49 :: v_dual_fmac_f32 v50, v59, v34
	v_add_f32_e32 v37, v45, v37
	v_dual_mul_f32 v45, v39, v33 :: v_dual_mul_f32 v33, v38, v33
	s_delay_alu instid0(VALU_DEP_3) | instskip(NEXT) | instid1(VALU_DEP_2)
	v_dual_add_f32 v48, v46, v48 :: v_dual_mul_f32 v46, v39, v35
	v_dual_add_f32 v49, v44, v50 :: v_dual_fma_f32 v45, v38, v32, -v45
	s_delay_alu instid0(VALU_DEP_3) | instskip(SKIP_1) | instid1(VALU_DEP_3)
	v_dual_fmac_f32 v33, v39, v32 :: v_dual_mul_f32 v32, v38, v35
	s_wait_dscnt 0x0
	v_dual_fma_f32 v35, v38, v34, -v46 :: v_dual_mul_f32 v44, v61, v29
	s_delay_alu instid0(VALU_DEP_3) | instskip(NEXT) | instid1(VALU_DEP_3)
	v_add_f32_e32 v38, v47, v45
	v_dual_fmac_f32 v32, v39, v34 :: v_dual_mul_f32 v34, v60, v29
	s_delay_alu instid0(VALU_DEP_3) | instskip(NEXT) | instid1(VALU_DEP_4)
	v_add_f32_e32 v24, v24, v35
	v_fma_f32 v35, v60, v28, -v44
	ds_load_2addr_b64 v[44:47], v25 offset0:224 offset1:240
	v_dual_add_f32 v33, v36, v33 :: v_dual_add_f32 v26, v26, v32
	v_dual_mul_f32 v32, v61, v31 :: v_dual_fmac_f32 v34, v61, v28
	v_dual_add_f32 v16, v16, v35 :: v_dual_mul_f32 v36, v41, v29
	s_delay_alu instid0(VALU_DEP_2) | instskip(NEXT) | instid1(VALU_DEP_3)
	v_dual_mul_f32 v35, v60, v31 :: v_dual_fma_f32 v32, v60, v30, -v32
	v_dual_mul_f32 v29, v40, v29 :: v_dual_add_f32 v34, v37, v34
	s_delay_alu instid0(VALU_DEP_2) | instskip(NEXT) | instid1(VALU_DEP_3)
	v_dual_fma_f32 v36, v40, v28, -v36 :: v_dual_fmac_f32 v35, v61, v30
	v_add_f32_e32 v32, v48, v32
	s_delay_alu instid0(VALU_DEP_3) | instskip(SKIP_1) | instid1(VALU_DEP_4)
	v_dual_fmac_f32 v29, v41, v28 :: v_dual_mul_f32 v28, v41, v31
	v_mul_f32_e32 v31, v40, v31
	v_dual_add_f32 v35, v49, v35 :: v_dual_add_f32 v37, v38, v36
	s_delay_alu instid0(VALU_DEP_3) | instskip(SKIP_3) | instid1(VALU_DEP_3)
	v_dual_add_f32 v29, v33, v29 :: v_dual_fma_f32 v28, v40, v30, -v28
	s_wait_dscnt 0x0
	v_dual_mul_f32 v33, v63, v45 :: v_dual_mul_f32 v38, v62, v45
	v_dual_fmac_f32 v31, v41, v30 :: v_dual_mul_f32 v30, v63, v47
	v_add_f32_e32 v24, v24, v28
	s_delay_alu instid0(VALU_DEP_3) | instskip(NEXT) | instid1(VALU_DEP_3)
	v_dual_fma_f32 v28, v62, v44, -v33 :: v_dual_fmac_f32 v38, v63, v44
	v_dual_mul_f32 v33, v62, v47 :: v_dual_fma_f32 v30, v62, v46, -v30
	s_delay_alu instid0(VALU_DEP_2) | instskip(NEXT) | instid1(VALU_DEP_3)
	v_dual_add_f32 v26, v26, v31 :: v_dual_add_f32 v36, v16, v28
	v_dual_add_f32 v38, v34, v38 :: v_dual_mul_f32 v16, v43, v45
	s_delay_alu instid0(VALU_DEP_3) | instskip(NEXT) | instid1(VALU_DEP_4)
	v_fmac_f32_e32 v33, v63, v46
	v_dual_add_f32 v32, v32, v30 :: v_dual_mul_f32 v28, v43, v47
	v_dual_mul_f32 v30, v42, v45 :: v_dual_mul_f32 v31, v42, v47
	s_delay_alu instid0(VALU_DEP_3) | instskip(NEXT) | instid1(VALU_DEP_2)
	v_dual_add_f32 v34, v35, v33 :: v_dual_fma_f32 v16, v42, v44, -v16
	v_dual_fma_f32 v33, v42, v46, -v28 :: v_dual_fmac_f32 v30, v43, v44
	s_delay_alu instid0(VALU_DEP_3) | instskip(NEXT) | instid1(VALU_DEP_2)
	v_fmac_f32_e32 v31, v43, v46
	v_dual_add_f32 v28, v37, v16 :: v_dual_add_f32 v24, v24, v33
	s_delay_alu instid0(VALU_DEP_2)
	v_dual_add_f32 v30, v29, v30 :: v_dual_add_f32 v26, v26, v31
	s_barrier_signal -1
	s_barrier_wait -1
	s_cbranch_vccz .LBB535_15
.LBB535_9:                              ;   Parent Loop BB535_6 Depth=1
                                        ; =>  This Inner Loop Header: Depth=2
	v_dual_mov_b32 v40, 0 :: v_dual_mov_b32 v41, 0
	s_and_saveexec_b32 s38, s0
	s_cbranch_execz .LBB535_13
; %bb.10:                               ;   in Loop: Header=BB535_9 Depth=2
	v_dual_mov_b32 v41, 0 :: v_dual_add_nc_u32 v16, s26, v2
	v_mov_b32_e32 v40, 0
	s_mov_b32 s39, exec_lo
	s_delay_alu instid0(VALU_DEP_2)
	v_cmpx_gt_u64_e64 s[16:17], v[16:17]
	s_cbranch_execz .LBB535_12
; %bb.11:                               ;   in Loop: Header=BB535_9 Depth=2
	v_lshl_add_u64 v[40:41], v[16:17], 3, v[20:21]
	flat_load_b64 v[40:41], v[40:41]
.LBB535_12:                             ;   in Loop: Header=BB535_9 Depth=2
	s_wait_xcnt 0x0
	s_or_b32 exec_lo, exec_lo, s39
.LBB535_13:                             ;   in Loop: Header=BB535_9 Depth=2
	s_delay_alu instid0(SALU_CYCLE_1)
	s_or_b32 exec_lo, exec_lo, s38
	v_dual_add_nc_u32 v16, s26, v0 :: v_dual_mov_b32 v42, 0
	v_mov_b32_e32 v43, 0
	s_wait_loadcnt_dscnt 0x0
	ds_store_b64 v1, v[40:41]
	v_cmp_gt_u64_e32 vcc_lo, s[16:17], v[16:17]
	s_and_b32 s39, vcc_lo, s1
	s_delay_alu instid0(SALU_CYCLE_1)
	s_and_saveexec_b32 s38, s39
	s_cbranch_execz .LBB535_8
; %bb.14:                               ;   in Loop: Header=BB535_9 Depth=2
	v_mul_u64_e32 v[40:41], s[20:21], v[16:17]
	s_delay_alu instid0(VALU_DEP_1)
	v_lshl_add_u64 v[40:41], v[40:41], 3, v[22:23]
	flat_load_b64 v[42:43], v[40:41]
	s_branch .LBB535_8
.LBB535_15:                             ;   in Loop: Header=BB535_6 Depth=1
	s_wait_loadcnt 0x0
	v_add_nc_u64_e32 v[18:19], s[22:23], v[18:19]
	s_delay_alu instid0(VALU_DEP_1)
	v_lshl_add_u64 v[20:21], v[10:11], 3, v[18:19]
	s_wait_xcnt 0x0
	s_and_saveexec_b32 s26, s33
	s_cbranch_execz .LBB535_20
; %bb.16:                               ;   in Loop: Header=BB535_6 Depth=1
	v_mov_b64_e32 v[22:23], s[4:5]
	v_mov_b64_e32 v[40:41], s[18:19]
	s_and_b32 vcc_lo, exec_lo, s31
	s_mov_b32 s27, -1
	s_delay_alu instid0(VALU_DEP_2) | instskip(NEXT) | instid1(VALU_DEP_1)
	v_pk_mul_f32 v[22:23], v[38:39], v[22:23] op_sel_hi:[0,1]
	v_pk_fma_f32 v[38:39], v[36:37], v[40:41], v[22:23] op_sel_hi:[0,1,1]
	v_pk_fma_f32 v[22:23], v[36:37], v[40:41], v[22:23] neg_lo:[0,0,1] neg_hi:[0,0,1]
	v_lshl_add_u64 v[36:37], v[8:9], 3, v[20:21]
	s_delay_alu instid0(VALU_DEP_3)
	v_mov_b32_e32 v23, v39
	s_cbranch_vccz .LBB535_18
; %bb.17:                               ;   in Loop: Header=BB535_6 Depth=1
	flat_load_b64 v[38:39], v[36:37]
	v_mov_b64_e32 v[40:41], s[6:7]
	v_mov_b64_e32 v[42:43], s[2:3]
	s_mov_b32 s27, 0
	s_wait_loadcnt_dscnt 0x0
	s_delay_alu instid0(VALU_DEP_2) | instskip(NEXT) | instid1(VALU_DEP_1)
	v_pk_mul_f32 v[40:41], v[38:39], v[40:41]
	v_pk_fma_f32 v[44:45], v[38:39], v[42:43], v[40:41] op_sel:[0,0,1] op_sel_hi:[1,1,0]
	v_pk_fma_f32 v[38:39], v[38:39], v[42:43], v[40:41] op_sel:[0,0,1] op_sel_hi:[1,1,0] neg_lo:[0,0,1] neg_hi:[0,0,1]
	s_delay_alu instid0(VALU_DEP_2) | instskip(NEXT) | instid1(VALU_DEP_1)
	v_mov_b32_e32 v39, v45
	v_pk_add_f32 v[38:39], v[22:23], v[38:39]
	flat_store_b64 v[36:37], v[38:39]
.LBB535_18:                             ;   in Loop: Header=BB535_6 Depth=1
	s_and_not1_b32 vcc_lo, exec_lo, s27
	s_cbranch_vccnz .LBB535_20
; %bb.19:                               ;   in Loop: Header=BB535_6 Depth=1
	flat_store_b64 v[36:37], v[22:23]
.LBB535_20:                             ;   in Loop: Header=BB535_6 Depth=1
	s_wait_xcnt 0x0
	s_or_b32 exec_lo, exec_lo, s26
	s_and_saveexec_b32 s26, s34
	s_cbranch_execz .LBB535_25
; %bb.21:                               ;   in Loop: Header=BB535_6 Depth=1
	v_mov_b64_e32 v[22:23], s[4:5]
	v_mov_b64_e32 v[36:37], s[18:19]
	v_lshl_add_u64 v[20:21], v[14:15], 3, v[20:21]
	s_and_not1_b32 vcc_lo, exec_lo, s31
	s_mov_b32 s27, -1
	s_delay_alu instid0(VALU_DEP_3) | instskip(NEXT) | instid1(VALU_DEP_1)
	v_pk_mul_f32 v[22:23], v[34:35], v[22:23] op_sel_hi:[0,1]
	v_pk_fma_f32 v[34:35], v[32:33], v[36:37], v[22:23] op_sel_hi:[0,1,1]
	v_pk_fma_f32 v[22:23], v[32:33], v[36:37], v[22:23] neg_lo:[0,0,1] neg_hi:[0,0,1]
	s_delay_alu instid0(VALU_DEP_2)
	v_mov_b32_e32 v23, v35
	s_cbranch_vccnz .LBB535_23
; %bb.22:                               ;   in Loop: Header=BB535_6 Depth=1
	flat_load_b64 v[32:33], v[20:21]
	v_mov_b64_e32 v[34:35], s[6:7]
	v_mov_b64_e32 v[36:37], s[2:3]
	s_mov_b32 s27, 0
	s_wait_loadcnt_dscnt 0x0
	s_delay_alu instid0(VALU_DEP_2) | instskip(NEXT) | instid1(VALU_DEP_1)
	v_pk_mul_f32 v[34:35], v[32:33], v[34:35]
	v_pk_fma_f32 v[38:39], v[32:33], v[36:37], v[34:35] op_sel:[0,0,1] op_sel_hi:[1,1,0]
	v_pk_fma_f32 v[32:33], v[32:33], v[36:37], v[34:35] op_sel:[0,0,1] op_sel_hi:[1,1,0] neg_lo:[0,0,1] neg_hi:[0,0,1]
	s_delay_alu instid0(VALU_DEP_2) | instskip(NEXT) | instid1(VALU_DEP_1)
	v_mov_b32_e32 v33, v39
	v_pk_add_f32 v[32:33], v[22:23], v[32:33]
	flat_store_b64 v[20:21], v[32:33]
.LBB535_23:                             ;   in Loop: Header=BB535_6 Depth=1
	s_and_not1_b32 vcc_lo, exec_lo, s27
	s_cbranch_vccnz .LBB535_25
; %bb.24:                               ;   in Loop: Header=BB535_6 Depth=1
	flat_store_b64 v[20:21], v[22:23]
.LBB535_25:                             ;   in Loop: Header=BB535_6 Depth=1
	s_wait_xcnt 0x0
	s_or_b32 exec_lo, exec_lo, s26
	v_lshl_add_u64 v[18:19], v[12:13], 3, v[18:19]
	s_and_saveexec_b32 s26, s35
	s_cbranch_execz .LBB535_30
; %bb.26:                               ;   in Loop: Header=BB535_6 Depth=1
	v_mov_b64_e32 v[20:21], s[4:5]
	v_mov_b64_e32 v[22:23], s[18:19]
	s_and_not1_b32 vcc_lo, exec_lo, s31
	s_mov_b32 s27, -1
	s_delay_alu instid0(VALU_DEP_2) | instskip(NEXT) | instid1(VALU_DEP_1)
	v_pk_mul_f32 v[20:21], v[30:31], v[20:21] op_sel_hi:[0,1]
	v_pk_fma_f32 v[30:31], v[28:29], v[22:23], v[20:21] op_sel_hi:[0,1,1]
	v_pk_fma_f32 v[20:21], v[28:29], v[22:23], v[20:21] neg_lo:[0,0,1] neg_hi:[0,0,1]
	v_lshl_add_u64 v[22:23], v[8:9], 3, v[18:19]
	s_delay_alu instid0(VALU_DEP_3)
	v_mov_b32_e32 v21, v31
	s_cbranch_vccnz .LBB535_28
; %bb.27:                               ;   in Loop: Header=BB535_6 Depth=1
	flat_load_b64 v[28:29], v[22:23]
	v_mov_b64_e32 v[30:31], s[6:7]
	v_mov_b64_e32 v[32:33], s[2:3]
	s_mov_b32 s27, 0
	s_wait_loadcnt_dscnt 0x0
	s_delay_alu instid0(VALU_DEP_2) | instskip(NEXT) | instid1(VALU_DEP_1)
	v_pk_mul_f32 v[30:31], v[28:29], v[30:31]
	v_pk_fma_f32 v[34:35], v[28:29], v[32:33], v[30:31] op_sel:[0,0,1] op_sel_hi:[1,1,0]
	v_pk_fma_f32 v[28:29], v[28:29], v[32:33], v[30:31] op_sel:[0,0,1] op_sel_hi:[1,1,0] neg_lo:[0,0,1] neg_hi:[0,0,1]
	s_delay_alu instid0(VALU_DEP_2) | instskip(NEXT) | instid1(VALU_DEP_1)
	v_mov_b32_e32 v29, v35
	v_pk_add_f32 v[28:29], v[20:21], v[28:29]
	flat_store_b64 v[22:23], v[28:29]
.LBB535_28:                             ;   in Loop: Header=BB535_6 Depth=1
	s_and_not1_b32 vcc_lo, exec_lo, s27
	s_cbranch_vccnz .LBB535_30
; %bb.29:                               ;   in Loop: Header=BB535_6 Depth=1
	flat_store_b64 v[22:23], v[20:21]
.LBB535_30:                             ;   in Loop: Header=BB535_6 Depth=1
	s_wait_xcnt 0x0
	s_or_b32 exec_lo, exec_lo, s26
	s_and_saveexec_b32 s26, s36
	s_cbranch_execz .LBB535_5
; %bb.31:                               ;   in Loop: Header=BB535_6 Depth=1
	v_mov_b64_e32 v[20:21], s[4:5]
	v_mov_b64_e32 v[22:23], s[18:19]
	v_lshl_add_u64 v[18:19], v[14:15], 3, v[18:19]
	s_and_not1_b32 vcc_lo, exec_lo, s31
	s_mov_b32 s27, -1
	s_delay_alu instid0(VALU_DEP_3) | instskip(NEXT) | instid1(VALU_DEP_1)
	v_pk_mul_f32 v[20:21], v[26:27], v[20:21] op_sel_hi:[0,1]
	v_pk_fma_f32 v[28:29], v[24:25], v[22:23], v[20:21] op_sel_hi:[0,1,1]
	v_pk_fma_f32 v[20:21], v[24:25], v[22:23], v[20:21] neg_lo:[0,0,1] neg_hi:[0,0,1]
	s_delay_alu instid0(VALU_DEP_2)
	v_mov_b32_e32 v21, v29
	s_cbranch_vccnz .LBB535_33
; %bb.32:                               ;   in Loop: Header=BB535_6 Depth=1
	flat_load_b64 v[22:23], v[18:19]
	v_mov_b64_e32 v[28:29], s[6:7]
	v_mov_b64_e32 v[30:31], s[2:3]
	s_mov_b32 s27, 0
	s_wait_loadcnt_dscnt 0x0
	s_delay_alu instid0(VALU_DEP_2) | instskip(NEXT) | instid1(VALU_DEP_1)
	v_pk_mul_f32 v[28:29], v[22:23], v[28:29]
	v_pk_fma_f32 v[32:33], v[22:23], v[30:31], v[28:29] op_sel:[0,0,1] op_sel_hi:[1,1,0]
	v_pk_fma_f32 v[22:23], v[22:23], v[30:31], v[28:29] op_sel:[0,0,1] op_sel_hi:[1,1,0] neg_lo:[0,0,1] neg_hi:[0,0,1]
	s_delay_alu instid0(VALU_DEP_2) | instskip(NEXT) | instid1(VALU_DEP_1)
	v_mov_b32_e32 v23, v33
	v_pk_add_f32 v[22:23], v[20:21], v[22:23]
	flat_store_b64 v[18:19], v[22:23]
.LBB535_33:                             ;   in Loop: Header=BB535_6 Depth=1
	s_and_not1_b32 vcc_lo, exec_lo, s27
	s_cbranch_vccnz .LBB535_5
; %bb.34:                               ;   in Loop: Header=BB535_6 Depth=1
	flat_store_b64 v[18:19], v[20:21]
	s_branch .LBB535_5
.LBB535_35:
	s_sendmsg sendmsg(MSG_DEALLOC_VGPRS)
	s_endpgm
	.section	.rodata,"a",@progbits
	.p2align	6, 0x0
	.amdhsa_kernel _ZL29rocblas_internal_gemmt_kernelIlLi16ELi32ELi8ELc84ELc84ELc76ELb0ELb0E19rocblas_complex_numIfES1_PKPKS1_PKPS1_EviT_T9_T10_S9_lSB_S9_lSA_T11_S9_li
		.amdhsa_group_segment_fixed_size 4096
		.amdhsa_private_segment_fixed_size 0
		.amdhsa_kernarg_size 108
		.amdhsa_user_sgpr_count 2
		.amdhsa_user_sgpr_dispatch_ptr 0
		.amdhsa_user_sgpr_queue_ptr 0
		.amdhsa_user_sgpr_kernarg_segment_ptr 1
		.amdhsa_user_sgpr_dispatch_id 0
		.amdhsa_user_sgpr_kernarg_preload_length 0
		.amdhsa_user_sgpr_kernarg_preload_offset 0
		.amdhsa_user_sgpr_private_segment_size 0
		.amdhsa_wavefront_size32 1
		.amdhsa_uses_dynamic_stack 0
		.amdhsa_enable_private_segment 0
		.amdhsa_system_sgpr_workgroup_id_x 1
		.amdhsa_system_sgpr_workgroup_id_y 1
		.amdhsa_system_sgpr_workgroup_id_z 1
		.amdhsa_system_sgpr_workgroup_info 0
		.amdhsa_system_vgpr_workitem_id 1
		.amdhsa_next_free_vgpr 72
		.amdhsa_next_free_sgpr 41
		.amdhsa_named_barrier_count 0
		.amdhsa_reserve_vcc 1
		.amdhsa_float_round_mode_32 0
		.amdhsa_float_round_mode_16_64 0
		.amdhsa_float_denorm_mode_32 3
		.amdhsa_float_denorm_mode_16_64 3
		.amdhsa_fp16_overflow 0
		.amdhsa_memory_ordered 1
		.amdhsa_forward_progress 1
		.amdhsa_inst_pref_size 26
		.amdhsa_round_robin_scheduling 0
		.amdhsa_exception_fp_ieee_invalid_op 0
		.amdhsa_exception_fp_denorm_src 0
		.amdhsa_exception_fp_ieee_div_zero 0
		.amdhsa_exception_fp_ieee_overflow 0
		.amdhsa_exception_fp_ieee_underflow 0
		.amdhsa_exception_fp_ieee_inexact 0
		.amdhsa_exception_int_div_zero 0
	.end_amdhsa_kernel
	.section	.text._ZL29rocblas_internal_gemmt_kernelIlLi16ELi32ELi8ELc84ELc84ELc76ELb0ELb0E19rocblas_complex_numIfES1_PKPKS1_PKPS1_EviT_T9_T10_S9_lSB_S9_lSA_T11_S9_li,"axG",@progbits,_ZL29rocblas_internal_gemmt_kernelIlLi16ELi32ELi8ELc84ELc84ELc76ELb0ELb0E19rocblas_complex_numIfES1_PKPKS1_PKPS1_EviT_T9_T10_S9_lSB_S9_lSA_T11_S9_li,comdat
.Lfunc_end535:
	.size	_ZL29rocblas_internal_gemmt_kernelIlLi16ELi32ELi8ELc84ELc84ELc76ELb0ELb0E19rocblas_complex_numIfES1_PKPKS1_PKPS1_EviT_T9_T10_S9_lSB_S9_lSA_T11_S9_li, .Lfunc_end535-_ZL29rocblas_internal_gemmt_kernelIlLi16ELi32ELi8ELc84ELc84ELc76ELb0ELb0E19rocblas_complex_numIfES1_PKPKS1_PKPS1_EviT_T9_T10_S9_lSB_S9_lSA_T11_S9_li
                                        ; -- End function
	.set _ZL29rocblas_internal_gemmt_kernelIlLi16ELi32ELi8ELc84ELc84ELc76ELb0ELb0E19rocblas_complex_numIfES1_PKPKS1_PKPS1_EviT_T9_T10_S9_lSB_S9_lSA_T11_S9_li.num_vgpr, 72
	.set _ZL29rocblas_internal_gemmt_kernelIlLi16ELi32ELi8ELc84ELc84ELc76ELb0ELb0E19rocblas_complex_numIfES1_PKPKS1_PKPS1_EviT_T9_T10_S9_lSB_S9_lSA_T11_S9_li.num_agpr, 0
	.set _ZL29rocblas_internal_gemmt_kernelIlLi16ELi32ELi8ELc84ELc84ELc76ELb0ELb0E19rocblas_complex_numIfES1_PKPKS1_PKPS1_EviT_T9_T10_S9_lSB_S9_lSA_T11_S9_li.numbered_sgpr, 41
	.set _ZL29rocblas_internal_gemmt_kernelIlLi16ELi32ELi8ELc84ELc84ELc76ELb0ELb0E19rocblas_complex_numIfES1_PKPKS1_PKPS1_EviT_T9_T10_S9_lSB_S9_lSA_T11_S9_li.num_named_barrier, 0
	.set _ZL29rocblas_internal_gemmt_kernelIlLi16ELi32ELi8ELc84ELc84ELc76ELb0ELb0E19rocblas_complex_numIfES1_PKPKS1_PKPS1_EviT_T9_T10_S9_lSB_S9_lSA_T11_S9_li.private_seg_size, 0
	.set _ZL29rocblas_internal_gemmt_kernelIlLi16ELi32ELi8ELc84ELc84ELc76ELb0ELb0E19rocblas_complex_numIfES1_PKPKS1_PKPS1_EviT_T9_T10_S9_lSB_S9_lSA_T11_S9_li.uses_vcc, 1
	.set _ZL29rocblas_internal_gemmt_kernelIlLi16ELi32ELi8ELc84ELc84ELc76ELb0ELb0E19rocblas_complex_numIfES1_PKPKS1_PKPS1_EviT_T9_T10_S9_lSB_S9_lSA_T11_S9_li.uses_flat_scratch, 0
	.set _ZL29rocblas_internal_gemmt_kernelIlLi16ELi32ELi8ELc84ELc84ELc76ELb0ELb0E19rocblas_complex_numIfES1_PKPKS1_PKPS1_EviT_T9_T10_S9_lSB_S9_lSA_T11_S9_li.has_dyn_sized_stack, 0
	.set _ZL29rocblas_internal_gemmt_kernelIlLi16ELi32ELi8ELc84ELc84ELc76ELb0ELb0E19rocblas_complex_numIfES1_PKPKS1_PKPS1_EviT_T9_T10_S9_lSB_S9_lSA_T11_S9_li.has_recursion, 0
	.set _ZL29rocblas_internal_gemmt_kernelIlLi16ELi32ELi8ELc84ELc84ELc76ELb0ELb0E19rocblas_complex_numIfES1_PKPKS1_PKPS1_EviT_T9_T10_S9_lSB_S9_lSA_T11_S9_li.has_indirect_call, 0
	.section	.AMDGPU.csdata,"",@progbits
; Kernel info:
; codeLenInByte = 3236
; TotalNumSgprs: 43
; NumVgprs: 72
; ScratchSize: 0
; MemoryBound: 0
; FloatMode: 240
; IeeeMode: 1
; LDSByteSize: 4096 bytes/workgroup (compile time only)
; SGPRBlocks: 0
; VGPRBlocks: 4
; NumSGPRsForWavesPerEU: 43
; NumVGPRsForWavesPerEU: 72
; NamedBarCnt: 0
; Occupancy: 12
; WaveLimiterHint : 1
; COMPUTE_PGM_RSRC2:SCRATCH_EN: 0
; COMPUTE_PGM_RSRC2:USER_SGPR: 2
; COMPUTE_PGM_RSRC2:TRAP_HANDLER: 0
; COMPUTE_PGM_RSRC2:TGID_X_EN: 1
; COMPUTE_PGM_RSRC2:TGID_Y_EN: 1
; COMPUTE_PGM_RSRC2:TGID_Z_EN: 1
; COMPUTE_PGM_RSRC2:TIDIG_COMP_CNT: 1
	.section	.text._ZL29rocblas_internal_gemmt_kernelIlLi16ELi32ELi8ELc84ELc67ELc76ELb0ELb1E19rocblas_complex_numIfES1_PKPKS1_PKPS1_EviT_T9_T10_S9_lSB_S9_lSA_T11_S9_li,"axG",@progbits,_ZL29rocblas_internal_gemmt_kernelIlLi16ELi32ELi8ELc84ELc67ELc76ELb0ELb1E19rocblas_complex_numIfES1_PKPKS1_PKPS1_EviT_T9_T10_S9_lSB_S9_lSA_T11_S9_li,comdat
	.globl	_ZL29rocblas_internal_gemmt_kernelIlLi16ELi32ELi8ELc84ELc67ELc76ELb0ELb1E19rocblas_complex_numIfES1_PKPKS1_PKPS1_EviT_T9_T10_S9_lSB_S9_lSA_T11_S9_li ; -- Begin function _ZL29rocblas_internal_gemmt_kernelIlLi16ELi32ELi8ELc84ELc67ELc76ELb0ELb1E19rocblas_complex_numIfES1_PKPKS1_PKPS1_EviT_T9_T10_S9_lSB_S9_lSA_T11_S9_li
	.p2align	8
	.type	_ZL29rocblas_internal_gemmt_kernelIlLi16ELi32ELi8ELc84ELc67ELc76ELb0ELb1E19rocblas_complex_numIfES1_PKPKS1_PKPS1_EviT_T9_T10_S9_lSB_S9_lSA_T11_S9_li,@function
_ZL29rocblas_internal_gemmt_kernelIlLi16ELi32ELi8ELc84ELc67ELc76ELb0ELb1E19rocblas_complex_numIfES1_PKPKS1_PKPS1_EviT_T9_T10_S9_lSB_S9_lSA_T11_S9_li: ; @_ZL29rocblas_internal_gemmt_kernelIlLi16ELi32ELi8ELc84ELc67ELc76ELb0ELb1E19rocblas_complex_numIfES1_PKPKS1_PKPS1_EviT_T9_T10_S9_lSB_S9_lSA_T11_S9_li
; %bb.0:
	s_clause 0x1
	s_load_b64 s[6:7], s[0:1], 0x48
	s_load_b128 s[16:19], s[0:1], 0x8
	s_wait_kmcnt 0x0
	s_cmp_neq_f32 s6, 1.0
	s_cselect_b32 s3, -1, 0
	s_and_b32 s4, s7, 0x7fffffff
	s_delay_alu instid0(SALU_CYCLE_1) | instskip(SKIP_3) | instid1(SALU_CYCLE_1)
	s_cmp_eq_u32 s4, 0
	s_cselect_b32 s2, -1, 0
	s_cmp_lg_u32 s4, 0
	s_cselect_b32 s4, -1, 0
	s_or_b32 s3, s3, s4
	s_delay_alu instid0(SALU_CYCLE_1)
	s_and_b32 vcc_lo, exec_lo, s3
	s_cbranch_vccnz .LBB536_2
; %bb.1:
	s_cmp_lg_u64 s[16:17], 0
	s_cselect_b32 s3, -1, 0
	s_cmp_neq_f32 s18, 0
	s_cselect_b32 s4, -1, 0
	s_cmp_neq_f32 s19, 0
	s_cselect_b32 s5, -1, 0
	s_delay_alu instid0(SALU_CYCLE_1) | instskip(NEXT) | instid1(SALU_CYCLE_1)
	s_or_b32 s4, s4, s5
	s_and_b32 s3, s3, s4
.LBB536_2:
	s_delay_alu instid0(SALU_CYCLE_1)
	s_and_not1_b32 vcc_lo, exec_lo, s3
	s_cbranch_vccnz .LBB536_37
; %bb.3:
	s_load_b32 s33, s[0:1], 0x68
	s_bfe_u32 s3, ttmp6, 0x40014
	s_lshr_b32 s4, ttmp7, 16
	s_add_co_i32 s3, s3, 1
	s_bfe_u32 s8, ttmp6, 0x40008
	s_mul_i32 s5, s4, s3
	s_getreg_b32 s3, hwreg(HW_REG_IB_STS2, 6, 4)
	s_add_co_i32 s8, s8, s5
	s_cmp_eq_u32 s3, 0
	s_mov_b32 s29, 0
	s_cselect_b32 s28, s4, s8
	s_wait_kmcnt 0x0
	s_cmp_ge_u32 s28, s33
	s_cbranch_scc1 .LBB536_37
; %bb.4:
	v_and_b32_e32 v9, 0x3ff, v0
	v_bfe_u32 v15, v0, 10, 10
	s_bfe_u32 s8, ttmp6, 0x4000c
	s_bfe_u32 s9, ttmp6, 0x40010
	s_and_b32 s20, ttmp7, 0xffff
	s_add_co_i32 s8, s8, 1
	s_add_co_i32 s9, s9, 1
	s_and_b32 s5, ttmp6, 15
	v_lshl_add_u32 v1, v15, 4, v9
	s_mul_i32 s8, ttmp9, s8
	s_mul_i32 s9, s20, s9
	s_bfe_u32 s10, ttmp6, 0x40004
	s_add_co_i32 s5, s5, s8
	s_add_co_i32 s21, s10, s9
	s_cmp_eq_u32 s3, 0
	v_dual_lshrrev_b32 v2, 5, v1 :: v_dual_bitop2_b32 v0, 7, v0 bitop3:0x40
	s_clause 0x1
	s_load_b32 s4, s[0:1], 0x0
	s_load_b256 s[8:15], s[0:1], 0x18
	s_cselect_b32 s3, ttmp9, s5
	s_cselect_b32 s5, s20, s21
	v_dual_lshrrev_b32 v3, 3, v1 :: v_dual_bitop2_b32 v1, 31, v1 bitop3:0x40
	s_clause 0x1
	s_load_b128 s[20:23], s[0:1], 0x38
	s_load_b128 s[24:27], s[0:1], 0x50
	s_lshl_b32 s3, s3, 5
	s_lshl_b32 s5, s5, 5
	s_cmp_neq_f32 s18, 0
	v_dual_add_nc_u32 v4, s5, v3 :: v_dual_bitop2_b32 v6, s3, v1 bitop3:0x54
	v_add_nc_u32_e32 v16, s5, v15
	s_cselect_b32 s34, -1, 0
	s_cmp_neq_f32 s19, 0
	s_delay_alu instid0(VALU_DEP_2) | instskip(NEXT) | instid1(VALU_DEP_2)
	v_dual_ashrrev_i32 v7, 31, v6 :: v_dual_lshlrev_b32 v5, 3, v0
	v_dual_lshlrev_b32 v1, 3, v1 :: v_dual_add_nc_u32 v18, 16, v16
	v_ashrrev_i32_e32 v17, 31, v16
	s_load_b64 s[30:31], s[0:1], 0x60
	s_wait_xcnt 0x0
	s_cselect_b32 s0, -1, 0
	v_lshl_or_b32 v3, v3, 6, v5
	v_dual_ashrrev_i32 v19, 31, v18 :: v_dual_ashrrev_i32 v5, 31, v4
	s_or_b32 s38, s34, s0
	s_wait_kmcnt 0x0
	v_cmp_gt_i32_e64 s0, s4, v6
	v_mul_u64_e32 v[6:7], s[10:11], v[6:7]
	v_mul_u64_e32 v[10:11], s[26:27], v[16:17]
	;; [unrolled: 1-line block ×3, first 2 shown]
	v_dual_add_nc_u32 v8, s3, v9 :: v_dual_lshlrev_b32 v25, 3, v9
	s_cmp_neq_f32 s6, 0
	v_cmp_gt_i64_e64 s39, s[16:17], 0
	v_cmp_gt_i32_e32 vcc_lo, s4, v4
	s_delay_alu instid0(VALU_DEP_3)
	v_dual_add_nc_u32 v14, 16, v8 :: v_dual_ashrrev_i32 v9, 31, v8
	s_cselect_b32 s3, -1, 0
	s_xor_b32 s5, s2, -1
	v_cmp_le_i32_e64 s1, v16, v8
	v_cmp_gt_i32_e64 s2, s4, v8
	s_or_b32 s34, s3, s5
	v_cmp_le_i32_e64 s3, v16, v14
	v_cmp_gt_i32_e64 s4, s4, v14
	v_cmp_le_i32_e64 s5, v18, v14
	s_and_b32 s35, s1, s2
	v_cmp_le_i32_e64 s1, v18, v8
	v_lshl_or_b32 v1, v2, 8, v1
	v_add_nc_u32_e32 v3, 0x800, v3
	v_lshl_add_u32 v27, v15, 6, 0x800
	v_dual_ashrrev_i32 v15, 31, v14 :: v_dual_mov_b32 v17, 0
	s_and_b32 s36, s3, s4
	s_and_b32 s1, s1, s2
	;; [unrolled: 1-line block ×3, first 2 shown]
	s_mov_b32 s2, s6
	s_mov_b32 s3, s6
	;; [unrolled: 1-line block ×5, first 2 shown]
	s_and_b32 s38, s38, s39
	s_lshl_b64 s[10:11], s[22:23], 3
	s_lshl_b64 s[12:13], s[12:13], 3
	s_xor_b32 s39, vcc_lo, -1
	s_lshl_b64 s[22:23], s[30:31], 3
	s_branch .LBB536_6
.LBB536_5:                              ;   in Loop: Header=BB536_6 Depth=1
	s_wait_xcnt 0x0
	s_or_b32 exec_lo, exec_lo, s26
	s_add_co_i32 s28, s28, 0x10000
	s_delay_alu instid0(SALU_CYCLE_1)
	s_cmp_lt_u32 s28, s33
	s_cbranch_scc0 .LBB536_37
.LBB536_6:                              ; =>This Loop Header: Depth=1
                                        ;     Child Loop BB536_9 Depth 2
	v_dual_mov_b32 v16, s28 :: v_dual_mov_b32 v36, v17
	v_dual_mov_b32 v38, v17 :: v_dual_mov_b32 v32, v17
	;; [unrolled: 1-line block ×3, first 2 shown]
	global_load_b64 v[18:19], v16, s[24:25] scale_offset
	v_dual_mov_b32 v30, v17 :: v_dual_mov_b32 v24, v17
	v_mov_b32_e32 v26, v17
	s_and_not1_b32 vcc_lo, exec_lo, s38
	s_cbranch_vccnz .LBB536_17
; %bb.7:                                ;   in Loop: Header=BB536_6 Depth=1
	s_lshl_b64 s[26:27], s[28:29], 3
	v_dual_mov_b32 v26, 0 :: v_dual_mov_b32 v24, 0
	s_add_nc_u64 s[30:31], s[8:9], s[26:27]
	s_add_nc_u64 s[26:27], s[14:15], s[26:27]
	s_clause 0x1
	global_load_b64 v[20:21], v17, s[30:31]
	global_load_b64 v[22:23], v17, s[26:27]
	v_dual_mov_b32 v30, 0 :: v_dual_mov_b32 v28, 0
	v_dual_mov_b32 v34, 0 :: v_dual_mov_b32 v32, 0
	;; [unrolled: 1-line block ×3, first 2 shown]
	s_wait_xcnt 0x0
	s_mov_b64 s[26:27], 0
	s_wait_loadcnt 0x1
	v_add_nc_u64_e32 v[20:21], s[12:13], v[20:21]
	s_wait_loadcnt 0x0
	v_add_nc_u64_e32 v[22:23], s[10:11], v[22:23]
	s_delay_alu instid0(VALU_DEP_2) | instskip(NEXT) | instid1(VALU_DEP_2)
	v_lshl_add_u64 v[20:21], v[6:7], 3, v[20:21]
	v_lshl_add_u64 v[22:23], v[4:5], 3, v[22:23]
	s_branch .LBB536_9
.LBB536_8:                              ;   in Loop: Header=BB536_9 Depth=2
	s_wait_xcnt 0x0
	s_or_b32 exec_lo, exec_lo, s30
	ds_store_b32 v3, v29 offset:4
	s_wait_dscnt 0x0
	s_barrier_signal -1
	s_barrier_wait -1
	ds_load_b128 v[40:43], v27
	ds_load_2addr_b64 v[44:47], v25 offset1:16
	ds_load_b128 v[48:51], v27 offset:1024
	ds_load_b128 v[52:55], v27 offset:16
	;; [unrolled: 1-line block ×4, first 2 shown]
	ds_load_2addr_b64 v[64:67], v25 offset0:32 offset1:48
	ds_load_b128 v[68:71], v27 offset:1040
	s_add_nc_u64 s[26:27], s[26:27], 8
	s_delay_alu instid0(SALU_CYCLE_1)
	v_cmp_gt_i64_e64 s30, s[16:17], s[26:27]
	s_and_b32 vcc_lo, exec_lo, s30
	s_wait_dscnt 0x6
	v_dual_mul_f32 v16, v41, v45 :: v_dual_mul_f32 v29, v40, v45
	v_dual_mul_f32 v31, v41, v47 :: v_dual_mul_f32 v33, v40, v47
	s_wait_dscnt 0x5
	v_dual_mul_f32 v35, v49, v45 :: v_dual_mul_f32 v37, v48, v45
	v_dual_mul_f32 v39, v49, v47 :: v_dual_mul_f32 v45, v48, v47
	v_dual_fma_f32 v16, v40, v44, -v16 :: v_dual_fmac_f32 v29, v41, v44
	v_dual_fma_f32 v31, v40, v46, -v31 :: v_dual_fmac_f32 v33, v41, v46
	s_delay_alu instid0(VALU_DEP_4) | instskip(NEXT) | instid1(VALU_DEP_3)
	v_dual_fma_f32 v35, v48, v44, -v35 :: v_dual_fmac_f32 v37, v49, v44
	v_dual_add_f32 v16, v36, v16 :: v_dual_add_f32 v36, v38, v29
	v_fma_f32 v29, v48, v46, -v39
	s_delay_alu instid0(VALU_DEP_4) | instskip(NEXT) | instid1(VALU_DEP_4)
	v_dual_add_f32 v32, v32, v31 :: v_dual_add_f32 v33, v34, v33
	v_dual_add_f32 v34, v28, v35 :: v_dual_add_f32 v35, v30, v37
	s_wait_dscnt 0x1
	v_dual_mul_f32 v37, v43, v65 :: v_dual_fmac_f32 v45, v49, v46
	v_add_f32_e32 v24, v24, v29
	ds_load_2addr_b64 v[28:31], v25 offset0:64 offset1:80
	v_dual_mul_f32 v38, v42, v65 :: v_dual_fma_f32 v37, v42, v64, -v37
	v_dual_mul_f32 v39, v43, v67 :: v_dual_add_f32 v26, v26, v45
	s_delay_alu instid0(VALU_DEP_2) | instskip(NEXT) | instid1(VALU_DEP_2)
	v_dual_mul_f32 v40, v42, v67 :: v_dual_fmac_f32 v38, v43, v64
	v_dual_add_f32 v16, v16, v37 :: v_dual_fma_f32 v37, v42, v66, -v39
	v_mul_f32_e32 v39, v51, v65
	s_delay_alu instid0(VALU_DEP_3) | instskip(NEXT) | instid1(VALU_DEP_4)
	v_fmac_f32_e32 v40, v43, v66
	v_dual_add_f32 v36, v36, v38 :: v_dual_mul_f32 v38, v50, v65
	s_delay_alu instid0(VALU_DEP_3) | instskip(NEXT) | instid1(VALU_DEP_3)
	v_dual_add_f32 v37, v32, v37 :: v_dual_fma_f32 v32, v50, v64, -v39
	v_dual_mul_f32 v39, v51, v67 :: v_dual_add_f32 v40, v33, v40
	s_delay_alu instid0(VALU_DEP_3) | instskip(SKIP_1) | instid1(VALU_DEP_3)
	v_dual_fmac_f32 v38, v51, v64 :: v_dual_mul_f32 v41, v50, v67
	s_wait_dscnt 0x0
	v_dual_add_f32 v42, v34, v32 :: v_dual_mul_f32 v33, v53, v29
	s_delay_alu instid0(VALU_DEP_3) | instskip(NEXT) | instid1(VALU_DEP_3)
	v_fma_f32 v32, v50, v66, -v39
	v_dual_add_f32 v38, v35, v38 :: v_dual_mul_f32 v39, v52, v29
	v_fmac_f32_e32 v41, v51, v66
	s_delay_alu instid0(VALU_DEP_4) | instskip(NEXT) | instid1(VALU_DEP_4)
	v_fma_f32 v43, v52, v28, -v33
	v_dual_add_f32 v24, v24, v32 :: v_dual_mul_f32 v44, v53, v31
	ds_load_2addr_b64 v[32:35], v25 offset0:96 offset1:112
	v_dual_fmac_f32 v39, v53, v28 :: v_dual_add_f32 v26, v26, v41
	v_add_f32_e32 v16, v16, v43
	v_dual_mul_f32 v41, v52, v31 :: v_dual_fma_f32 v43, v52, v30, -v44
	s_delay_alu instid0(VALU_DEP_3) | instskip(NEXT) | instid1(VALU_DEP_2)
	v_dual_add_f32 v36, v36, v39 :: v_dual_mul_f32 v39, v69, v29
	v_dual_mul_f32 v29, v68, v29 :: v_dual_fmac_f32 v41, v53, v30
	s_delay_alu instid0(VALU_DEP_3) | instskip(NEXT) | instid1(VALU_DEP_3)
	v_add_f32_e32 v37, v37, v43
	v_dual_mul_f32 v43, v69, v31 :: v_dual_fma_f32 v39, v68, v28, -v39
	s_delay_alu instid0(VALU_DEP_3) | instskip(NEXT) | instid1(VALU_DEP_4)
	v_dual_fmac_f32 v29, v69, v28 :: v_dual_mul_f32 v44, v68, v31
	v_add_f32_e32 v40, v40, v41
	s_delay_alu instid0(VALU_DEP_3) | instskip(NEXT) | instid1(VALU_DEP_3)
	v_dual_fma_f32 v28, v68, v30, -v43 :: v_dual_add_f32 v41, v42, v39
	v_dual_add_f32 v42, v38, v29 :: v_dual_fmac_f32 v44, v69, v30
	s_wait_dscnt 0x0
	s_delay_alu instid0(VALU_DEP_2) | instskip(SKIP_2) | instid1(VALU_DEP_1)
	v_dual_mul_f32 v38, v55, v33 :: v_dual_add_f32 v24, v24, v28
	ds_load_2addr_b64 v[28:31], v25 offset0:128 offset1:144
	v_dual_mul_f32 v39, v54, v33 :: v_dual_mul_f32 v43, v55, v35
	v_dual_fma_f32 v38, v54, v32, -v38 :: v_dual_fmac_f32 v39, v55, v32
	s_delay_alu instid0(VALU_DEP_1) | instskip(NEXT) | instid1(VALU_DEP_3)
	v_dual_add_f32 v26, v26, v44 :: v_dual_add_f32 v16, v16, v38
	v_dual_mul_f32 v44, v54, v35 :: v_dual_fma_f32 v43, v54, v34, -v43
	s_delay_alu instid0(VALU_DEP_3) | instskip(NEXT) | instid1(VALU_DEP_2)
	v_dual_mul_f32 v38, v71, v33 :: v_dual_add_f32 v45, v36, v39
	v_dual_mul_f32 v33, v70, v33 :: v_dual_fmac_f32 v44, v55, v34
	s_delay_alu instid0(VALU_DEP_2)
	v_dual_add_f32 v46, v37, v43 :: v_dual_fma_f32 v43, v70, v32, -v38
	v_mul_f32_e32 v47, v71, v35
	ds_load_b128 v[36:39], v27 offset:1056
	v_add_f32_e32 v44, v40, v44
	v_dual_fmac_f32 v33, v71, v32 :: v_dual_mul_f32 v40, v70, v35
	v_dual_fma_f32 v32, v70, v34, -v47 :: v_dual_add_f32 v47, v41, v43
	s_wait_dscnt 0x1
	v_mul_f32_e32 v35, v57, v29
	s_delay_alu instid0(VALU_DEP_3) | instskip(NEXT) | instid1(VALU_DEP_3)
	v_dual_add_f32 v48, v42, v33 :: v_dual_fmac_f32 v40, v71, v34
	v_add_f32_e32 v24, v24, v32
	s_delay_alu instid0(VALU_DEP_3) | instskip(NEXT) | instid1(VALU_DEP_3)
	v_dual_mul_f32 v49, v56, v29 :: v_dual_fma_f32 v41, v56, v28, -v35
	v_dual_mul_f32 v42, v57, v31 :: v_dual_add_f32 v26, v26, v40
	ds_load_2addr_b64 v[32:35], v25 offset0:160 offset1:176
	v_dual_fmac_f32 v49, v57, v28 :: v_dual_add_f32 v16, v16, v41
	v_dual_fma_f32 v50, v56, v30, -v42 :: v_dual_mul_f32 v51, v56, v31
	ds_load_b128 v[40:43], v27 offset:1072
	s_wait_dscnt 0x2
	v_dual_mul_f32 v52, v37, v29 :: v_dual_mul_f32 v29, v36, v29
	v_dual_add_f32 v45, v45, v49 :: v_dual_add_f32 v46, v46, v50
	s_delay_alu instid0(VALU_DEP_2) | instskip(NEXT) | instid1(VALU_DEP_3)
	v_dual_fmac_f32 v51, v57, v30 :: v_dual_fma_f32 v49, v36, v28, -v52
	v_dual_mul_f32 v50, v37, v31 :: v_dual_fmac_f32 v29, v37, v28
	s_delay_alu instid0(VALU_DEP_2) | instskip(NEXT) | instid1(VALU_DEP_2)
	v_dual_add_f32 v44, v44, v51 :: v_dual_add_f32 v47, v47, v49
	v_dual_mul_f32 v51, v36, v31 :: v_dual_fma_f32 v28, v36, v30, -v50
	s_delay_alu instid0(VALU_DEP_3) | instskip(SKIP_2) | instid1(VALU_DEP_3)
	v_add_f32_e32 v36, v48, v29
	s_wait_dscnt 0x1
	v_dual_mul_f32 v48, v59, v33 :: v_dual_mul_f32 v49, v59, v35
	v_dual_fmac_f32 v51, v37, v30 :: v_dual_add_f32 v24, v24, v28
	ds_load_2addr_b64 v[28:31], v25 offset0:192 offset1:208
	v_dual_mul_f32 v37, v58, v33 :: v_dual_fma_f32 v48, v58, v32, -v48
	s_delay_alu instid0(VALU_DEP_1) | instskip(NEXT) | instid1(VALU_DEP_2)
	v_dual_mul_f32 v50, v58, v35 :: v_dual_fmac_f32 v37, v59, v32
	v_dual_add_f32 v26, v26, v51 :: v_dual_add_f32 v16, v16, v48
	s_delay_alu instid0(VALU_DEP_2) | instskip(NEXT) | instid1(VALU_DEP_3)
	v_dual_fma_f32 v48, v58, v34, -v49 :: v_dual_fmac_f32 v50, v59, v34
	v_add_f32_e32 v37, v45, v37
	v_dual_mul_f32 v45, v39, v33 :: v_dual_mul_f32 v33, v38, v33
	s_delay_alu instid0(VALU_DEP_3) | instskip(NEXT) | instid1(VALU_DEP_2)
	v_dual_add_f32 v48, v46, v48 :: v_dual_mul_f32 v46, v39, v35
	v_dual_add_f32 v49, v44, v50 :: v_dual_fma_f32 v45, v38, v32, -v45
	s_delay_alu instid0(VALU_DEP_3) | instskip(SKIP_1) | instid1(VALU_DEP_3)
	v_dual_fmac_f32 v33, v39, v32 :: v_dual_mul_f32 v32, v38, v35
	s_wait_dscnt 0x0
	v_dual_fma_f32 v35, v38, v34, -v46 :: v_dual_mul_f32 v44, v61, v29
	s_delay_alu instid0(VALU_DEP_3) | instskip(NEXT) | instid1(VALU_DEP_3)
	v_add_f32_e32 v38, v47, v45
	v_dual_fmac_f32 v32, v39, v34 :: v_dual_mul_f32 v34, v60, v29
	s_delay_alu instid0(VALU_DEP_3) | instskip(NEXT) | instid1(VALU_DEP_4)
	v_add_f32_e32 v24, v24, v35
	v_fma_f32 v35, v60, v28, -v44
	ds_load_2addr_b64 v[44:47], v25 offset0:224 offset1:240
	v_dual_add_f32 v33, v36, v33 :: v_dual_add_f32 v26, v26, v32
	v_dual_mul_f32 v32, v61, v31 :: v_dual_fmac_f32 v34, v61, v28
	v_dual_add_f32 v16, v16, v35 :: v_dual_mul_f32 v36, v41, v29
	s_delay_alu instid0(VALU_DEP_2) | instskip(NEXT) | instid1(VALU_DEP_3)
	v_dual_mul_f32 v35, v60, v31 :: v_dual_fma_f32 v32, v60, v30, -v32
	v_dual_mul_f32 v29, v40, v29 :: v_dual_add_f32 v34, v37, v34
	s_delay_alu instid0(VALU_DEP_2) | instskip(NEXT) | instid1(VALU_DEP_3)
	v_dual_fma_f32 v36, v40, v28, -v36 :: v_dual_fmac_f32 v35, v61, v30
	v_add_f32_e32 v32, v48, v32
	s_delay_alu instid0(VALU_DEP_3) | instskip(SKIP_1) | instid1(VALU_DEP_4)
	v_dual_fmac_f32 v29, v41, v28 :: v_dual_mul_f32 v28, v41, v31
	v_mul_f32_e32 v31, v40, v31
	v_dual_add_f32 v35, v49, v35 :: v_dual_add_f32 v37, v38, v36
	s_delay_alu instid0(VALU_DEP_3) | instskip(SKIP_3) | instid1(VALU_DEP_3)
	v_dual_add_f32 v29, v33, v29 :: v_dual_fma_f32 v28, v40, v30, -v28
	s_wait_dscnt 0x0
	v_dual_mul_f32 v33, v63, v45 :: v_dual_mul_f32 v38, v62, v45
	v_dual_fmac_f32 v31, v41, v30 :: v_dual_mul_f32 v30, v63, v47
	v_add_f32_e32 v24, v24, v28
	s_delay_alu instid0(VALU_DEP_3) | instskip(NEXT) | instid1(VALU_DEP_3)
	v_dual_fma_f32 v28, v62, v44, -v33 :: v_dual_fmac_f32 v38, v63, v44
	v_dual_mul_f32 v33, v62, v47 :: v_dual_fma_f32 v30, v62, v46, -v30
	s_delay_alu instid0(VALU_DEP_2) | instskip(NEXT) | instid1(VALU_DEP_3)
	v_dual_add_f32 v26, v26, v31 :: v_dual_add_f32 v36, v16, v28
	v_dual_add_f32 v38, v34, v38 :: v_dual_mul_f32 v16, v43, v45
	s_delay_alu instid0(VALU_DEP_3) | instskip(NEXT) | instid1(VALU_DEP_4)
	v_fmac_f32_e32 v33, v63, v46
	v_dual_add_f32 v32, v32, v30 :: v_dual_mul_f32 v28, v43, v47
	v_dual_mul_f32 v30, v42, v45 :: v_dual_mul_f32 v31, v42, v47
	s_delay_alu instid0(VALU_DEP_3) | instskip(NEXT) | instid1(VALU_DEP_2)
	v_dual_add_f32 v34, v35, v33 :: v_dual_fma_f32 v16, v42, v44, -v16
	v_dual_fma_f32 v33, v42, v46, -v28 :: v_dual_fmac_f32 v30, v43, v44
	s_delay_alu instid0(VALU_DEP_3) | instskip(NEXT) | instid1(VALU_DEP_2)
	v_fmac_f32_e32 v31, v43, v46
	v_dual_add_f32 v28, v37, v16 :: v_dual_add_f32 v24, v24, v33
	s_delay_alu instid0(VALU_DEP_2)
	v_dual_add_f32 v30, v29, v30 :: v_dual_add_f32 v26, v26, v31
	s_barrier_signal -1
	s_barrier_wait -1
	s_cbranch_vccz .LBB536_17
.LBB536_9:                              ;   Parent Loop BB536_6 Depth=1
                                        ; =>  This Inner Loop Header: Depth=2
	v_dual_mov_b32 v40, 0 :: v_dual_mov_b32 v41, 0
	s_and_saveexec_b32 s30, s0
	s_cbranch_execz .LBB536_13
; %bb.10:                               ;   in Loop: Header=BB536_9 Depth=2
	v_dual_mov_b32 v41, 0 :: v_dual_add_nc_u32 v16, s26, v2
	v_mov_b32_e32 v40, 0
	s_mov_b32 s31, exec_lo
	s_delay_alu instid0(VALU_DEP_2)
	v_cmpx_gt_u64_e64 s[16:17], v[16:17]
	s_cbranch_execz .LBB536_12
; %bb.11:                               ;   in Loop: Header=BB536_9 Depth=2
	v_lshl_add_u64 v[40:41], v[16:17], 3, v[20:21]
	flat_load_b64 v[40:41], v[40:41]
.LBB536_12:                             ;   in Loop: Header=BB536_9 Depth=2
	s_wait_xcnt 0x0
	s_or_b32 exec_lo, exec_lo, s31
.LBB536_13:                             ;   in Loop: Header=BB536_9 Depth=2
	s_delay_alu instid0(SALU_CYCLE_1)
	s_or_b32 exec_lo, exec_lo, s30
	v_add_nc_u32_e32 v16, s26, v0
	s_wait_loadcnt_dscnt 0x0
	ds_store_b64 v1, v[40:41]
	v_cmp_le_u64_e32 vcc_lo, s[16:17], v[16:17]
	s_or_b32 s30, vcc_lo, s39
	s_delay_alu instid0(SALU_CYCLE_1) | instskip(NEXT) | instid1(SALU_CYCLE_1)
	s_and_saveexec_b32 s31, s30
	s_xor_b32 s30, exec_lo, s31
; %bb.14:                               ;   in Loop: Header=BB536_9 Depth=2
	ds_store_b32 v3, v17
; %bb.15:                               ;   in Loop: Header=BB536_9 Depth=2
	s_or_saveexec_b32 s30, s30
	v_mov_b32_e32 v29, 0
	s_xor_b32 exec_lo, exec_lo, s30
	s_cbranch_execz .LBB536_8
; %bb.16:                               ;   in Loop: Header=BB536_9 Depth=2
	v_mul_u64_e32 v[40:41], s[20:21], v[16:17]
	s_delay_alu instid0(VALU_DEP_1)
	v_lshl_add_u64 v[40:41], v[40:41], 3, v[22:23]
	flat_load_b64 v[40:41], v[40:41]
	s_wait_loadcnt_dscnt 0x0
	v_xor_b32_e32 v29, 0x80000000, v41
	ds_store_b32 v3, v40
	s_branch .LBB536_8
.LBB536_17:                             ;   in Loop: Header=BB536_6 Depth=1
	s_wait_loadcnt 0x0
	v_add_nc_u64_e32 v[18:19], s[22:23], v[18:19]
	s_delay_alu instid0(VALU_DEP_1)
	v_lshl_add_u64 v[20:21], v[10:11], 3, v[18:19]
	s_wait_xcnt 0x0
	s_and_saveexec_b32 s26, s35
	s_cbranch_execz .LBB536_22
; %bb.18:                               ;   in Loop: Header=BB536_6 Depth=1
	v_mov_b64_e32 v[22:23], s[4:5]
	v_mov_b64_e32 v[40:41], s[18:19]
	s_and_b32 vcc_lo, exec_lo, s34
	s_mov_b32 s27, -1
	s_delay_alu instid0(VALU_DEP_2) | instskip(NEXT) | instid1(VALU_DEP_1)
	v_pk_mul_f32 v[22:23], v[38:39], v[22:23] op_sel_hi:[0,1]
	v_pk_fma_f32 v[38:39], v[36:37], v[40:41], v[22:23] op_sel_hi:[0,1,1]
	v_pk_fma_f32 v[22:23], v[36:37], v[40:41], v[22:23] neg_lo:[0,0,1] neg_hi:[0,0,1]
	v_lshl_add_u64 v[36:37], v[8:9], 3, v[20:21]
	s_delay_alu instid0(VALU_DEP_3)
	v_mov_b32_e32 v23, v39
	s_cbranch_vccz .LBB536_20
; %bb.19:                               ;   in Loop: Header=BB536_6 Depth=1
	flat_load_b64 v[38:39], v[36:37]
	v_mov_b64_e32 v[40:41], s[6:7]
	v_mov_b64_e32 v[42:43], s[2:3]
	s_mov_b32 s27, 0
	s_wait_loadcnt_dscnt 0x0
	s_delay_alu instid0(VALU_DEP_2) | instskip(NEXT) | instid1(VALU_DEP_1)
	v_pk_mul_f32 v[40:41], v[38:39], v[40:41]
	v_pk_fma_f32 v[44:45], v[38:39], v[42:43], v[40:41] op_sel:[0,0,1] op_sel_hi:[1,1,0]
	v_pk_fma_f32 v[38:39], v[38:39], v[42:43], v[40:41] op_sel:[0,0,1] op_sel_hi:[1,1,0] neg_lo:[0,0,1] neg_hi:[0,0,1]
	s_delay_alu instid0(VALU_DEP_2) | instskip(NEXT) | instid1(VALU_DEP_1)
	v_mov_b32_e32 v39, v45
	v_pk_add_f32 v[38:39], v[22:23], v[38:39]
	flat_store_b64 v[36:37], v[38:39]
.LBB536_20:                             ;   in Loop: Header=BB536_6 Depth=1
	s_and_not1_b32 vcc_lo, exec_lo, s27
	s_cbranch_vccnz .LBB536_22
; %bb.21:                               ;   in Loop: Header=BB536_6 Depth=1
	flat_store_b64 v[36:37], v[22:23]
.LBB536_22:                             ;   in Loop: Header=BB536_6 Depth=1
	s_wait_xcnt 0x0
	s_or_b32 exec_lo, exec_lo, s26
	s_and_saveexec_b32 s26, s36
	s_cbranch_execz .LBB536_27
; %bb.23:                               ;   in Loop: Header=BB536_6 Depth=1
	v_mov_b64_e32 v[22:23], s[4:5]
	v_mov_b64_e32 v[36:37], s[18:19]
	v_lshl_add_u64 v[20:21], v[14:15], 3, v[20:21]
	s_and_not1_b32 vcc_lo, exec_lo, s34
	s_mov_b32 s27, -1
	s_delay_alu instid0(VALU_DEP_3) | instskip(NEXT) | instid1(VALU_DEP_1)
	v_pk_mul_f32 v[22:23], v[34:35], v[22:23] op_sel_hi:[0,1]
	v_pk_fma_f32 v[34:35], v[32:33], v[36:37], v[22:23] op_sel_hi:[0,1,1]
	v_pk_fma_f32 v[22:23], v[32:33], v[36:37], v[22:23] neg_lo:[0,0,1] neg_hi:[0,0,1]
	s_delay_alu instid0(VALU_DEP_2)
	v_mov_b32_e32 v23, v35
	s_cbranch_vccnz .LBB536_25
; %bb.24:                               ;   in Loop: Header=BB536_6 Depth=1
	flat_load_b64 v[32:33], v[20:21]
	v_mov_b64_e32 v[34:35], s[6:7]
	v_mov_b64_e32 v[36:37], s[2:3]
	s_mov_b32 s27, 0
	s_wait_loadcnt_dscnt 0x0
	s_delay_alu instid0(VALU_DEP_2) | instskip(NEXT) | instid1(VALU_DEP_1)
	v_pk_mul_f32 v[34:35], v[32:33], v[34:35]
	v_pk_fma_f32 v[38:39], v[32:33], v[36:37], v[34:35] op_sel:[0,0,1] op_sel_hi:[1,1,0]
	v_pk_fma_f32 v[32:33], v[32:33], v[36:37], v[34:35] op_sel:[0,0,1] op_sel_hi:[1,1,0] neg_lo:[0,0,1] neg_hi:[0,0,1]
	s_delay_alu instid0(VALU_DEP_2) | instskip(NEXT) | instid1(VALU_DEP_1)
	v_mov_b32_e32 v33, v39
	v_pk_add_f32 v[32:33], v[22:23], v[32:33]
	flat_store_b64 v[20:21], v[32:33]
.LBB536_25:                             ;   in Loop: Header=BB536_6 Depth=1
	s_and_not1_b32 vcc_lo, exec_lo, s27
	s_cbranch_vccnz .LBB536_27
; %bb.26:                               ;   in Loop: Header=BB536_6 Depth=1
	flat_store_b64 v[20:21], v[22:23]
.LBB536_27:                             ;   in Loop: Header=BB536_6 Depth=1
	s_wait_xcnt 0x0
	s_or_b32 exec_lo, exec_lo, s26
	v_lshl_add_u64 v[18:19], v[12:13], 3, v[18:19]
	s_and_saveexec_b32 s26, s1
	s_cbranch_execz .LBB536_32
; %bb.28:                               ;   in Loop: Header=BB536_6 Depth=1
	v_mov_b64_e32 v[20:21], s[4:5]
	v_mov_b64_e32 v[22:23], s[18:19]
	s_and_not1_b32 vcc_lo, exec_lo, s34
	s_mov_b32 s27, -1
	s_delay_alu instid0(VALU_DEP_2) | instskip(NEXT) | instid1(VALU_DEP_1)
	v_pk_mul_f32 v[20:21], v[30:31], v[20:21] op_sel_hi:[0,1]
	v_pk_fma_f32 v[30:31], v[28:29], v[22:23], v[20:21] op_sel_hi:[0,1,1]
	v_pk_fma_f32 v[20:21], v[28:29], v[22:23], v[20:21] neg_lo:[0,0,1] neg_hi:[0,0,1]
	v_lshl_add_u64 v[22:23], v[8:9], 3, v[18:19]
	s_delay_alu instid0(VALU_DEP_3)
	v_mov_b32_e32 v21, v31
	s_cbranch_vccnz .LBB536_30
; %bb.29:                               ;   in Loop: Header=BB536_6 Depth=1
	flat_load_b64 v[28:29], v[22:23]
	v_mov_b64_e32 v[30:31], s[6:7]
	v_mov_b64_e32 v[32:33], s[2:3]
	s_mov_b32 s27, 0
	s_wait_loadcnt_dscnt 0x0
	s_delay_alu instid0(VALU_DEP_2) | instskip(NEXT) | instid1(VALU_DEP_1)
	v_pk_mul_f32 v[30:31], v[28:29], v[30:31]
	v_pk_fma_f32 v[34:35], v[28:29], v[32:33], v[30:31] op_sel:[0,0,1] op_sel_hi:[1,1,0]
	v_pk_fma_f32 v[28:29], v[28:29], v[32:33], v[30:31] op_sel:[0,0,1] op_sel_hi:[1,1,0] neg_lo:[0,0,1] neg_hi:[0,0,1]
	s_delay_alu instid0(VALU_DEP_2) | instskip(NEXT) | instid1(VALU_DEP_1)
	v_mov_b32_e32 v29, v35
	v_pk_add_f32 v[28:29], v[20:21], v[28:29]
	flat_store_b64 v[22:23], v[28:29]
.LBB536_30:                             ;   in Loop: Header=BB536_6 Depth=1
	s_and_not1_b32 vcc_lo, exec_lo, s27
	s_cbranch_vccnz .LBB536_32
; %bb.31:                               ;   in Loop: Header=BB536_6 Depth=1
	flat_store_b64 v[22:23], v[20:21]
.LBB536_32:                             ;   in Loop: Header=BB536_6 Depth=1
	s_wait_xcnt 0x0
	s_or_b32 exec_lo, exec_lo, s26
	s_and_saveexec_b32 s26, s37
	s_cbranch_execz .LBB536_5
; %bb.33:                               ;   in Loop: Header=BB536_6 Depth=1
	v_mov_b64_e32 v[20:21], s[4:5]
	v_mov_b64_e32 v[22:23], s[18:19]
	v_lshl_add_u64 v[18:19], v[14:15], 3, v[18:19]
	s_and_not1_b32 vcc_lo, exec_lo, s34
	s_mov_b32 s27, -1
	s_delay_alu instid0(VALU_DEP_3) | instskip(NEXT) | instid1(VALU_DEP_1)
	v_pk_mul_f32 v[20:21], v[26:27], v[20:21] op_sel_hi:[0,1]
	v_pk_fma_f32 v[28:29], v[24:25], v[22:23], v[20:21] op_sel_hi:[0,1,1]
	v_pk_fma_f32 v[20:21], v[24:25], v[22:23], v[20:21] neg_lo:[0,0,1] neg_hi:[0,0,1]
	s_delay_alu instid0(VALU_DEP_2)
	v_mov_b32_e32 v21, v29
	s_cbranch_vccnz .LBB536_35
; %bb.34:                               ;   in Loop: Header=BB536_6 Depth=1
	flat_load_b64 v[22:23], v[18:19]
	v_mov_b64_e32 v[28:29], s[6:7]
	v_mov_b64_e32 v[30:31], s[2:3]
	s_mov_b32 s27, 0
	s_wait_loadcnt_dscnt 0x0
	s_delay_alu instid0(VALU_DEP_2) | instskip(NEXT) | instid1(VALU_DEP_1)
	v_pk_mul_f32 v[28:29], v[22:23], v[28:29]
	v_pk_fma_f32 v[32:33], v[22:23], v[30:31], v[28:29] op_sel:[0,0,1] op_sel_hi:[1,1,0]
	v_pk_fma_f32 v[22:23], v[22:23], v[30:31], v[28:29] op_sel:[0,0,1] op_sel_hi:[1,1,0] neg_lo:[0,0,1] neg_hi:[0,0,1]
	s_delay_alu instid0(VALU_DEP_2) | instskip(NEXT) | instid1(VALU_DEP_1)
	v_mov_b32_e32 v23, v33
	v_pk_add_f32 v[22:23], v[20:21], v[22:23]
	flat_store_b64 v[18:19], v[22:23]
.LBB536_35:                             ;   in Loop: Header=BB536_6 Depth=1
	s_and_not1_b32 vcc_lo, exec_lo, s27
	s_cbranch_vccnz .LBB536_5
; %bb.36:                               ;   in Loop: Header=BB536_6 Depth=1
	flat_store_b64 v[18:19], v[20:21]
	s_branch .LBB536_5
.LBB536_37:
	s_sendmsg sendmsg(MSG_DEALLOC_VGPRS)
	s_endpgm
	.section	.rodata,"a",@progbits
	.p2align	6, 0x0
	.amdhsa_kernel _ZL29rocblas_internal_gemmt_kernelIlLi16ELi32ELi8ELc84ELc67ELc76ELb0ELb1E19rocblas_complex_numIfES1_PKPKS1_PKPS1_EviT_T9_T10_S9_lSB_S9_lSA_T11_S9_li
		.amdhsa_group_segment_fixed_size 4096
		.amdhsa_private_segment_fixed_size 0
		.amdhsa_kernarg_size 108
		.amdhsa_user_sgpr_count 2
		.amdhsa_user_sgpr_dispatch_ptr 0
		.amdhsa_user_sgpr_queue_ptr 0
		.amdhsa_user_sgpr_kernarg_segment_ptr 1
		.amdhsa_user_sgpr_dispatch_id 0
		.amdhsa_user_sgpr_kernarg_preload_length 0
		.amdhsa_user_sgpr_kernarg_preload_offset 0
		.amdhsa_user_sgpr_private_segment_size 0
		.amdhsa_wavefront_size32 1
		.amdhsa_uses_dynamic_stack 0
		.amdhsa_enable_private_segment 0
		.amdhsa_system_sgpr_workgroup_id_x 1
		.amdhsa_system_sgpr_workgroup_id_y 1
		.amdhsa_system_sgpr_workgroup_id_z 1
		.amdhsa_system_sgpr_workgroup_info 0
		.amdhsa_system_vgpr_workitem_id 1
		.amdhsa_next_free_vgpr 72
		.amdhsa_next_free_sgpr 40
		.amdhsa_named_barrier_count 0
		.amdhsa_reserve_vcc 1
		.amdhsa_float_round_mode_32 0
		.amdhsa_float_round_mode_16_64 0
		.amdhsa_float_denorm_mode_32 3
		.amdhsa_float_denorm_mode_16_64 3
		.amdhsa_fp16_overflow 0
		.amdhsa_memory_ordered 1
		.amdhsa_forward_progress 1
		.amdhsa_inst_pref_size 26
		.amdhsa_round_robin_scheduling 0
		.amdhsa_exception_fp_ieee_invalid_op 0
		.amdhsa_exception_fp_denorm_src 0
		.amdhsa_exception_fp_ieee_div_zero 0
		.amdhsa_exception_fp_ieee_overflow 0
		.amdhsa_exception_fp_ieee_underflow 0
		.amdhsa_exception_fp_ieee_inexact 0
		.amdhsa_exception_int_div_zero 0
	.end_amdhsa_kernel
	.section	.text._ZL29rocblas_internal_gemmt_kernelIlLi16ELi32ELi8ELc84ELc67ELc76ELb0ELb1E19rocblas_complex_numIfES1_PKPKS1_PKPS1_EviT_T9_T10_S9_lSB_S9_lSA_T11_S9_li,"axG",@progbits,_ZL29rocblas_internal_gemmt_kernelIlLi16ELi32ELi8ELc84ELc67ELc76ELb0ELb1E19rocblas_complex_numIfES1_PKPKS1_PKPS1_EviT_T9_T10_S9_lSB_S9_lSA_T11_S9_li,comdat
.Lfunc_end536:
	.size	_ZL29rocblas_internal_gemmt_kernelIlLi16ELi32ELi8ELc84ELc67ELc76ELb0ELb1E19rocblas_complex_numIfES1_PKPKS1_PKPS1_EviT_T9_T10_S9_lSB_S9_lSA_T11_S9_li, .Lfunc_end536-_ZL29rocblas_internal_gemmt_kernelIlLi16ELi32ELi8ELc84ELc67ELc76ELb0ELb1E19rocblas_complex_numIfES1_PKPKS1_PKPS1_EviT_T9_T10_S9_lSB_S9_lSA_T11_S9_li
                                        ; -- End function
	.set _ZL29rocblas_internal_gemmt_kernelIlLi16ELi32ELi8ELc84ELc67ELc76ELb0ELb1E19rocblas_complex_numIfES1_PKPKS1_PKPS1_EviT_T9_T10_S9_lSB_S9_lSA_T11_S9_li.num_vgpr, 72
	.set _ZL29rocblas_internal_gemmt_kernelIlLi16ELi32ELi8ELc84ELc67ELc76ELb0ELb1E19rocblas_complex_numIfES1_PKPKS1_PKPS1_EviT_T9_T10_S9_lSB_S9_lSA_T11_S9_li.num_agpr, 0
	.set _ZL29rocblas_internal_gemmt_kernelIlLi16ELi32ELi8ELc84ELc67ELc76ELb0ELb1E19rocblas_complex_numIfES1_PKPKS1_PKPS1_EviT_T9_T10_S9_lSB_S9_lSA_T11_S9_li.numbered_sgpr, 40
	.set _ZL29rocblas_internal_gemmt_kernelIlLi16ELi32ELi8ELc84ELc67ELc76ELb0ELb1E19rocblas_complex_numIfES1_PKPKS1_PKPS1_EviT_T9_T10_S9_lSB_S9_lSA_T11_S9_li.num_named_barrier, 0
	.set _ZL29rocblas_internal_gemmt_kernelIlLi16ELi32ELi8ELc84ELc67ELc76ELb0ELb1E19rocblas_complex_numIfES1_PKPKS1_PKPS1_EviT_T9_T10_S9_lSB_S9_lSA_T11_S9_li.private_seg_size, 0
	.set _ZL29rocblas_internal_gemmt_kernelIlLi16ELi32ELi8ELc84ELc67ELc76ELb0ELb1E19rocblas_complex_numIfES1_PKPKS1_PKPS1_EviT_T9_T10_S9_lSB_S9_lSA_T11_S9_li.uses_vcc, 1
	.set _ZL29rocblas_internal_gemmt_kernelIlLi16ELi32ELi8ELc84ELc67ELc76ELb0ELb1E19rocblas_complex_numIfES1_PKPKS1_PKPS1_EviT_T9_T10_S9_lSB_S9_lSA_T11_S9_li.uses_flat_scratch, 0
	.set _ZL29rocblas_internal_gemmt_kernelIlLi16ELi32ELi8ELc84ELc67ELc76ELb0ELb1E19rocblas_complex_numIfES1_PKPKS1_PKPS1_EviT_T9_T10_S9_lSB_S9_lSA_T11_S9_li.has_dyn_sized_stack, 0
	.set _ZL29rocblas_internal_gemmt_kernelIlLi16ELi32ELi8ELc84ELc67ELc76ELb0ELb1E19rocblas_complex_numIfES1_PKPKS1_PKPS1_EviT_T9_T10_S9_lSB_S9_lSA_T11_S9_li.has_recursion, 0
	.set _ZL29rocblas_internal_gemmt_kernelIlLi16ELi32ELi8ELc84ELc67ELc76ELb0ELb1E19rocblas_complex_numIfES1_PKPKS1_PKPS1_EviT_T9_T10_S9_lSB_S9_lSA_T11_S9_li.has_indirect_call, 0
	.section	.AMDGPU.csdata,"",@progbits
; Kernel info:
; codeLenInByte = 3272
; TotalNumSgprs: 42
; NumVgprs: 72
; ScratchSize: 0
; MemoryBound: 0
; FloatMode: 240
; IeeeMode: 1
; LDSByteSize: 4096 bytes/workgroup (compile time only)
; SGPRBlocks: 0
; VGPRBlocks: 4
; NumSGPRsForWavesPerEU: 42
; NumVGPRsForWavesPerEU: 72
; NamedBarCnt: 0
; Occupancy: 12
; WaveLimiterHint : 1
; COMPUTE_PGM_RSRC2:SCRATCH_EN: 0
; COMPUTE_PGM_RSRC2:USER_SGPR: 2
; COMPUTE_PGM_RSRC2:TRAP_HANDLER: 0
; COMPUTE_PGM_RSRC2:TGID_X_EN: 1
; COMPUTE_PGM_RSRC2:TGID_Y_EN: 1
; COMPUTE_PGM_RSRC2:TGID_Z_EN: 1
; COMPUTE_PGM_RSRC2:TIDIG_COMP_CNT: 1
	.section	.text._ZL29rocblas_internal_gemmt_kernelIlLi16ELi32ELi8ELc67ELc78ELc76ELb1ELb0E19rocblas_complex_numIfES1_PKPKS1_PKPS1_EviT_T9_T10_S9_lSB_S9_lSA_T11_S9_li,"axG",@progbits,_ZL29rocblas_internal_gemmt_kernelIlLi16ELi32ELi8ELc67ELc78ELc76ELb1ELb0E19rocblas_complex_numIfES1_PKPKS1_PKPS1_EviT_T9_T10_S9_lSB_S9_lSA_T11_S9_li,comdat
	.globl	_ZL29rocblas_internal_gemmt_kernelIlLi16ELi32ELi8ELc67ELc78ELc76ELb1ELb0E19rocblas_complex_numIfES1_PKPKS1_PKPS1_EviT_T9_T10_S9_lSB_S9_lSA_T11_S9_li ; -- Begin function _ZL29rocblas_internal_gemmt_kernelIlLi16ELi32ELi8ELc67ELc78ELc76ELb1ELb0E19rocblas_complex_numIfES1_PKPKS1_PKPS1_EviT_T9_T10_S9_lSB_S9_lSA_T11_S9_li
	.p2align	8
	.type	_ZL29rocblas_internal_gemmt_kernelIlLi16ELi32ELi8ELc67ELc78ELc76ELb1ELb0E19rocblas_complex_numIfES1_PKPKS1_PKPS1_EviT_T9_T10_S9_lSB_S9_lSA_T11_S9_li,@function
_ZL29rocblas_internal_gemmt_kernelIlLi16ELi32ELi8ELc67ELc78ELc76ELb1ELb0E19rocblas_complex_numIfES1_PKPKS1_PKPS1_EviT_T9_T10_S9_lSB_S9_lSA_T11_S9_li: ; @_ZL29rocblas_internal_gemmt_kernelIlLi16ELi32ELi8ELc67ELc78ELc76ELb1ELb0E19rocblas_complex_numIfES1_PKPKS1_PKPS1_EviT_T9_T10_S9_lSB_S9_lSA_T11_S9_li
; %bb.0:
	s_clause 0x1
	s_load_b64 s[24:25], s[0:1], 0x48
	s_load_b128 s[16:19], s[0:1], 0x8
	s_wait_kmcnt 0x0
	s_cmp_neq_f32 s24, 1.0
	s_cselect_b32 s3, -1, 0
	s_and_b32 s4, s25, 0x7fffffff
	s_delay_alu instid0(SALU_CYCLE_1) | instskip(SKIP_3) | instid1(SALU_CYCLE_1)
	s_cmp_eq_u32 s4, 0
	s_cselect_b32 s2, -1, 0
	s_cmp_lg_u32 s4, 0
	s_cselect_b32 s4, -1, 0
	s_or_b32 s3, s3, s4
	s_delay_alu instid0(SALU_CYCLE_1)
	s_and_b32 vcc_lo, exec_lo, s3
	s_cbranch_vccnz .LBB537_2
; %bb.1:
	s_cmp_lg_u64 s[16:17], 0
	s_cselect_b32 s3, -1, 0
	s_cmp_neq_f32 s18, 0
	s_cselect_b32 s4, -1, 0
	s_cmp_neq_f32 s19, 0
	s_cselect_b32 s5, -1, 0
	s_delay_alu instid0(SALU_CYCLE_1) | instskip(NEXT) | instid1(SALU_CYCLE_1)
	s_or_b32 s4, s4, s5
	s_and_b32 s3, s3, s4
.LBB537_2:
	s_delay_alu instid0(SALU_CYCLE_1)
	s_and_not1_b32 vcc_lo, exec_lo, s3
	s_cbranch_vccnz .LBB537_38
; %bb.3:
	s_load_b32 s30, s[0:1], 0x68
	s_bfe_u32 s3, ttmp6, 0x40014
	s_lshr_b32 s4, ttmp7, 16
	s_add_co_i32 s3, s3, 1
	s_bfe_u32 s6, ttmp6, 0x40008
	s_mul_i32 s5, s4, s3
	s_getreg_b32 s3, hwreg(HW_REG_IB_STS2, 6, 4)
	s_add_co_i32 s6, s6, s5
	s_cmp_eq_u32 s3, 0
	s_mov_b32 s27, 0
	s_cselect_b32 s26, s4, s6
	s_wait_kmcnt 0x0
	s_cmp_ge_u32 s26, s30
	s_cbranch_scc1 .LBB537_38
; %bb.4:
	s_bfe_u32 s5, ttmp6, 0x4000c
	s_bfe_u32 s7, ttmp6, 0x40010
	s_and_b32 s6, ttmp7, 0xffff
	s_add_co_i32 s5, s5, 1
	s_add_co_i32 s7, s7, 1
	s_and_b32 s4, ttmp6, 15
	s_mul_i32 s5, ttmp9, s5
	s_mul_i32 s7, s6, s7
	s_bfe_u32 s8, ttmp6, 0x40004
	v_and_b32_e32 v9, 0x3ff, v0
	v_bfe_u32 v15, v0, 10, 10
	s_add_co_i32 s4, s4, s5
	s_add_co_i32 s5, s8, s7
	s_cmp_eq_u32 s3, 0
	s_load_b32 s34, s[0:1], 0x0
	s_cselect_b32 s3, ttmp9, s4
	s_cselect_b32 s4, s6, s5
	v_lshl_add_u32 v1, v15, 4, v9
	s_load_b256 s[8:15], s[0:1], 0x18
	s_lshl_b32 s31, s4, 5
	s_clause 0x1
	s_load_b128 s[4:7], s[0:1], 0x38
	s_load_b128 s[20:23], s[0:1], 0x50
	v_dual_lshrrev_b32 v2, 5, v1 :: v_dual_bitop2_b32 v0, 7, v0 bitop3:0x40
	v_dual_lshrrev_b32 v3, 3, v1 :: v_dual_bitop2_b32 v1, 31, v1 bitop3:0x40
	s_delay_alu instid0(VALU_DEP_2) | instskip(SKIP_2) | instid1(VALU_DEP_2)
	v_dual_add_nc_u32 v16, s31, v15 :: v_dual_lshlrev_b32 v8, 3, v0
	s_lshl_b32 s3, s3, 5
	s_cmp_neq_f32 s18, 0
	v_dual_add_nc_u32 v6, s31, v3 :: v_dual_bitop2_b32 v4, s3, v1 bitop3:0x54
	s_delay_alu instid0(VALU_DEP_2) | instskip(SKIP_2) | instid1(VALU_DEP_2)
	v_add_nc_u32_e32 v18, 16, v16
	s_cselect_b32 s33, -1, 0
	s_cmp_neq_f32 s19, 0
	v_dual_lshlrev_b32 v1, 3, v1 :: v_dual_ashrrev_i32 v5, 31, v4
	v_dual_ashrrev_i32 v7, 31, v6 :: v_dual_ashrrev_i32 v17, 31, v16
	v_ashrrev_i32_e32 v19, 31, v18
	s_load_b64 s[28:29], s[0:1], 0x60
	s_wait_xcnt 0x0
	s_cselect_b32 s0, -1, 0
	s_wait_kmcnt 0x0
	v_cmp_le_i32_e64 s31, s34, v4
	s_or_b32 s38, s33, s0
	v_cmp_gt_i32_e64 s0, s34, v4
	v_mul_u64_e32 v[4:5], s[10:11], v[4:5]
	v_cmp_gt_i32_e64 s1, s34, v6
	v_mul_u64_e32 v[6:7], s[4:5], v[6:7]
	v_mul_u64_e32 v[10:11], s[22:23], v[16:17]
	;; [unrolled: 1-line block ×3, first 2 shown]
	v_lshl_or_b32 v3, v3, 6, v8
	v_dual_add_nc_u32 v8, s3, v9 :: v_dual_lshlrev_b32 v27, 3, v9
	s_cmp_neq_f32 s24, 0
	v_cmp_gt_i64_e64 s39, s[16:17], 0
	v_lshl_or_b32 v1, v2, 8, v1
	s_delay_alu instid0(VALU_DEP_3)
	v_dual_add_nc_u32 v14, 16, v8 :: v_dual_ashrrev_i32 v9, 31, v8
	s_cselect_b32 s3, -1, 0
	s_xor_b32 s4, s2, -1
	v_cmp_le_i32_e32 vcc_lo, v16, v8
	v_cmp_gt_i32_e64 s2, s34, v8
	s_or_b32 s33, s3, s4
	v_cmp_le_i32_e64 s3, v16, v14
	v_cmp_gt_i32_e64 s4, s34, v14
	v_cmp_le_i32_e64 s5, v18, v14
	s_and_b32 s34, vcc_lo, s2
	v_cmp_le_i32_e32 vcc_lo, v18, v8
	v_add_nc_u32_e32 v3, 0x800, v3
	v_lshl_add_u32 v29, v15, 6, 0x800
	v_dual_ashrrev_i32 v15, 31, v14 :: v_dual_mov_b32 v17, 0
	s_and_b32 s35, s3, s4
	s_and_b32 s36, vcc_lo, s2
	s_and_b32 s37, s5, s4
	s_mov_b32 s2, s24
	s_mov_b32 s3, s24
	;; [unrolled: 1-line block ×5, first 2 shown]
	s_and_b32 s38, s38, s39
	s_lshl_b64 s[6:7], s[6:7], 3
	s_lshl_b64 s[10:11], s[12:13], 3
	;; [unrolled: 1-line block ×3, first 2 shown]
                                        ; implicit-def: $vgpr18_vgpr19
	s_branch .LBB537_6
.LBB537_5:                              ;   in Loop: Header=BB537_6 Depth=1
	s_wait_xcnt 0x0
	s_or_b32 exec_lo, exec_lo, s22
	s_add_co_i32 s26, s26, 0x10000
	s_delay_alu instid0(SALU_CYCLE_1)
	s_cmp_lt_u32 s26, s30
	s_cbranch_scc0 .LBB537_38
.LBB537_6:                              ; =>This Loop Header: Depth=1
                                        ;     Child Loop BB537_9 Depth 2
	v_mov_b32_e32 v16, s26
	s_and_not1_b32 vcc_lo, exec_lo, s38
	global_load_b64 v[20:21], v16, s[20:21] scale_offset
	s_cbranch_vccnz .LBB537_17
; %bb.7:                                ;   in Loop: Header=BB537_6 Depth=1
	s_lshl_b64 s[22:23], s[26:27], 3
	v_dual_mov_b32 v26, 0 :: v_dual_mov_b32 v28, 0
	s_add_nc_u64 s[28:29], s[8:9], s[22:23]
	s_add_nc_u64 s[22:23], s[14:15], s[22:23]
	s_clause 0x1
	global_load_b64 v[22:23], v17, s[28:29]
	global_load_b64 v[24:25], v17, s[22:23]
	v_dual_mov_b32 v32, 0 :: v_dual_mov_b32 v30, 0
	v_dual_mov_b32 v36, 0 :: v_dual_mov_b32 v34, 0
	;; [unrolled: 1-line block ×3, first 2 shown]
	s_wait_xcnt 0x0
	s_mov_b64 s[22:23], 0
	s_wait_loadcnt 0x1
	v_add_nc_u64_e32 v[22:23], s[10:11], v[22:23]
	s_wait_loadcnt 0x0
	v_add_nc_u64_e32 v[24:25], s[6:7], v[24:25]
	s_delay_alu instid0(VALU_DEP_2) | instskip(NEXT) | instid1(VALU_DEP_2)
	v_lshl_add_u64 v[22:23], v[4:5], 3, v[22:23]
	v_lshl_add_u64 v[24:25], v[6:7], 3, v[24:25]
	s_branch .LBB537_9
.LBB537_8:                              ;   in Loop: Header=BB537_9 Depth=2
	s_wait_xcnt 0x0
	s_or_b32 exec_lo, exec_lo, s28
	s_wait_loadcnt_dscnt 0x0
	ds_store_b64 v3, v[42:43]
	s_wait_dscnt 0x0
	s_barrier_signal -1
	s_barrier_wait -1
	ds_load_b128 v[42:45], v29
	ds_load_2addr_b64 v[46:49], v27 offset1:16
	ds_load_b128 v[50:53], v29 offset:1024
	ds_load_b128 v[54:57], v29 offset:16
	;; [unrolled: 1-line block ×4, first 2 shown]
	ds_load_2addr_b64 v[66:69], v27 offset0:32 offset1:48
	ds_load_b128 v[70:73], v29 offset:1040
	s_add_nc_u64 s[22:23], s[22:23], 8
	s_delay_alu instid0(SALU_CYCLE_1)
	v_cmp_gt_i64_e64 s28, s[16:17], s[22:23]
	s_and_b32 vcc_lo, exec_lo, s28
	s_wait_dscnt 0x6
	v_dual_mul_f32 v16, v43, v47 :: v_dual_mul_f32 v31, v42, v47
	v_dual_mul_f32 v33, v43, v49 :: v_dual_mul_f32 v35, v42, v49
	s_wait_dscnt 0x5
	v_dual_mul_f32 v37, v51, v47 :: v_dual_mul_f32 v39, v50, v47
	v_dual_mul_f32 v41, v51, v49 :: v_dual_mul_f32 v47, v50, v49
	v_dual_fma_f32 v16, v42, v46, -v16 :: v_dual_fmac_f32 v31, v43, v46
	v_dual_fma_f32 v33, v42, v48, -v33 :: v_dual_fmac_f32 v35, v43, v48
	s_delay_alu instid0(VALU_DEP_4) | instskip(NEXT) | instid1(VALU_DEP_3)
	v_dual_fma_f32 v37, v50, v46, -v37 :: v_dual_fmac_f32 v39, v51, v46
	v_dual_add_f32 v16, v38, v16 :: v_dual_add_f32 v38, v40, v31
	v_fma_f32 v31, v50, v48, -v41
	s_delay_alu instid0(VALU_DEP_4) | instskip(NEXT) | instid1(VALU_DEP_4)
	v_dual_add_f32 v34, v34, v33 :: v_dual_add_f32 v35, v36, v35
	v_dual_add_f32 v36, v30, v37 :: v_dual_add_f32 v37, v32, v39
	s_wait_dscnt 0x1
	v_dual_mul_f32 v39, v45, v67 :: v_dual_fmac_f32 v47, v51, v48
	v_add_f32_e32 v28, v28, v31
	ds_load_2addr_b64 v[30:33], v27 offset0:64 offset1:80
	v_dual_mul_f32 v40, v44, v67 :: v_dual_fma_f32 v39, v44, v66, -v39
	v_dual_mul_f32 v41, v45, v69 :: v_dual_add_f32 v26, v26, v47
	s_delay_alu instid0(VALU_DEP_2) | instskip(NEXT) | instid1(VALU_DEP_3)
	v_dual_mul_f32 v42, v44, v69 :: v_dual_fmac_f32 v40, v45, v66
	v_add_f32_e32 v16, v16, v39
	s_delay_alu instid0(VALU_DEP_3) | instskip(NEXT) | instid1(VALU_DEP_3)
	v_dual_fma_f32 v39, v44, v68, -v41 :: v_dual_mul_f32 v41, v53, v67
	v_fmac_f32_e32 v42, v45, v68
	s_delay_alu instid0(VALU_DEP_4) | instskip(NEXT) | instid1(VALU_DEP_3)
	v_dual_add_f32 v38, v38, v40 :: v_dual_mul_f32 v40, v52, v67
	v_dual_add_f32 v39, v34, v39 :: v_dual_fma_f32 v34, v52, v66, -v41
	s_delay_alu instid0(VALU_DEP_3) | instskip(NEXT) | instid1(VALU_DEP_3)
	v_dual_mul_f32 v41, v53, v69 :: v_dual_add_f32 v42, v35, v42
	v_dual_fmac_f32 v40, v53, v66 :: v_dual_mul_f32 v43, v52, v69
	s_wait_dscnt 0x0
	s_delay_alu instid0(VALU_DEP_3) | instskip(NEXT) | instid1(VALU_DEP_3)
	v_dual_add_f32 v44, v36, v34 :: v_dual_mul_f32 v35, v55, v31
	v_fma_f32 v34, v52, v68, -v41
	s_delay_alu instid0(VALU_DEP_3) | instskip(SKIP_1) | instid1(VALU_DEP_4)
	v_dual_add_f32 v40, v37, v40 :: v_dual_mul_f32 v41, v54, v31
	v_fmac_f32_e32 v43, v53, v68
	v_fma_f32 v45, v54, v30, -v35
	s_delay_alu instid0(VALU_DEP_4) | instskip(SKIP_4) | instid1(VALU_DEP_3)
	v_dual_add_f32 v28, v28, v34 :: v_dual_mul_f32 v46, v55, v33
	ds_load_2addr_b64 v[34:37], v27 offset0:96 offset1:112
	v_dual_fmac_f32 v41, v55, v30 :: v_dual_add_f32 v26, v26, v43
	v_add_f32_e32 v16, v16, v45
	v_dual_mul_f32 v43, v54, v33 :: v_dual_fma_f32 v45, v54, v32, -v46
	v_dual_add_f32 v38, v38, v41 :: v_dual_mul_f32 v41, v71, v31
	s_delay_alu instid0(VALU_DEP_2) | instskip(NEXT) | instid1(VALU_DEP_3)
	v_dual_mul_f32 v31, v70, v31 :: v_dual_fmac_f32 v43, v55, v32
	v_add_f32_e32 v39, v39, v45
	s_delay_alu instid0(VALU_DEP_3) | instskip(NEXT) | instid1(VALU_DEP_3)
	v_dual_mul_f32 v45, v71, v33 :: v_dual_fma_f32 v41, v70, v30, -v41
	v_dual_fmac_f32 v31, v71, v30 :: v_dual_mul_f32 v46, v70, v33
	s_delay_alu instid0(VALU_DEP_4) | instskip(NEXT) | instid1(VALU_DEP_3)
	v_add_f32_e32 v42, v42, v43
	v_dual_fma_f32 v30, v70, v32, -v45 :: v_dual_add_f32 v43, v44, v41
	s_delay_alu instid0(VALU_DEP_3) | instskip(SKIP_1) | instid1(VALU_DEP_2)
	v_dual_add_f32 v44, v40, v31 :: v_dual_fmac_f32 v46, v71, v32
	s_wait_dscnt 0x0
	v_dual_mul_f32 v40, v57, v35 :: v_dual_add_f32 v28, v28, v30
	ds_load_2addr_b64 v[30:33], v27 offset0:128 offset1:144
	v_dual_mul_f32 v41, v56, v35 :: v_dual_mul_f32 v45, v57, v37
	v_fma_f32 v40, v56, v34, -v40
	v_dual_add_f32 v26, v26, v46 :: v_dual_mul_f32 v46, v56, v37
	s_delay_alu instid0(VALU_DEP_3) | instskip(NEXT) | instid1(VALU_DEP_4)
	v_fmac_f32_e32 v41, v57, v34
	v_fma_f32 v45, v56, v36, -v45
	s_delay_alu instid0(VALU_DEP_4) | instskip(NEXT) | instid1(VALU_DEP_3)
	v_dual_add_f32 v16, v16, v40 :: v_dual_mul_f32 v40, v73, v35
	v_dual_fmac_f32 v46, v57, v36 :: v_dual_add_f32 v47, v38, v41
	s_delay_alu instid0(VALU_DEP_3) | instskip(NEXT) | instid1(VALU_DEP_3)
	v_dual_add_f32 v48, v39, v45 :: v_dual_mul_f32 v35, v72, v35
	v_dual_fma_f32 v45, v72, v34, -v40 :: v_dual_mul_f32 v49, v73, v37
	s_delay_alu instid0(VALU_DEP_3)
	v_add_f32_e32 v46, v42, v46
	ds_load_b128 v[38:41], v29 offset:1056
	v_dual_fmac_f32 v35, v73, v34 :: v_dual_mul_f32 v42, v72, v37
	v_dual_fma_f32 v34, v72, v36, -v49 :: v_dual_add_f32 v49, v43, v45
	s_wait_dscnt 0x1
	v_dual_mul_f32 v37, v59, v31 :: v_dual_mul_f32 v51, v58, v31
	s_delay_alu instid0(VALU_DEP_3) | instskip(NEXT) | instid1(VALU_DEP_3)
	v_dual_fmac_f32 v42, v73, v36 :: v_dual_add_f32 v50, v44, v35
	v_add_f32_e32 v28, v28, v34
	s_delay_alu instid0(VALU_DEP_3) | instskip(NEXT) | instid1(VALU_DEP_3)
	v_dual_fma_f32 v43, v58, v30, -v37 :: v_dual_mul_f32 v44, v59, v33
	v_add_f32_e32 v26, v26, v42
	ds_load_2addr_b64 v[34:37], v27 offset0:160 offset1:176
	v_dual_fmac_f32 v51, v59, v30 :: v_dual_add_f32 v16, v16, v43
	v_dual_fma_f32 v52, v58, v32, -v44 :: v_dual_mul_f32 v53, v58, v33
	ds_load_b128 v[42:45], v29 offset:1072
	v_add_f32_e32 v47, v47, v51
	s_wait_dscnt 0x2
	v_dual_mul_f32 v54, v39, v31 :: v_dual_mul_f32 v31, v38, v31
	v_fmac_f32_e32 v53, v59, v32
	v_dual_add_f32 v48, v48, v52 :: v_dual_mul_f32 v52, v39, v33
	s_delay_alu instid0(VALU_DEP_3) | instskip(NEXT) | instid1(VALU_DEP_3)
	v_dual_fma_f32 v51, v38, v30, -v54 :: v_dual_fmac_f32 v31, v39, v30
	v_add_f32_e32 v46, v46, v53
	s_delay_alu instid0(VALU_DEP_3) | instskip(NEXT) | instid1(VALU_DEP_3)
	v_dual_mul_f32 v53, v38, v33 :: v_dual_fma_f32 v30, v38, v32, -v52
	v_add_f32_e32 v49, v49, v51
	s_delay_alu instid0(VALU_DEP_2)
	v_dual_add_f32 v38, v50, v31 :: v_dual_fmac_f32 v53, v39, v32
	s_wait_dscnt 0x1
	v_dual_mul_f32 v50, v61, v35 :: v_dual_mul_f32 v39, v60, v35
	v_dual_add_f32 v28, v28, v30 :: v_dual_mul_f32 v51, v61, v37
	ds_load_2addr_b64 v[30:33], v27 offset0:192 offset1:208
	v_dual_fma_f32 v50, v60, v34, -v50 :: v_dual_fmac_f32 v39, v61, v34
	v_add_f32_e32 v26, v26, v53
	v_mul_f32_e32 v52, v60, v37
	s_delay_alu instid0(VALU_DEP_3) | instskip(NEXT) | instid1(VALU_DEP_4)
	v_add_f32_e32 v16, v16, v50
	v_dual_fma_f32 v50, v60, v36, -v51 :: v_dual_add_f32 v39, v47, v39
	s_delay_alu instid0(VALU_DEP_3) | instskip(SKIP_1) | instid1(VALU_DEP_3)
	v_fmac_f32_e32 v52, v61, v36
	v_dual_mul_f32 v47, v41, v35 :: v_dual_mul_f32 v35, v40, v35
	v_dual_add_f32 v50, v48, v50 :: v_dual_mul_f32 v48, v41, v37
	s_delay_alu instid0(VALU_DEP_2) | instskip(NEXT) | instid1(VALU_DEP_3)
	v_dual_add_f32 v51, v46, v52 :: v_dual_fma_f32 v47, v40, v34, -v47
	v_dual_fmac_f32 v35, v41, v34 :: v_dual_mul_f32 v34, v40, v37
	s_delay_alu instid0(VALU_DEP_2) | instskip(SKIP_1) | instid1(VALU_DEP_2)
	v_dual_fma_f32 v37, v40, v36, -v48 :: v_dual_add_f32 v40, v49, v47
	s_wait_dscnt 0x0
	v_dual_mul_f32 v46, v63, v31 :: v_dual_fmac_f32 v34, v41, v36
	s_delay_alu instid0(VALU_DEP_2) | instskip(NEXT) | instid1(VALU_DEP_2)
	v_dual_add_f32 v35, v38, v35 :: v_dual_add_f32 v28, v28, v37
	v_dual_mul_f32 v36, v62, v31 :: v_dual_fma_f32 v37, v62, v30, -v46
	ds_load_2addr_b64 v[46:49], v27 offset0:224 offset1:240
	v_dual_add_f32 v26, v26, v34 :: v_dual_mul_f32 v34, v63, v33
	v_dual_fmac_f32 v36, v63, v30 :: v_dual_add_f32 v16, v16, v37
	v_dual_mul_f32 v37, v62, v33 :: v_dual_mul_f32 v38, v43, v31
	s_delay_alu instid0(VALU_DEP_3) | instskip(NEXT) | instid1(VALU_DEP_3)
	v_fma_f32 v34, v62, v32, -v34
	v_dual_mul_f32 v31, v42, v31 :: v_dual_add_f32 v36, v39, v36
	s_delay_alu instid0(VALU_DEP_3) | instskip(NEXT) | instid1(VALU_DEP_3)
	v_dual_fmac_f32 v37, v63, v32 :: v_dual_fma_f32 v38, v42, v30, -v38
	v_add_f32_e32 v34, v50, v34
	s_delay_alu instid0(VALU_DEP_3) | instskip(SKIP_1) | instid1(VALU_DEP_4)
	v_dual_fmac_f32 v31, v43, v30 :: v_dual_mul_f32 v30, v43, v33
	v_mul_f32_e32 v33, v42, v33
	v_dual_add_f32 v37, v51, v37 :: v_dual_add_f32 v39, v40, v38
	s_delay_alu instid0(VALU_DEP_3) | instskip(SKIP_3) | instid1(VALU_DEP_3)
	v_dual_add_f32 v31, v35, v31 :: v_dual_fma_f32 v30, v42, v32, -v30
	s_wait_dscnt 0x0
	v_dual_mul_f32 v35, v65, v47 :: v_dual_mul_f32 v40, v64, v47
	v_dual_fmac_f32 v33, v43, v32 :: v_dual_mul_f32 v32, v65, v49
	v_add_f32_e32 v28, v28, v30
	s_delay_alu instid0(VALU_DEP_3) | instskip(NEXT) | instid1(VALU_DEP_3)
	v_dual_fma_f32 v30, v64, v46, -v35 :: v_dual_fmac_f32 v40, v65, v46
	v_dual_mul_f32 v35, v64, v49 :: v_dual_fma_f32 v32, v64, v48, -v32
	s_delay_alu instid0(VALU_DEP_2) | instskip(NEXT) | instid1(VALU_DEP_3)
	v_dual_add_f32 v26, v26, v33 :: v_dual_add_f32 v38, v16, v30
	v_dual_add_f32 v40, v36, v40 :: v_dual_mul_f32 v16, v45, v47
	s_delay_alu instid0(VALU_DEP_3) | instskip(NEXT) | instid1(VALU_DEP_4)
	v_fmac_f32_e32 v35, v65, v48
	v_dual_add_f32 v34, v34, v32 :: v_dual_mul_f32 v30, v45, v49
	v_dual_mul_f32 v32, v44, v47 :: v_dual_mul_f32 v33, v44, v49
	s_delay_alu instid0(VALU_DEP_3) | instskip(NEXT) | instid1(VALU_DEP_2)
	v_dual_add_f32 v36, v37, v35 :: v_dual_fma_f32 v16, v44, v46, -v16
	v_dual_fma_f32 v35, v44, v48, -v30 :: v_dual_fmac_f32 v32, v45, v46
	s_delay_alu instid0(VALU_DEP_3) | instskip(NEXT) | instid1(VALU_DEP_2)
	v_fmac_f32_e32 v33, v45, v48
	v_dual_add_f32 v30, v39, v16 :: v_dual_add_f32 v28, v28, v35
	s_delay_alu instid0(VALU_DEP_2)
	v_dual_add_f32 v32, v31, v32 :: v_dual_add_f32 v26, v26, v33
	s_barrier_signal -1
	s_barrier_wait -1
	s_cbranch_vccz .LBB537_18
.LBB537_9:                              ;   Parent Loop BB537_6 Depth=1
                                        ; =>  This Inner Loop Header: Depth=2
	s_mov_b32 s28, 0
	s_mov_b32 s39, s31
	s_and_saveexec_b32 s29, s0
; %bb.10:                               ;   in Loop: Header=BB537_9 Depth=2
	v_add_nc_u32_e32 v16, s22, v2
	s_and_not1_b32 s39, s31, exec_lo
	s_mov_b32 s28, exec_lo
	s_delay_alu instid0(VALU_DEP_1) | instskip(SKIP_2) | instid1(SALU_CYCLE_1)
	v_cmp_le_u64_e32 vcc_lo, s[16:17], v[16:17]
	v_mov_b64_e32 v[18:19], v[16:17]
	s_and_b32 s40, vcc_lo, exec_lo
	s_or_b32 s39, s39, s40
; %bb.11:                               ;   in Loop: Header=BB537_9 Depth=2
	s_or_b32 exec_lo, exec_lo, s29
	s_and_saveexec_b32 s29, s39
	s_delay_alu instid0(SALU_CYCLE_1)
	s_xor_b32 s29, exec_lo, s29
; %bb.12:                               ;   in Loop: Header=BB537_9 Depth=2
	s_and_not1_b32 s28, s28, exec_lo
	ds_store_b32 v1, v17
; %bb.13:                               ;   in Loop: Header=BB537_9 Depth=2
	s_or_b32 exec_lo, exec_lo, s29
	v_dual_mov_b32 v42, 0 :: v_dual_mov_b32 v31, 0
	s_and_saveexec_b32 s29, s28
	s_cbranch_execz .LBB537_15
; %bb.14:                               ;   in Loop: Header=BB537_9 Depth=2
	v_lshl_add_u64 v[44:45], v[18:19], 3, v[22:23]
	flat_load_b64 v[44:45], v[44:45]
	s_wait_loadcnt_dscnt 0x0
	v_xor_b32_e32 v31, 0x80000000, v45
	ds_store_b32 v1, v44
.LBB537_15:                             ;   in Loop: Header=BB537_9 Depth=2
	s_wait_xcnt 0x0
	s_or_b32 exec_lo, exec_lo, s29
	v_dual_mov_b32 v43, 0 :: v_dual_add_nc_u32 v16, s22, v0
	ds_store_b32 v1, v31 offset:4
	v_cmp_gt_u64_e32 vcc_lo, s[16:17], v[16:17]
	s_and_b32 s29, vcc_lo, s1
	s_delay_alu instid0(SALU_CYCLE_1)
	s_and_saveexec_b32 s28, s29
	s_cbranch_execz .LBB537_8
; %bb.16:                               ;   in Loop: Header=BB537_9 Depth=2
	v_lshl_add_u64 v[42:43], v[16:17], 3, v[24:25]
	flat_load_b64 v[42:43], v[42:43]
	s_branch .LBB537_8
.LBB537_17:                             ;   in Loop: Header=BB537_6 Depth=1
	v_dual_mov_b32 v38, v17 :: v_dual_mov_b32 v40, v17
	v_dual_mov_b32 v34, v17 :: v_dual_mov_b32 v36, v17
	;; [unrolled: 1-line block ×4, first 2 shown]
.LBB537_18:                             ;   in Loop: Header=BB537_6 Depth=1
	s_wait_loadcnt 0x0
	v_add_nc_u64_e32 v[20:21], s[12:13], v[20:21]
	s_delay_alu instid0(VALU_DEP_1)
	v_lshl_add_u64 v[22:23], v[10:11], 3, v[20:21]
	s_wait_xcnt 0x0
	s_and_saveexec_b32 s22, s34
	s_cbranch_execz .LBB537_23
; %bb.19:                               ;   in Loop: Header=BB537_6 Depth=1
	v_mov_b64_e32 v[24:25], s[4:5]
	v_mov_b64_e32 v[42:43], s[18:19]
	s_and_b32 vcc_lo, exec_lo, s33
	s_mov_b32 s23, -1
	s_delay_alu instid0(VALU_DEP_2) | instskip(NEXT) | instid1(VALU_DEP_1)
	v_pk_mul_f32 v[24:25], v[40:41], v[24:25] op_sel_hi:[0,1]
	v_pk_fma_f32 v[40:41], v[38:39], v[42:43], v[24:25] op_sel_hi:[0,1,1]
	v_pk_fma_f32 v[24:25], v[38:39], v[42:43], v[24:25] neg_lo:[0,0,1] neg_hi:[0,0,1]
	v_lshl_add_u64 v[38:39], v[8:9], 3, v[22:23]
	s_delay_alu instid0(VALU_DEP_3)
	v_mov_b32_e32 v25, v41
	s_cbranch_vccz .LBB537_21
; %bb.20:                               ;   in Loop: Header=BB537_6 Depth=1
	flat_load_b64 v[40:41], v[38:39]
	v_mov_b64_e32 v[42:43], s[24:25]
	v_mov_b64_e32 v[44:45], s[2:3]
	s_mov_b32 s23, 0
	s_wait_loadcnt_dscnt 0x0
	s_delay_alu instid0(VALU_DEP_2) | instskip(NEXT) | instid1(VALU_DEP_1)
	v_pk_mul_f32 v[42:43], v[40:41], v[42:43]
	v_pk_fma_f32 v[46:47], v[40:41], v[44:45], v[42:43] op_sel:[0,0,1] op_sel_hi:[1,1,0]
	v_pk_fma_f32 v[40:41], v[40:41], v[44:45], v[42:43] op_sel:[0,0,1] op_sel_hi:[1,1,0] neg_lo:[0,0,1] neg_hi:[0,0,1]
	s_delay_alu instid0(VALU_DEP_2) | instskip(NEXT) | instid1(VALU_DEP_1)
	v_mov_b32_e32 v41, v47
	v_pk_add_f32 v[40:41], v[24:25], v[40:41]
	flat_store_b64 v[38:39], v[40:41]
.LBB537_21:                             ;   in Loop: Header=BB537_6 Depth=1
	s_and_not1_b32 vcc_lo, exec_lo, s23
	s_cbranch_vccnz .LBB537_23
; %bb.22:                               ;   in Loop: Header=BB537_6 Depth=1
	flat_store_b64 v[38:39], v[24:25]
.LBB537_23:                             ;   in Loop: Header=BB537_6 Depth=1
	s_wait_xcnt 0x0
	s_or_b32 exec_lo, exec_lo, s22
	s_and_saveexec_b32 s22, s35
	s_cbranch_execz .LBB537_28
; %bb.24:                               ;   in Loop: Header=BB537_6 Depth=1
	v_mov_b64_e32 v[24:25], s[4:5]
	v_mov_b64_e32 v[38:39], s[18:19]
	v_lshl_add_u64 v[22:23], v[14:15], 3, v[22:23]
	s_and_not1_b32 vcc_lo, exec_lo, s33
	s_mov_b32 s23, -1
	s_delay_alu instid0(VALU_DEP_3) | instskip(NEXT) | instid1(VALU_DEP_1)
	v_pk_mul_f32 v[24:25], v[36:37], v[24:25] op_sel_hi:[0,1]
	v_pk_fma_f32 v[36:37], v[34:35], v[38:39], v[24:25] op_sel_hi:[0,1,1]
	v_pk_fma_f32 v[24:25], v[34:35], v[38:39], v[24:25] neg_lo:[0,0,1] neg_hi:[0,0,1]
	s_delay_alu instid0(VALU_DEP_2)
	v_mov_b32_e32 v25, v37
	s_cbranch_vccnz .LBB537_26
; %bb.25:                               ;   in Loop: Header=BB537_6 Depth=1
	flat_load_b64 v[34:35], v[22:23]
	v_mov_b64_e32 v[36:37], s[24:25]
	v_mov_b64_e32 v[38:39], s[2:3]
	s_mov_b32 s23, 0
	s_wait_loadcnt_dscnt 0x0
	s_delay_alu instid0(VALU_DEP_2) | instskip(NEXT) | instid1(VALU_DEP_1)
	v_pk_mul_f32 v[36:37], v[34:35], v[36:37]
	v_pk_fma_f32 v[40:41], v[34:35], v[38:39], v[36:37] op_sel:[0,0,1] op_sel_hi:[1,1,0]
	v_pk_fma_f32 v[34:35], v[34:35], v[38:39], v[36:37] op_sel:[0,0,1] op_sel_hi:[1,1,0] neg_lo:[0,0,1] neg_hi:[0,0,1]
	s_delay_alu instid0(VALU_DEP_2) | instskip(NEXT) | instid1(VALU_DEP_1)
	v_mov_b32_e32 v35, v41
	v_pk_add_f32 v[34:35], v[24:25], v[34:35]
	flat_store_b64 v[22:23], v[34:35]
.LBB537_26:                             ;   in Loop: Header=BB537_6 Depth=1
	s_and_not1_b32 vcc_lo, exec_lo, s23
	s_cbranch_vccnz .LBB537_28
; %bb.27:                               ;   in Loop: Header=BB537_6 Depth=1
	flat_store_b64 v[22:23], v[24:25]
.LBB537_28:                             ;   in Loop: Header=BB537_6 Depth=1
	s_wait_xcnt 0x0
	s_or_b32 exec_lo, exec_lo, s22
	v_lshl_add_u64 v[20:21], v[12:13], 3, v[20:21]
	s_and_saveexec_b32 s22, s36
	s_cbranch_execz .LBB537_33
; %bb.29:                               ;   in Loop: Header=BB537_6 Depth=1
	v_mov_b64_e32 v[22:23], s[4:5]
	v_mov_b64_e32 v[24:25], s[18:19]
	s_and_not1_b32 vcc_lo, exec_lo, s33
	s_mov_b32 s23, -1
	s_delay_alu instid0(VALU_DEP_2) | instskip(NEXT) | instid1(VALU_DEP_1)
	v_pk_mul_f32 v[22:23], v[32:33], v[22:23] op_sel_hi:[0,1]
	v_pk_fma_f32 v[32:33], v[30:31], v[24:25], v[22:23] op_sel_hi:[0,1,1]
	v_pk_fma_f32 v[22:23], v[30:31], v[24:25], v[22:23] neg_lo:[0,0,1] neg_hi:[0,0,1]
	v_lshl_add_u64 v[24:25], v[8:9], 3, v[20:21]
	s_delay_alu instid0(VALU_DEP_3)
	v_mov_b32_e32 v23, v33
	s_cbranch_vccnz .LBB537_31
; %bb.30:                               ;   in Loop: Header=BB537_6 Depth=1
	flat_load_b64 v[30:31], v[24:25]
	v_mov_b64_e32 v[32:33], s[24:25]
	v_mov_b64_e32 v[34:35], s[2:3]
	s_mov_b32 s23, 0
	s_wait_loadcnt_dscnt 0x0
	s_delay_alu instid0(VALU_DEP_2) | instskip(NEXT) | instid1(VALU_DEP_1)
	v_pk_mul_f32 v[32:33], v[30:31], v[32:33]
	v_pk_fma_f32 v[36:37], v[30:31], v[34:35], v[32:33] op_sel:[0,0,1] op_sel_hi:[1,1,0]
	v_pk_fma_f32 v[30:31], v[30:31], v[34:35], v[32:33] op_sel:[0,0,1] op_sel_hi:[1,1,0] neg_lo:[0,0,1] neg_hi:[0,0,1]
	s_delay_alu instid0(VALU_DEP_2) | instskip(NEXT) | instid1(VALU_DEP_1)
	v_mov_b32_e32 v31, v37
	v_pk_add_f32 v[30:31], v[22:23], v[30:31]
	flat_store_b64 v[24:25], v[30:31]
.LBB537_31:                             ;   in Loop: Header=BB537_6 Depth=1
	s_and_not1_b32 vcc_lo, exec_lo, s23
	s_cbranch_vccnz .LBB537_33
; %bb.32:                               ;   in Loop: Header=BB537_6 Depth=1
	flat_store_b64 v[24:25], v[22:23]
.LBB537_33:                             ;   in Loop: Header=BB537_6 Depth=1
	s_wait_xcnt 0x0
	s_or_b32 exec_lo, exec_lo, s22
	s_and_saveexec_b32 s22, s37
	s_cbranch_execz .LBB537_5
; %bb.34:                               ;   in Loop: Header=BB537_6 Depth=1
	v_mov_b64_e32 v[22:23], s[4:5]
	v_mov_b64_e32 v[24:25], s[18:19]
	v_lshl_add_u64 v[20:21], v[14:15], 3, v[20:21]
	s_and_not1_b32 vcc_lo, exec_lo, s33
	s_mov_b32 s23, -1
	s_delay_alu instid0(VALU_DEP_3) | instskip(NEXT) | instid1(VALU_DEP_1)
	v_pk_mul_f32 v[22:23], v[26:27], v[22:23] op_sel_hi:[0,1]
	v_pk_fma_f32 v[30:31], v[28:29], v[24:25], v[22:23] op_sel_hi:[0,1,1]
	v_pk_fma_f32 v[22:23], v[28:29], v[24:25], v[22:23] neg_lo:[0,0,1] neg_hi:[0,0,1]
	s_delay_alu instid0(VALU_DEP_2)
	v_mov_b32_e32 v23, v31
	s_cbranch_vccnz .LBB537_36
; %bb.35:                               ;   in Loop: Header=BB537_6 Depth=1
	flat_load_b64 v[24:25], v[20:21]
	v_mov_b64_e32 v[30:31], s[24:25]
	v_mov_b64_e32 v[32:33], s[2:3]
	s_mov_b32 s23, 0
	s_wait_loadcnt_dscnt 0x0
	s_delay_alu instid0(VALU_DEP_2) | instskip(NEXT) | instid1(VALU_DEP_1)
	v_pk_mul_f32 v[30:31], v[24:25], v[30:31]
	v_pk_fma_f32 v[34:35], v[24:25], v[32:33], v[30:31] op_sel:[0,0,1] op_sel_hi:[1,1,0]
	v_pk_fma_f32 v[24:25], v[24:25], v[32:33], v[30:31] op_sel:[0,0,1] op_sel_hi:[1,1,0] neg_lo:[0,0,1] neg_hi:[0,0,1]
	s_delay_alu instid0(VALU_DEP_2) | instskip(NEXT) | instid1(VALU_DEP_1)
	v_mov_b32_e32 v25, v35
	v_pk_add_f32 v[24:25], v[22:23], v[24:25]
	flat_store_b64 v[20:21], v[24:25]
.LBB537_36:                             ;   in Loop: Header=BB537_6 Depth=1
	s_and_not1_b32 vcc_lo, exec_lo, s23
	s_cbranch_vccnz .LBB537_5
; %bb.37:                               ;   in Loop: Header=BB537_6 Depth=1
	flat_store_b64 v[20:21], v[22:23]
	s_branch .LBB537_5
.LBB537_38:
	s_sendmsg sendmsg(MSG_DEALLOC_VGPRS)
	s_endpgm
	.section	.rodata,"a",@progbits
	.p2align	6, 0x0
	.amdhsa_kernel _ZL29rocblas_internal_gemmt_kernelIlLi16ELi32ELi8ELc67ELc78ELc76ELb1ELb0E19rocblas_complex_numIfES1_PKPKS1_PKPS1_EviT_T9_T10_S9_lSB_S9_lSA_T11_S9_li
		.amdhsa_group_segment_fixed_size 4096
		.amdhsa_private_segment_fixed_size 0
		.amdhsa_kernarg_size 108
		.amdhsa_user_sgpr_count 2
		.amdhsa_user_sgpr_dispatch_ptr 0
		.amdhsa_user_sgpr_queue_ptr 0
		.amdhsa_user_sgpr_kernarg_segment_ptr 1
		.amdhsa_user_sgpr_dispatch_id 0
		.amdhsa_user_sgpr_kernarg_preload_length 0
		.amdhsa_user_sgpr_kernarg_preload_offset 0
		.amdhsa_user_sgpr_private_segment_size 0
		.amdhsa_wavefront_size32 1
		.amdhsa_uses_dynamic_stack 0
		.amdhsa_enable_private_segment 0
		.amdhsa_system_sgpr_workgroup_id_x 1
		.amdhsa_system_sgpr_workgroup_id_y 1
		.amdhsa_system_sgpr_workgroup_id_z 1
		.amdhsa_system_sgpr_workgroup_info 0
		.amdhsa_system_vgpr_workitem_id 1
		.amdhsa_next_free_vgpr 74
		.amdhsa_next_free_sgpr 41
		.amdhsa_named_barrier_count 0
		.amdhsa_reserve_vcc 1
		.amdhsa_float_round_mode_32 0
		.amdhsa_float_round_mode_16_64 0
		.amdhsa_float_denorm_mode_32 3
		.amdhsa_float_denorm_mode_16_64 3
		.amdhsa_fp16_overflow 0
		.amdhsa_memory_ordered 1
		.amdhsa_forward_progress 1
		.amdhsa_inst_pref_size 26
		.amdhsa_round_robin_scheduling 0
		.amdhsa_exception_fp_ieee_invalid_op 0
		.amdhsa_exception_fp_denorm_src 0
		.amdhsa_exception_fp_ieee_div_zero 0
		.amdhsa_exception_fp_ieee_overflow 0
		.amdhsa_exception_fp_ieee_underflow 0
		.amdhsa_exception_fp_ieee_inexact 0
		.amdhsa_exception_int_div_zero 0
	.end_amdhsa_kernel
	.section	.text._ZL29rocblas_internal_gemmt_kernelIlLi16ELi32ELi8ELc67ELc78ELc76ELb1ELb0E19rocblas_complex_numIfES1_PKPKS1_PKPS1_EviT_T9_T10_S9_lSB_S9_lSA_T11_S9_li,"axG",@progbits,_ZL29rocblas_internal_gemmt_kernelIlLi16ELi32ELi8ELc67ELc78ELc76ELb1ELb0E19rocblas_complex_numIfES1_PKPKS1_PKPS1_EviT_T9_T10_S9_lSB_S9_lSA_T11_S9_li,comdat
.Lfunc_end537:
	.size	_ZL29rocblas_internal_gemmt_kernelIlLi16ELi32ELi8ELc67ELc78ELc76ELb1ELb0E19rocblas_complex_numIfES1_PKPKS1_PKPS1_EviT_T9_T10_S9_lSB_S9_lSA_T11_S9_li, .Lfunc_end537-_ZL29rocblas_internal_gemmt_kernelIlLi16ELi32ELi8ELc67ELc78ELc76ELb1ELb0E19rocblas_complex_numIfES1_PKPKS1_PKPS1_EviT_T9_T10_S9_lSB_S9_lSA_T11_S9_li
                                        ; -- End function
	.set _ZL29rocblas_internal_gemmt_kernelIlLi16ELi32ELi8ELc67ELc78ELc76ELb1ELb0E19rocblas_complex_numIfES1_PKPKS1_PKPS1_EviT_T9_T10_S9_lSB_S9_lSA_T11_S9_li.num_vgpr, 74
	.set _ZL29rocblas_internal_gemmt_kernelIlLi16ELi32ELi8ELc67ELc78ELc76ELb1ELb0E19rocblas_complex_numIfES1_PKPKS1_PKPS1_EviT_T9_T10_S9_lSB_S9_lSA_T11_S9_li.num_agpr, 0
	.set _ZL29rocblas_internal_gemmt_kernelIlLi16ELi32ELi8ELc67ELc78ELc76ELb1ELb0E19rocblas_complex_numIfES1_PKPKS1_PKPS1_EviT_T9_T10_S9_lSB_S9_lSA_T11_S9_li.numbered_sgpr, 41
	.set _ZL29rocblas_internal_gemmt_kernelIlLi16ELi32ELi8ELc67ELc78ELc76ELb1ELb0E19rocblas_complex_numIfES1_PKPKS1_PKPS1_EviT_T9_T10_S9_lSB_S9_lSA_T11_S9_li.num_named_barrier, 0
	.set _ZL29rocblas_internal_gemmt_kernelIlLi16ELi32ELi8ELc67ELc78ELc76ELb1ELb0E19rocblas_complex_numIfES1_PKPKS1_PKPS1_EviT_T9_T10_S9_lSB_S9_lSA_T11_S9_li.private_seg_size, 0
	.set _ZL29rocblas_internal_gemmt_kernelIlLi16ELi32ELi8ELc67ELc78ELc76ELb1ELb0E19rocblas_complex_numIfES1_PKPKS1_PKPS1_EviT_T9_T10_S9_lSB_S9_lSA_T11_S9_li.uses_vcc, 1
	.set _ZL29rocblas_internal_gemmt_kernelIlLi16ELi32ELi8ELc67ELc78ELc76ELb1ELb0E19rocblas_complex_numIfES1_PKPKS1_PKPS1_EviT_T9_T10_S9_lSB_S9_lSA_T11_S9_li.uses_flat_scratch, 0
	.set _ZL29rocblas_internal_gemmt_kernelIlLi16ELi32ELi8ELc67ELc78ELc76ELb1ELb0E19rocblas_complex_numIfES1_PKPKS1_PKPS1_EviT_T9_T10_S9_lSB_S9_lSA_T11_S9_li.has_dyn_sized_stack, 0
	.set _ZL29rocblas_internal_gemmt_kernelIlLi16ELi32ELi8ELc67ELc78ELc76ELb1ELb0E19rocblas_complex_numIfES1_PKPKS1_PKPS1_EviT_T9_T10_S9_lSB_S9_lSA_T11_S9_li.has_recursion, 0
	.set _ZL29rocblas_internal_gemmt_kernelIlLi16ELi32ELi8ELc67ELc78ELc76ELb1ELb0E19rocblas_complex_numIfES1_PKPKS1_PKPS1_EviT_T9_T10_S9_lSB_S9_lSA_T11_S9_li.has_indirect_call, 0
	.section	.AMDGPU.csdata,"",@progbits
; Kernel info:
; codeLenInByte = 3288
; TotalNumSgprs: 43
; NumVgprs: 74
; ScratchSize: 0
; MemoryBound: 0
; FloatMode: 240
; IeeeMode: 1
; LDSByteSize: 4096 bytes/workgroup (compile time only)
; SGPRBlocks: 0
; VGPRBlocks: 4
; NumSGPRsForWavesPerEU: 43
; NumVGPRsForWavesPerEU: 74
; NamedBarCnt: 0
; Occupancy: 12
; WaveLimiterHint : 1
; COMPUTE_PGM_RSRC2:SCRATCH_EN: 0
; COMPUTE_PGM_RSRC2:USER_SGPR: 2
; COMPUTE_PGM_RSRC2:TRAP_HANDLER: 0
; COMPUTE_PGM_RSRC2:TGID_X_EN: 1
; COMPUTE_PGM_RSRC2:TGID_Y_EN: 1
; COMPUTE_PGM_RSRC2:TGID_Z_EN: 1
; COMPUTE_PGM_RSRC2:TIDIG_COMP_CNT: 1
	.section	.text._ZL29rocblas_internal_gemmt_kernelIlLi16ELi32ELi8ELc67ELc84ELc76ELb1ELb0E19rocblas_complex_numIfES1_PKPKS1_PKPS1_EviT_T9_T10_S9_lSB_S9_lSA_T11_S9_li,"axG",@progbits,_ZL29rocblas_internal_gemmt_kernelIlLi16ELi32ELi8ELc67ELc84ELc76ELb1ELb0E19rocblas_complex_numIfES1_PKPKS1_PKPS1_EviT_T9_T10_S9_lSB_S9_lSA_T11_S9_li,comdat
	.globl	_ZL29rocblas_internal_gemmt_kernelIlLi16ELi32ELi8ELc67ELc84ELc76ELb1ELb0E19rocblas_complex_numIfES1_PKPKS1_PKPS1_EviT_T9_T10_S9_lSB_S9_lSA_T11_S9_li ; -- Begin function _ZL29rocblas_internal_gemmt_kernelIlLi16ELi32ELi8ELc67ELc84ELc76ELb1ELb0E19rocblas_complex_numIfES1_PKPKS1_PKPS1_EviT_T9_T10_S9_lSB_S9_lSA_T11_S9_li
	.p2align	8
	.type	_ZL29rocblas_internal_gemmt_kernelIlLi16ELi32ELi8ELc67ELc84ELc76ELb1ELb0E19rocblas_complex_numIfES1_PKPKS1_PKPS1_EviT_T9_T10_S9_lSB_S9_lSA_T11_S9_li,@function
_ZL29rocblas_internal_gemmt_kernelIlLi16ELi32ELi8ELc67ELc84ELc76ELb1ELb0E19rocblas_complex_numIfES1_PKPKS1_PKPS1_EviT_T9_T10_S9_lSB_S9_lSA_T11_S9_li: ; @_ZL29rocblas_internal_gemmt_kernelIlLi16ELi32ELi8ELc67ELc84ELc76ELb1ELb0E19rocblas_complex_numIfES1_PKPKS1_PKPS1_EviT_T9_T10_S9_lSB_S9_lSA_T11_S9_li
; %bb.0:
	s_clause 0x1
	s_load_b64 s[6:7], s[0:1], 0x48
	s_load_b128 s[16:19], s[0:1], 0x8
	s_wait_kmcnt 0x0
	s_cmp_neq_f32 s6, 1.0
	s_cselect_b32 s3, -1, 0
	s_and_b32 s4, s7, 0x7fffffff
	s_delay_alu instid0(SALU_CYCLE_1) | instskip(SKIP_3) | instid1(SALU_CYCLE_1)
	s_cmp_eq_u32 s4, 0
	s_cselect_b32 s2, -1, 0
	s_cmp_lg_u32 s4, 0
	s_cselect_b32 s4, -1, 0
	s_or_b32 s3, s3, s4
	s_delay_alu instid0(SALU_CYCLE_1)
	s_and_b32 vcc_lo, exec_lo, s3
	s_cbranch_vccnz .LBB538_2
; %bb.1:
	s_cmp_lg_u64 s[16:17], 0
	s_cselect_b32 s3, -1, 0
	s_cmp_neq_f32 s18, 0
	s_cselect_b32 s4, -1, 0
	s_cmp_neq_f32 s19, 0
	s_cselect_b32 s5, -1, 0
	s_delay_alu instid0(SALU_CYCLE_1) | instskip(NEXT) | instid1(SALU_CYCLE_1)
	s_or_b32 s4, s4, s5
	s_and_b32 s3, s3, s4
.LBB538_2:
	s_delay_alu instid0(SALU_CYCLE_1)
	s_and_not1_b32 vcc_lo, exec_lo, s3
	s_cbranch_vccnz .LBB538_38
; %bb.3:
	s_load_b32 s33, s[0:1], 0x68
	s_bfe_u32 s3, ttmp6, 0x40014
	s_lshr_b32 s4, ttmp7, 16
	s_add_co_i32 s3, s3, 1
	s_bfe_u32 s8, ttmp6, 0x40008
	s_mul_i32 s5, s4, s3
	s_getreg_b32 s3, hwreg(HW_REG_IB_STS2, 6, 4)
	s_add_co_i32 s8, s8, s5
	s_cmp_eq_u32 s3, 0
	s_mov_b32 s29, 0
	s_cselect_b32 s28, s4, s8
	s_wait_kmcnt 0x0
	s_cmp_ge_u32 s28, s33
	s_cbranch_scc1 .LBB538_38
; %bb.4:
	v_and_b32_e32 v9, 0x3ff, v0
	v_bfe_u32 v15, v0, 10, 10
	s_bfe_u32 s8, ttmp6, 0x4000c
	s_bfe_u32 s9, ttmp6, 0x40010
	s_and_b32 s20, ttmp7, 0xffff
	s_add_co_i32 s8, s8, 1
	s_add_co_i32 s9, s9, 1
	s_and_b32 s5, ttmp6, 15
	v_lshl_add_u32 v1, v15, 4, v9
	s_mul_i32 s8, ttmp9, s8
	s_mul_i32 s9, s20, s9
	s_bfe_u32 s10, ttmp6, 0x40004
	s_add_co_i32 s5, s5, s8
	s_add_co_i32 s21, s10, s9
	s_cmp_eq_u32 s3, 0
	v_dual_lshrrev_b32 v2, 5, v1 :: v_dual_bitop2_b32 v0, 7, v0 bitop3:0x40
	s_clause 0x1
	s_load_b32 s4, s[0:1], 0x0
	s_load_b256 s[8:15], s[0:1], 0x18
	s_cselect_b32 s3, ttmp9, s5
	s_cselect_b32 s5, s20, s21
	v_dual_lshrrev_b32 v3, 3, v1 :: v_dual_bitop2_b32 v1, 31, v1 bitop3:0x40
	s_clause 0x1
	s_load_b128 s[20:23], s[0:1], 0x38
	s_load_b128 s[24:27], s[0:1], 0x50
	s_lshl_b32 s3, s3, 5
	s_lshl_b32 s5, s5, 5
	s_cmp_neq_f32 s18, 0
	v_dual_add_nc_u32 v4, s5, v3 :: v_dual_bitop2_b32 v6, s3, v1 bitop3:0x54
	v_dual_lshlrev_b32 v1, 3, v1 :: v_dual_add_nc_u32 v16, s5, v15
	s_cselect_b32 s34, -1, 0
	s_cmp_neq_f32 s19, 0
	s_delay_alu instid0(VALU_DEP_2) | instskip(NEXT) | instid1(VALU_DEP_2)
	v_dual_lshlrev_b32 v5, 3, v0 :: v_dual_ashrrev_i32 v7, 31, v6
	v_dual_add_nc_u32 v18, 16, v16 :: v_dual_ashrrev_i32 v17, 31, v16
	s_load_b64 s[30:31], s[0:1], 0x60
	s_wait_xcnt 0x0
	s_cselect_b32 s0, -1, 0
	s_delay_alu instid0(VALU_DEP_1)
	v_dual_add_nc_u32 v8, s3, v9 :: v_dual_ashrrev_i32 v19, 31, v18
	s_or_b32 s40, s34, s0
	s_wait_kmcnt 0x0
	v_cmp_gt_i32_e64 s0, s4, v6
	v_cmp_le_i32_e64 s34, s4, v6
	v_mul_u64_e32 v[6:7], s[10:11], v[6:7]
	v_mul_u64_e32 v[10:11], s[26:27], v[16:17]
	;; [unrolled: 1-line block ×3, first 2 shown]
	s_cmp_neq_f32 s6, 0
	v_add_nc_u32_e32 v14, 16, v8
	v_cmp_le_i32_e32 vcc_lo, v16, v8
	v_lshl_or_b32 v3, v3, 6, v5
	s_cselect_b32 s3, -1, 0
	s_xor_b32 s5, s2, -1
	v_cmp_gt_i32_e64 s2, s4, v8
	v_cmp_gt_i64_e64 s41, s[16:17], 0
	v_cmp_gt_i32_e64 s1, s4, v4
	v_dual_ashrrev_i32 v5, 31, v4 :: v_dual_lshlrev_b32 v27, 3, v9
	s_or_b32 s35, s3, s5
	s_and_b32 s36, vcc_lo, s2
	v_cmp_le_i32_e32 vcc_lo, v18, v8
	v_ashrrev_i32_e32 v9, 31, v8
	v_cmp_le_i32_e64 s3, v16, v14
	v_cmp_gt_i32_e64 s4, s4, v14
	v_cmp_le_i32_e64 s5, v18, v14
	v_lshl_or_b32 v1, v2, 8, v1
	v_add_nc_u32_e32 v3, 0x800, v3
	v_lshl_add_u32 v29, v15, 6, 0x800
	v_dual_ashrrev_i32 v15, 31, v14 :: v_dual_mov_b32 v17, 0
	s_and_b32 s37, s3, s4
	s_and_b32 s38, vcc_lo, s2
	s_and_b32 s39, s5, s4
	s_mov_b32 s2, s6
	s_mov_b32 s3, s6
	;; [unrolled: 1-line block ×5, first 2 shown]
	s_and_b32 s40, s40, s41
	s_lshl_b64 s[10:11], s[22:23], 3
	s_lshl_b64 s[12:13], s[12:13], 3
	;; [unrolled: 1-line block ×3, first 2 shown]
                                        ; implicit-def: $vgpr18_vgpr19
	s_branch .LBB538_6
.LBB538_5:                              ;   in Loop: Header=BB538_6 Depth=1
	s_wait_xcnt 0x0
	s_or_b32 exec_lo, exec_lo, s26
	s_add_co_i32 s28, s28, 0x10000
	s_delay_alu instid0(SALU_CYCLE_1)
	s_cmp_lt_u32 s28, s33
	s_cbranch_scc0 .LBB538_38
.LBB538_6:                              ; =>This Loop Header: Depth=1
                                        ;     Child Loop BB538_9 Depth 2
	v_mov_b32_e32 v16, s28
	s_and_not1_b32 vcc_lo, exec_lo, s40
	global_load_b64 v[20:21], v16, s[24:25] scale_offset
	s_cbranch_vccnz .LBB538_17
; %bb.7:                                ;   in Loop: Header=BB538_6 Depth=1
	s_lshl_b64 s[26:27], s[28:29], 3
	v_dual_mov_b32 v26, 0 :: v_dual_mov_b32 v28, 0
	s_add_nc_u64 s[30:31], s[8:9], s[26:27]
	s_add_nc_u64 s[26:27], s[14:15], s[26:27]
	s_clause 0x1
	global_load_b64 v[22:23], v17, s[30:31]
	global_load_b64 v[24:25], v17, s[26:27]
	v_dual_mov_b32 v32, 0 :: v_dual_mov_b32 v30, 0
	v_dual_mov_b32 v36, 0 :: v_dual_mov_b32 v34, 0
	v_dual_mov_b32 v40, 0 :: v_dual_mov_b32 v38, 0
	s_wait_xcnt 0x0
	s_mov_b64 s[26:27], 0
	s_wait_loadcnt 0x1
	v_add_nc_u64_e32 v[22:23], s[12:13], v[22:23]
	s_wait_loadcnt 0x0
	v_add_nc_u64_e32 v[24:25], s[10:11], v[24:25]
	s_delay_alu instid0(VALU_DEP_2) | instskip(NEXT) | instid1(VALU_DEP_2)
	v_lshl_add_u64 v[22:23], v[6:7], 3, v[22:23]
	v_lshl_add_u64 v[24:25], v[4:5], 3, v[24:25]
	s_branch .LBB538_9
.LBB538_8:                              ;   in Loop: Header=BB538_9 Depth=2
	s_wait_xcnt 0x0
	s_or_b32 exec_lo, exec_lo, s30
	s_wait_loadcnt_dscnt 0x0
	ds_store_b64 v3, v[42:43]
	s_wait_dscnt 0x0
	s_barrier_signal -1
	s_barrier_wait -1
	ds_load_b128 v[42:45], v29
	ds_load_2addr_b64 v[46:49], v27 offset1:16
	ds_load_b128 v[50:53], v29 offset:1024
	ds_load_b128 v[54:57], v29 offset:16
	;; [unrolled: 1-line block ×4, first 2 shown]
	ds_load_2addr_b64 v[66:69], v27 offset0:32 offset1:48
	ds_load_b128 v[70:73], v29 offset:1040
	s_add_nc_u64 s[26:27], s[26:27], 8
	s_delay_alu instid0(SALU_CYCLE_1)
	v_cmp_gt_i64_e64 s30, s[16:17], s[26:27]
	s_and_b32 vcc_lo, exec_lo, s30
	s_wait_dscnt 0x6
	v_dual_mul_f32 v16, v43, v47 :: v_dual_mul_f32 v31, v42, v47
	v_dual_mul_f32 v33, v43, v49 :: v_dual_mul_f32 v35, v42, v49
	s_wait_dscnt 0x5
	v_dual_mul_f32 v37, v51, v47 :: v_dual_mul_f32 v39, v50, v47
	v_dual_mul_f32 v41, v51, v49 :: v_dual_mul_f32 v47, v50, v49
	v_dual_fma_f32 v16, v42, v46, -v16 :: v_dual_fmac_f32 v31, v43, v46
	v_dual_fma_f32 v33, v42, v48, -v33 :: v_dual_fmac_f32 v35, v43, v48
	s_delay_alu instid0(VALU_DEP_4) | instskip(NEXT) | instid1(VALU_DEP_3)
	v_dual_fma_f32 v37, v50, v46, -v37 :: v_dual_fmac_f32 v39, v51, v46
	v_dual_add_f32 v16, v38, v16 :: v_dual_add_f32 v38, v40, v31
	v_fma_f32 v31, v50, v48, -v41
	s_delay_alu instid0(VALU_DEP_4) | instskip(NEXT) | instid1(VALU_DEP_4)
	v_dual_add_f32 v34, v34, v33 :: v_dual_add_f32 v35, v36, v35
	v_dual_add_f32 v36, v30, v37 :: v_dual_add_f32 v37, v32, v39
	s_wait_dscnt 0x1
	v_dual_mul_f32 v39, v45, v67 :: v_dual_fmac_f32 v47, v51, v48
	v_add_f32_e32 v28, v28, v31
	ds_load_2addr_b64 v[30:33], v27 offset0:64 offset1:80
	v_dual_mul_f32 v40, v44, v67 :: v_dual_fma_f32 v39, v44, v66, -v39
	v_dual_mul_f32 v41, v45, v69 :: v_dual_add_f32 v26, v26, v47
	s_delay_alu instid0(VALU_DEP_2) | instskip(NEXT) | instid1(VALU_DEP_3)
	v_dual_mul_f32 v42, v44, v69 :: v_dual_fmac_f32 v40, v45, v66
	v_add_f32_e32 v16, v16, v39
	s_delay_alu instid0(VALU_DEP_3) | instskip(NEXT) | instid1(VALU_DEP_3)
	v_dual_fma_f32 v39, v44, v68, -v41 :: v_dual_mul_f32 v41, v53, v67
	v_fmac_f32_e32 v42, v45, v68
	s_delay_alu instid0(VALU_DEP_4) | instskip(NEXT) | instid1(VALU_DEP_3)
	v_dual_add_f32 v38, v38, v40 :: v_dual_mul_f32 v40, v52, v67
	v_dual_add_f32 v39, v34, v39 :: v_dual_fma_f32 v34, v52, v66, -v41
	s_delay_alu instid0(VALU_DEP_3) | instskip(NEXT) | instid1(VALU_DEP_3)
	v_dual_mul_f32 v41, v53, v69 :: v_dual_add_f32 v42, v35, v42
	v_dual_fmac_f32 v40, v53, v66 :: v_dual_mul_f32 v43, v52, v69
	s_wait_dscnt 0x0
	s_delay_alu instid0(VALU_DEP_3) | instskip(NEXT) | instid1(VALU_DEP_3)
	v_dual_add_f32 v44, v36, v34 :: v_dual_mul_f32 v35, v55, v31
	v_fma_f32 v34, v52, v68, -v41
	s_delay_alu instid0(VALU_DEP_3) | instskip(SKIP_1) | instid1(VALU_DEP_4)
	v_dual_add_f32 v40, v37, v40 :: v_dual_mul_f32 v41, v54, v31
	v_fmac_f32_e32 v43, v53, v68
	v_fma_f32 v45, v54, v30, -v35
	s_delay_alu instid0(VALU_DEP_4) | instskip(SKIP_4) | instid1(VALU_DEP_3)
	v_dual_add_f32 v28, v28, v34 :: v_dual_mul_f32 v46, v55, v33
	ds_load_2addr_b64 v[34:37], v27 offset0:96 offset1:112
	v_dual_fmac_f32 v41, v55, v30 :: v_dual_add_f32 v26, v26, v43
	v_add_f32_e32 v16, v16, v45
	v_dual_mul_f32 v43, v54, v33 :: v_dual_fma_f32 v45, v54, v32, -v46
	v_dual_add_f32 v38, v38, v41 :: v_dual_mul_f32 v41, v71, v31
	s_delay_alu instid0(VALU_DEP_2) | instskip(NEXT) | instid1(VALU_DEP_3)
	v_dual_mul_f32 v31, v70, v31 :: v_dual_fmac_f32 v43, v55, v32
	v_add_f32_e32 v39, v39, v45
	s_delay_alu instid0(VALU_DEP_3) | instskip(NEXT) | instid1(VALU_DEP_3)
	v_dual_mul_f32 v45, v71, v33 :: v_dual_fma_f32 v41, v70, v30, -v41
	v_dual_fmac_f32 v31, v71, v30 :: v_dual_mul_f32 v46, v70, v33
	s_delay_alu instid0(VALU_DEP_4) | instskip(NEXT) | instid1(VALU_DEP_3)
	v_add_f32_e32 v42, v42, v43
	v_dual_fma_f32 v30, v70, v32, -v45 :: v_dual_add_f32 v43, v44, v41
	s_delay_alu instid0(VALU_DEP_3) | instskip(SKIP_1) | instid1(VALU_DEP_2)
	v_dual_add_f32 v44, v40, v31 :: v_dual_fmac_f32 v46, v71, v32
	s_wait_dscnt 0x0
	v_dual_mul_f32 v40, v57, v35 :: v_dual_add_f32 v28, v28, v30
	ds_load_2addr_b64 v[30:33], v27 offset0:128 offset1:144
	v_dual_mul_f32 v41, v56, v35 :: v_dual_mul_f32 v45, v57, v37
	v_fma_f32 v40, v56, v34, -v40
	v_dual_add_f32 v26, v26, v46 :: v_dual_mul_f32 v46, v56, v37
	s_delay_alu instid0(VALU_DEP_3) | instskip(NEXT) | instid1(VALU_DEP_4)
	v_fmac_f32_e32 v41, v57, v34
	v_fma_f32 v45, v56, v36, -v45
	s_delay_alu instid0(VALU_DEP_4) | instskip(NEXT) | instid1(VALU_DEP_3)
	v_dual_add_f32 v16, v16, v40 :: v_dual_mul_f32 v40, v73, v35
	v_dual_fmac_f32 v46, v57, v36 :: v_dual_add_f32 v47, v38, v41
	s_delay_alu instid0(VALU_DEP_3) | instskip(NEXT) | instid1(VALU_DEP_3)
	v_dual_add_f32 v48, v39, v45 :: v_dual_mul_f32 v35, v72, v35
	v_dual_fma_f32 v45, v72, v34, -v40 :: v_dual_mul_f32 v49, v73, v37
	s_delay_alu instid0(VALU_DEP_3)
	v_add_f32_e32 v46, v42, v46
	ds_load_b128 v[38:41], v29 offset:1056
	v_dual_fmac_f32 v35, v73, v34 :: v_dual_mul_f32 v42, v72, v37
	v_dual_fma_f32 v34, v72, v36, -v49 :: v_dual_add_f32 v49, v43, v45
	s_wait_dscnt 0x1
	v_dual_mul_f32 v37, v59, v31 :: v_dual_mul_f32 v51, v58, v31
	s_delay_alu instid0(VALU_DEP_3) | instskip(NEXT) | instid1(VALU_DEP_3)
	v_dual_fmac_f32 v42, v73, v36 :: v_dual_add_f32 v50, v44, v35
	v_add_f32_e32 v28, v28, v34
	s_delay_alu instid0(VALU_DEP_3) | instskip(NEXT) | instid1(VALU_DEP_3)
	v_dual_fma_f32 v43, v58, v30, -v37 :: v_dual_mul_f32 v44, v59, v33
	v_add_f32_e32 v26, v26, v42
	ds_load_2addr_b64 v[34:37], v27 offset0:160 offset1:176
	v_dual_fmac_f32 v51, v59, v30 :: v_dual_add_f32 v16, v16, v43
	v_dual_fma_f32 v52, v58, v32, -v44 :: v_dual_mul_f32 v53, v58, v33
	ds_load_b128 v[42:45], v29 offset:1072
	v_add_f32_e32 v47, v47, v51
	s_wait_dscnt 0x2
	v_dual_mul_f32 v54, v39, v31 :: v_dual_mul_f32 v31, v38, v31
	v_fmac_f32_e32 v53, v59, v32
	v_dual_add_f32 v48, v48, v52 :: v_dual_mul_f32 v52, v39, v33
	s_delay_alu instid0(VALU_DEP_3) | instskip(NEXT) | instid1(VALU_DEP_3)
	v_dual_fma_f32 v51, v38, v30, -v54 :: v_dual_fmac_f32 v31, v39, v30
	v_add_f32_e32 v46, v46, v53
	s_delay_alu instid0(VALU_DEP_3) | instskip(NEXT) | instid1(VALU_DEP_3)
	v_dual_mul_f32 v53, v38, v33 :: v_dual_fma_f32 v30, v38, v32, -v52
	v_add_f32_e32 v49, v49, v51
	s_delay_alu instid0(VALU_DEP_2)
	v_dual_add_f32 v38, v50, v31 :: v_dual_fmac_f32 v53, v39, v32
	s_wait_dscnt 0x1
	v_dual_mul_f32 v50, v61, v35 :: v_dual_mul_f32 v39, v60, v35
	v_dual_add_f32 v28, v28, v30 :: v_dual_mul_f32 v51, v61, v37
	ds_load_2addr_b64 v[30:33], v27 offset0:192 offset1:208
	v_dual_fma_f32 v50, v60, v34, -v50 :: v_dual_fmac_f32 v39, v61, v34
	v_add_f32_e32 v26, v26, v53
	v_mul_f32_e32 v52, v60, v37
	s_delay_alu instid0(VALU_DEP_3) | instskip(NEXT) | instid1(VALU_DEP_4)
	v_add_f32_e32 v16, v16, v50
	v_dual_fma_f32 v50, v60, v36, -v51 :: v_dual_add_f32 v39, v47, v39
	s_delay_alu instid0(VALU_DEP_3) | instskip(SKIP_1) | instid1(VALU_DEP_3)
	v_fmac_f32_e32 v52, v61, v36
	v_dual_mul_f32 v47, v41, v35 :: v_dual_mul_f32 v35, v40, v35
	v_dual_add_f32 v50, v48, v50 :: v_dual_mul_f32 v48, v41, v37
	s_delay_alu instid0(VALU_DEP_2) | instskip(NEXT) | instid1(VALU_DEP_3)
	v_dual_add_f32 v51, v46, v52 :: v_dual_fma_f32 v47, v40, v34, -v47
	v_dual_fmac_f32 v35, v41, v34 :: v_dual_mul_f32 v34, v40, v37
	s_delay_alu instid0(VALU_DEP_2) | instskip(SKIP_1) | instid1(VALU_DEP_2)
	v_dual_fma_f32 v37, v40, v36, -v48 :: v_dual_add_f32 v40, v49, v47
	s_wait_dscnt 0x0
	v_dual_mul_f32 v46, v63, v31 :: v_dual_fmac_f32 v34, v41, v36
	s_delay_alu instid0(VALU_DEP_2) | instskip(NEXT) | instid1(VALU_DEP_2)
	v_dual_add_f32 v35, v38, v35 :: v_dual_add_f32 v28, v28, v37
	v_dual_mul_f32 v36, v62, v31 :: v_dual_fma_f32 v37, v62, v30, -v46
	ds_load_2addr_b64 v[46:49], v27 offset0:224 offset1:240
	v_dual_add_f32 v26, v26, v34 :: v_dual_mul_f32 v34, v63, v33
	v_dual_fmac_f32 v36, v63, v30 :: v_dual_add_f32 v16, v16, v37
	v_dual_mul_f32 v37, v62, v33 :: v_dual_mul_f32 v38, v43, v31
	s_delay_alu instid0(VALU_DEP_3) | instskip(NEXT) | instid1(VALU_DEP_3)
	v_fma_f32 v34, v62, v32, -v34
	v_dual_mul_f32 v31, v42, v31 :: v_dual_add_f32 v36, v39, v36
	s_delay_alu instid0(VALU_DEP_3) | instskip(NEXT) | instid1(VALU_DEP_3)
	v_dual_fmac_f32 v37, v63, v32 :: v_dual_fma_f32 v38, v42, v30, -v38
	v_add_f32_e32 v34, v50, v34
	s_delay_alu instid0(VALU_DEP_3) | instskip(SKIP_1) | instid1(VALU_DEP_4)
	v_dual_fmac_f32 v31, v43, v30 :: v_dual_mul_f32 v30, v43, v33
	v_mul_f32_e32 v33, v42, v33
	v_dual_add_f32 v37, v51, v37 :: v_dual_add_f32 v39, v40, v38
	s_delay_alu instid0(VALU_DEP_3) | instskip(SKIP_3) | instid1(VALU_DEP_3)
	v_dual_add_f32 v31, v35, v31 :: v_dual_fma_f32 v30, v42, v32, -v30
	s_wait_dscnt 0x0
	v_dual_mul_f32 v35, v65, v47 :: v_dual_mul_f32 v40, v64, v47
	v_dual_fmac_f32 v33, v43, v32 :: v_dual_mul_f32 v32, v65, v49
	v_add_f32_e32 v28, v28, v30
	s_delay_alu instid0(VALU_DEP_3) | instskip(NEXT) | instid1(VALU_DEP_3)
	v_dual_fma_f32 v30, v64, v46, -v35 :: v_dual_fmac_f32 v40, v65, v46
	v_dual_mul_f32 v35, v64, v49 :: v_dual_fma_f32 v32, v64, v48, -v32
	s_delay_alu instid0(VALU_DEP_2) | instskip(NEXT) | instid1(VALU_DEP_3)
	v_dual_add_f32 v26, v26, v33 :: v_dual_add_f32 v38, v16, v30
	v_dual_add_f32 v40, v36, v40 :: v_dual_mul_f32 v16, v45, v47
	s_delay_alu instid0(VALU_DEP_3) | instskip(NEXT) | instid1(VALU_DEP_4)
	v_fmac_f32_e32 v35, v65, v48
	v_dual_add_f32 v34, v34, v32 :: v_dual_mul_f32 v30, v45, v49
	v_dual_mul_f32 v32, v44, v47 :: v_dual_mul_f32 v33, v44, v49
	s_delay_alu instid0(VALU_DEP_3) | instskip(NEXT) | instid1(VALU_DEP_2)
	v_dual_add_f32 v36, v37, v35 :: v_dual_fma_f32 v16, v44, v46, -v16
	v_dual_fma_f32 v35, v44, v48, -v30 :: v_dual_fmac_f32 v32, v45, v46
	s_delay_alu instid0(VALU_DEP_3) | instskip(NEXT) | instid1(VALU_DEP_2)
	v_fmac_f32_e32 v33, v45, v48
	v_dual_add_f32 v30, v39, v16 :: v_dual_add_f32 v28, v28, v35
	s_delay_alu instid0(VALU_DEP_2)
	v_dual_add_f32 v32, v31, v32 :: v_dual_add_f32 v26, v26, v33
	s_barrier_signal -1
	s_barrier_wait -1
	s_cbranch_vccz .LBB538_18
.LBB538_9:                              ;   Parent Loop BB538_6 Depth=1
                                        ; =>  This Inner Loop Header: Depth=2
	s_mov_b32 s30, 0
	s_mov_b32 s41, s34
	s_and_saveexec_b32 s31, s0
; %bb.10:                               ;   in Loop: Header=BB538_9 Depth=2
	v_add_nc_u32_e32 v16, s26, v2
	s_and_not1_b32 s41, s34, exec_lo
	s_mov_b32 s30, exec_lo
	s_delay_alu instid0(VALU_DEP_1) | instskip(SKIP_2) | instid1(SALU_CYCLE_1)
	v_cmp_le_u64_e32 vcc_lo, s[16:17], v[16:17]
	v_mov_b64_e32 v[18:19], v[16:17]
	s_and_b32 s42, vcc_lo, exec_lo
	s_or_b32 s41, s41, s42
; %bb.11:                               ;   in Loop: Header=BB538_9 Depth=2
	s_or_b32 exec_lo, exec_lo, s31
	s_and_saveexec_b32 s31, s41
	s_delay_alu instid0(SALU_CYCLE_1)
	s_xor_b32 s31, exec_lo, s31
; %bb.12:                               ;   in Loop: Header=BB538_9 Depth=2
	s_and_not1_b32 s30, s30, exec_lo
	ds_store_b32 v1, v17
; %bb.13:                               ;   in Loop: Header=BB538_9 Depth=2
	s_or_b32 exec_lo, exec_lo, s31
	v_dual_mov_b32 v42, 0 :: v_dual_mov_b32 v31, 0
	s_and_saveexec_b32 s31, s30
	s_cbranch_execz .LBB538_15
; %bb.14:                               ;   in Loop: Header=BB538_9 Depth=2
	v_lshl_add_u64 v[44:45], v[18:19], 3, v[22:23]
	flat_load_b64 v[44:45], v[44:45]
	s_wait_loadcnt_dscnt 0x0
	v_xor_b32_e32 v31, 0x80000000, v45
	ds_store_b32 v1, v44
.LBB538_15:                             ;   in Loop: Header=BB538_9 Depth=2
	s_wait_xcnt 0x0
	s_or_b32 exec_lo, exec_lo, s31
	v_dual_mov_b32 v43, 0 :: v_dual_add_nc_u32 v16, s26, v0
	ds_store_b32 v1, v31 offset:4
	v_cmp_gt_u64_e32 vcc_lo, s[16:17], v[16:17]
	s_and_b32 s31, vcc_lo, s1
	s_delay_alu instid0(SALU_CYCLE_1)
	s_and_saveexec_b32 s30, s31
	s_cbranch_execz .LBB538_8
; %bb.16:                               ;   in Loop: Header=BB538_9 Depth=2
	v_mul_u64_e32 v[42:43], s[20:21], v[16:17]
	s_delay_alu instid0(VALU_DEP_1)
	v_lshl_add_u64 v[42:43], v[42:43], 3, v[24:25]
	flat_load_b64 v[42:43], v[42:43]
	s_branch .LBB538_8
.LBB538_17:                             ;   in Loop: Header=BB538_6 Depth=1
	v_dual_mov_b32 v38, v17 :: v_dual_mov_b32 v40, v17
	v_dual_mov_b32 v34, v17 :: v_dual_mov_b32 v36, v17
	;; [unrolled: 1-line block ×4, first 2 shown]
.LBB538_18:                             ;   in Loop: Header=BB538_6 Depth=1
	s_wait_loadcnt 0x0
	v_add_nc_u64_e32 v[20:21], s[22:23], v[20:21]
	s_delay_alu instid0(VALU_DEP_1)
	v_lshl_add_u64 v[22:23], v[10:11], 3, v[20:21]
	s_wait_xcnt 0x0
	s_and_saveexec_b32 s26, s36
	s_cbranch_execz .LBB538_23
; %bb.19:                               ;   in Loop: Header=BB538_6 Depth=1
	v_mov_b64_e32 v[24:25], s[4:5]
	v_mov_b64_e32 v[42:43], s[18:19]
	s_and_b32 vcc_lo, exec_lo, s35
	s_mov_b32 s27, -1
	s_delay_alu instid0(VALU_DEP_2) | instskip(NEXT) | instid1(VALU_DEP_1)
	v_pk_mul_f32 v[24:25], v[40:41], v[24:25] op_sel_hi:[0,1]
	v_pk_fma_f32 v[40:41], v[38:39], v[42:43], v[24:25] op_sel_hi:[0,1,1]
	v_pk_fma_f32 v[24:25], v[38:39], v[42:43], v[24:25] neg_lo:[0,0,1] neg_hi:[0,0,1]
	v_lshl_add_u64 v[38:39], v[8:9], 3, v[22:23]
	s_delay_alu instid0(VALU_DEP_3)
	v_mov_b32_e32 v25, v41
	s_cbranch_vccz .LBB538_21
; %bb.20:                               ;   in Loop: Header=BB538_6 Depth=1
	flat_load_b64 v[40:41], v[38:39]
	v_mov_b64_e32 v[42:43], s[6:7]
	v_mov_b64_e32 v[44:45], s[2:3]
	s_mov_b32 s27, 0
	s_wait_loadcnt_dscnt 0x0
	s_delay_alu instid0(VALU_DEP_2) | instskip(NEXT) | instid1(VALU_DEP_1)
	v_pk_mul_f32 v[42:43], v[40:41], v[42:43]
	v_pk_fma_f32 v[46:47], v[40:41], v[44:45], v[42:43] op_sel:[0,0,1] op_sel_hi:[1,1,0]
	v_pk_fma_f32 v[40:41], v[40:41], v[44:45], v[42:43] op_sel:[0,0,1] op_sel_hi:[1,1,0] neg_lo:[0,0,1] neg_hi:[0,0,1]
	s_delay_alu instid0(VALU_DEP_2) | instskip(NEXT) | instid1(VALU_DEP_1)
	v_mov_b32_e32 v41, v47
	v_pk_add_f32 v[40:41], v[24:25], v[40:41]
	flat_store_b64 v[38:39], v[40:41]
.LBB538_21:                             ;   in Loop: Header=BB538_6 Depth=1
	s_and_not1_b32 vcc_lo, exec_lo, s27
	s_cbranch_vccnz .LBB538_23
; %bb.22:                               ;   in Loop: Header=BB538_6 Depth=1
	flat_store_b64 v[38:39], v[24:25]
.LBB538_23:                             ;   in Loop: Header=BB538_6 Depth=1
	s_wait_xcnt 0x0
	s_or_b32 exec_lo, exec_lo, s26
	s_and_saveexec_b32 s26, s37
	s_cbranch_execz .LBB538_28
; %bb.24:                               ;   in Loop: Header=BB538_6 Depth=1
	v_mov_b64_e32 v[24:25], s[4:5]
	v_mov_b64_e32 v[38:39], s[18:19]
	v_lshl_add_u64 v[22:23], v[14:15], 3, v[22:23]
	s_and_not1_b32 vcc_lo, exec_lo, s35
	s_mov_b32 s27, -1
	s_delay_alu instid0(VALU_DEP_3) | instskip(NEXT) | instid1(VALU_DEP_1)
	v_pk_mul_f32 v[24:25], v[36:37], v[24:25] op_sel_hi:[0,1]
	v_pk_fma_f32 v[36:37], v[34:35], v[38:39], v[24:25] op_sel_hi:[0,1,1]
	v_pk_fma_f32 v[24:25], v[34:35], v[38:39], v[24:25] neg_lo:[0,0,1] neg_hi:[0,0,1]
	s_delay_alu instid0(VALU_DEP_2)
	v_mov_b32_e32 v25, v37
	s_cbranch_vccnz .LBB538_26
; %bb.25:                               ;   in Loop: Header=BB538_6 Depth=1
	flat_load_b64 v[34:35], v[22:23]
	v_mov_b64_e32 v[36:37], s[6:7]
	v_mov_b64_e32 v[38:39], s[2:3]
	s_mov_b32 s27, 0
	s_wait_loadcnt_dscnt 0x0
	s_delay_alu instid0(VALU_DEP_2) | instskip(NEXT) | instid1(VALU_DEP_1)
	v_pk_mul_f32 v[36:37], v[34:35], v[36:37]
	v_pk_fma_f32 v[40:41], v[34:35], v[38:39], v[36:37] op_sel:[0,0,1] op_sel_hi:[1,1,0]
	v_pk_fma_f32 v[34:35], v[34:35], v[38:39], v[36:37] op_sel:[0,0,1] op_sel_hi:[1,1,0] neg_lo:[0,0,1] neg_hi:[0,0,1]
	s_delay_alu instid0(VALU_DEP_2) | instskip(NEXT) | instid1(VALU_DEP_1)
	v_mov_b32_e32 v35, v41
	v_pk_add_f32 v[34:35], v[24:25], v[34:35]
	flat_store_b64 v[22:23], v[34:35]
.LBB538_26:                             ;   in Loop: Header=BB538_6 Depth=1
	s_and_not1_b32 vcc_lo, exec_lo, s27
	s_cbranch_vccnz .LBB538_28
; %bb.27:                               ;   in Loop: Header=BB538_6 Depth=1
	flat_store_b64 v[22:23], v[24:25]
.LBB538_28:                             ;   in Loop: Header=BB538_6 Depth=1
	s_wait_xcnt 0x0
	s_or_b32 exec_lo, exec_lo, s26
	v_lshl_add_u64 v[20:21], v[12:13], 3, v[20:21]
	s_and_saveexec_b32 s26, s38
	s_cbranch_execz .LBB538_33
; %bb.29:                               ;   in Loop: Header=BB538_6 Depth=1
	v_mov_b64_e32 v[22:23], s[4:5]
	v_mov_b64_e32 v[24:25], s[18:19]
	s_and_not1_b32 vcc_lo, exec_lo, s35
	s_mov_b32 s27, -1
	s_delay_alu instid0(VALU_DEP_2) | instskip(NEXT) | instid1(VALU_DEP_1)
	v_pk_mul_f32 v[22:23], v[32:33], v[22:23] op_sel_hi:[0,1]
	v_pk_fma_f32 v[32:33], v[30:31], v[24:25], v[22:23] op_sel_hi:[0,1,1]
	v_pk_fma_f32 v[22:23], v[30:31], v[24:25], v[22:23] neg_lo:[0,0,1] neg_hi:[0,0,1]
	v_lshl_add_u64 v[24:25], v[8:9], 3, v[20:21]
	s_delay_alu instid0(VALU_DEP_3)
	v_mov_b32_e32 v23, v33
	s_cbranch_vccnz .LBB538_31
; %bb.30:                               ;   in Loop: Header=BB538_6 Depth=1
	flat_load_b64 v[30:31], v[24:25]
	v_mov_b64_e32 v[32:33], s[6:7]
	v_mov_b64_e32 v[34:35], s[2:3]
	s_mov_b32 s27, 0
	s_wait_loadcnt_dscnt 0x0
	s_delay_alu instid0(VALU_DEP_2) | instskip(NEXT) | instid1(VALU_DEP_1)
	v_pk_mul_f32 v[32:33], v[30:31], v[32:33]
	v_pk_fma_f32 v[36:37], v[30:31], v[34:35], v[32:33] op_sel:[0,0,1] op_sel_hi:[1,1,0]
	v_pk_fma_f32 v[30:31], v[30:31], v[34:35], v[32:33] op_sel:[0,0,1] op_sel_hi:[1,1,0] neg_lo:[0,0,1] neg_hi:[0,0,1]
	s_delay_alu instid0(VALU_DEP_2) | instskip(NEXT) | instid1(VALU_DEP_1)
	v_mov_b32_e32 v31, v37
	v_pk_add_f32 v[30:31], v[22:23], v[30:31]
	flat_store_b64 v[24:25], v[30:31]
.LBB538_31:                             ;   in Loop: Header=BB538_6 Depth=1
	s_and_not1_b32 vcc_lo, exec_lo, s27
	s_cbranch_vccnz .LBB538_33
; %bb.32:                               ;   in Loop: Header=BB538_6 Depth=1
	flat_store_b64 v[24:25], v[22:23]
.LBB538_33:                             ;   in Loop: Header=BB538_6 Depth=1
	s_wait_xcnt 0x0
	s_or_b32 exec_lo, exec_lo, s26
	s_and_saveexec_b32 s26, s39
	s_cbranch_execz .LBB538_5
; %bb.34:                               ;   in Loop: Header=BB538_6 Depth=1
	v_mov_b64_e32 v[22:23], s[4:5]
	v_mov_b64_e32 v[24:25], s[18:19]
	v_lshl_add_u64 v[20:21], v[14:15], 3, v[20:21]
	s_and_not1_b32 vcc_lo, exec_lo, s35
	s_mov_b32 s27, -1
	s_delay_alu instid0(VALU_DEP_3) | instskip(NEXT) | instid1(VALU_DEP_1)
	v_pk_mul_f32 v[22:23], v[26:27], v[22:23] op_sel_hi:[0,1]
	v_pk_fma_f32 v[30:31], v[28:29], v[24:25], v[22:23] op_sel_hi:[0,1,1]
	v_pk_fma_f32 v[22:23], v[28:29], v[24:25], v[22:23] neg_lo:[0,0,1] neg_hi:[0,0,1]
	s_delay_alu instid0(VALU_DEP_2)
	v_mov_b32_e32 v23, v31
	s_cbranch_vccnz .LBB538_36
; %bb.35:                               ;   in Loop: Header=BB538_6 Depth=1
	flat_load_b64 v[24:25], v[20:21]
	v_mov_b64_e32 v[30:31], s[6:7]
	v_mov_b64_e32 v[32:33], s[2:3]
	s_mov_b32 s27, 0
	s_wait_loadcnt_dscnt 0x0
	s_delay_alu instid0(VALU_DEP_2) | instskip(NEXT) | instid1(VALU_DEP_1)
	v_pk_mul_f32 v[30:31], v[24:25], v[30:31]
	v_pk_fma_f32 v[34:35], v[24:25], v[32:33], v[30:31] op_sel:[0,0,1] op_sel_hi:[1,1,0]
	v_pk_fma_f32 v[24:25], v[24:25], v[32:33], v[30:31] op_sel:[0,0,1] op_sel_hi:[1,1,0] neg_lo:[0,0,1] neg_hi:[0,0,1]
	s_delay_alu instid0(VALU_DEP_2) | instskip(NEXT) | instid1(VALU_DEP_1)
	v_mov_b32_e32 v25, v35
	v_pk_add_f32 v[24:25], v[22:23], v[24:25]
	flat_store_b64 v[20:21], v[24:25]
.LBB538_36:                             ;   in Loop: Header=BB538_6 Depth=1
	s_and_not1_b32 vcc_lo, exec_lo, s27
	s_cbranch_vccnz .LBB538_5
; %bb.37:                               ;   in Loop: Header=BB538_6 Depth=1
	flat_store_b64 v[20:21], v[22:23]
	s_branch .LBB538_5
.LBB538_38:
	s_sendmsg sendmsg(MSG_DEALLOC_VGPRS)
	s_endpgm
	.section	.rodata,"a",@progbits
	.p2align	6, 0x0
	.amdhsa_kernel _ZL29rocblas_internal_gemmt_kernelIlLi16ELi32ELi8ELc67ELc84ELc76ELb1ELb0E19rocblas_complex_numIfES1_PKPKS1_PKPS1_EviT_T9_T10_S9_lSB_S9_lSA_T11_S9_li
		.amdhsa_group_segment_fixed_size 4096
		.amdhsa_private_segment_fixed_size 0
		.amdhsa_kernarg_size 108
		.amdhsa_user_sgpr_count 2
		.amdhsa_user_sgpr_dispatch_ptr 0
		.amdhsa_user_sgpr_queue_ptr 0
		.amdhsa_user_sgpr_kernarg_segment_ptr 1
		.amdhsa_user_sgpr_dispatch_id 0
		.amdhsa_user_sgpr_kernarg_preload_length 0
		.amdhsa_user_sgpr_kernarg_preload_offset 0
		.amdhsa_user_sgpr_private_segment_size 0
		.amdhsa_wavefront_size32 1
		.amdhsa_uses_dynamic_stack 0
		.amdhsa_enable_private_segment 0
		.amdhsa_system_sgpr_workgroup_id_x 1
		.amdhsa_system_sgpr_workgroup_id_y 1
		.amdhsa_system_sgpr_workgroup_id_z 1
		.amdhsa_system_sgpr_workgroup_info 0
		.amdhsa_system_vgpr_workitem_id 1
		.amdhsa_next_free_vgpr 74
		.amdhsa_next_free_sgpr 43
		.amdhsa_named_barrier_count 0
		.amdhsa_reserve_vcc 1
		.amdhsa_float_round_mode_32 0
		.amdhsa_float_round_mode_16_64 0
		.amdhsa_float_denorm_mode_32 3
		.amdhsa_float_denorm_mode_16_64 3
		.amdhsa_fp16_overflow 0
		.amdhsa_memory_ordered 1
		.amdhsa_forward_progress 1
		.amdhsa_inst_pref_size 26
		.amdhsa_round_robin_scheduling 0
		.amdhsa_exception_fp_ieee_invalid_op 0
		.amdhsa_exception_fp_denorm_src 0
		.amdhsa_exception_fp_ieee_div_zero 0
		.amdhsa_exception_fp_ieee_overflow 0
		.amdhsa_exception_fp_ieee_underflow 0
		.amdhsa_exception_fp_ieee_inexact 0
		.amdhsa_exception_int_div_zero 0
	.end_amdhsa_kernel
	.section	.text._ZL29rocblas_internal_gemmt_kernelIlLi16ELi32ELi8ELc67ELc84ELc76ELb1ELb0E19rocblas_complex_numIfES1_PKPKS1_PKPS1_EviT_T9_T10_S9_lSB_S9_lSA_T11_S9_li,"axG",@progbits,_ZL29rocblas_internal_gemmt_kernelIlLi16ELi32ELi8ELc67ELc84ELc76ELb1ELb0E19rocblas_complex_numIfES1_PKPKS1_PKPS1_EviT_T9_T10_S9_lSB_S9_lSA_T11_S9_li,comdat
.Lfunc_end538:
	.size	_ZL29rocblas_internal_gemmt_kernelIlLi16ELi32ELi8ELc67ELc84ELc76ELb1ELb0E19rocblas_complex_numIfES1_PKPKS1_PKPS1_EviT_T9_T10_S9_lSB_S9_lSA_T11_S9_li, .Lfunc_end538-_ZL29rocblas_internal_gemmt_kernelIlLi16ELi32ELi8ELc67ELc84ELc76ELb1ELb0E19rocblas_complex_numIfES1_PKPKS1_PKPS1_EviT_T9_T10_S9_lSB_S9_lSA_T11_S9_li
                                        ; -- End function
	.set _ZL29rocblas_internal_gemmt_kernelIlLi16ELi32ELi8ELc67ELc84ELc76ELb1ELb0E19rocblas_complex_numIfES1_PKPKS1_PKPS1_EviT_T9_T10_S9_lSB_S9_lSA_T11_S9_li.num_vgpr, 74
	.set _ZL29rocblas_internal_gemmt_kernelIlLi16ELi32ELi8ELc67ELc84ELc76ELb1ELb0E19rocblas_complex_numIfES1_PKPKS1_PKPS1_EviT_T9_T10_S9_lSB_S9_lSA_T11_S9_li.num_agpr, 0
	.set _ZL29rocblas_internal_gemmt_kernelIlLi16ELi32ELi8ELc67ELc84ELc76ELb1ELb0E19rocblas_complex_numIfES1_PKPKS1_PKPS1_EviT_T9_T10_S9_lSB_S9_lSA_T11_S9_li.numbered_sgpr, 43
	.set _ZL29rocblas_internal_gemmt_kernelIlLi16ELi32ELi8ELc67ELc84ELc76ELb1ELb0E19rocblas_complex_numIfES1_PKPKS1_PKPS1_EviT_T9_T10_S9_lSB_S9_lSA_T11_S9_li.num_named_barrier, 0
	.set _ZL29rocblas_internal_gemmt_kernelIlLi16ELi32ELi8ELc67ELc84ELc76ELb1ELb0E19rocblas_complex_numIfES1_PKPKS1_PKPS1_EviT_T9_T10_S9_lSB_S9_lSA_T11_S9_li.private_seg_size, 0
	.set _ZL29rocblas_internal_gemmt_kernelIlLi16ELi32ELi8ELc67ELc84ELc76ELb1ELb0E19rocblas_complex_numIfES1_PKPKS1_PKPS1_EviT_T9_T10_S9_lSB_S9_lSA_T11_S9_li.uses_vcc, 1
	.set _ZL29rocblas_internal_gemmt_kernelIlLi16ELi32ELi8ELc67ELc84ELc76ELb1ELb0E19rocblas_complex_numIfES1_PKPKS1_PKPS1_EviT_T9_T10_S9_lSB_S9_lSA_T11_S9_li.uses_flat_scratch, 0
	.set _ZL29rocblas_internal_gemmt_kernelIlLi16ELi32ELi8ELc67ELc84ELc76ELb1ELb0E19rocblas_complex_numIfES1_PKPKS1_PKPS1_EviT_T9_T10_S9_lSB_S9_lSA_T11_S9_li.has_dyn_sized_stack, 0
	.set _ZL29rocblas_internal_gemmt_kernelIlLi16ELi32ELi8ELc67ELc84ELc76ELb1ELb0E19rocblas_complex_numIfES1_PKPKS1_PKPS1_EviT_T9_T10_S9_lSB_S9_lSA_T11_S9_li.has_recursion, 0
	.set _ZL29rocblas_internal_gemmt_kernelIlLi16ELi32ELi8ELc67ELc84ELc76ELb1ELb0E19rocblas_complex_numIfES1_PKPKS1_PKPS1_EviT_T9_T10_S9_lSB_S9_lSA_T11_S9_li.has_indirect_call, 0
	.section	.AMDGPU.csdata,"",@progbits
; Kernel info:
; codeLenInByte = 3292
; TotalNumSgprs: 45
; NumVgprs: 74
; ScratchSize: 0
; MemoryBound: 0
; FloatMode: 240
; IeeeMode: 1
; LDSByteSize: 4096 bytes/workgroup (compile time only)
; SGPRBlocks: 0
; VGPRBlocks: 4
; NumSGPRsForWavesPerEU: 45
; NumVGPRsForWavesPerEU: 74
; NamedBarCnt: 0
; Occupancy: 12
; WaveLimiterHint : 1
; COMPUTE_PGM_RSRC2:SCRATCH_EN: 0
; COMPUTE_PGM_RSRC2:USER_SGPR: 2
; COMPUTE_PGM_RSRC2:TRAP_HANDLER: 0
; COMPUTE_PGM_RSRC2:TGID_X_EN: 1
; COMPUTE_PGM_RSRC2:TGID_Y_EN: 1
; COMPUTE_PGM_RSRC2:TGID_Z_EN: 1
; COMPUTE_PGM_RSRC2:TIDIG_COMP_CNT: 1
	.section	.text._ZL29rocblas_internal_gemmt_kernelIlLi16ELi32ELi8ELc67ELc67ELc76ELb1ELb1E19rocblas_complex_numIfES1_PKPKS1_PKPS1_EviT_T9_T10_S9_lSB_S9_lSA_T11_S9_li,"axG",@progbits,_ZL29rocblas_internal_gemmt_kernelIlLi16ELi32ELi8ELc67ELc67ELc76ELb1ELb1E19rocblas_complex_numIfES1_PKPKS1_PKPS1_EviT_T9_T10_S9_lSB_S9_lSA_T11_S9_li,comdat
	.globl	_ZL29rocblas_internal_gemmt_kernelIlLi16ELi32ELi8ELc67ELc67ELc76ELb1ELb1E19rocblas_complex_numIfES1_PKPKS1_PKPS1_EviT_T9_T10_S9_lSB_S9_lSA_T11_S9_li ; -- Begin function _ZL29rocblas_internal_gemmt_kernelIlLi16ELi32ELi8ELc67ELc67ELc76ELb1ELb1E19rocblas_complex_numIfES1_PKPKS1_PKPS1_EviT_T9_T10_S9_lSB_S9_lSA_T11_S9_li
	.p2align	8
	.type	_ZL29rocblas_internal_gemmt_kernelIlLi16ELi32ELi8ELc67ELc67ELc76ELb1ELb1E19rocblas_complex_numIfES1_PKPKS1_PKPS1_EviT_T9_T10_S9_lSB_S9_lSA_T11_S9_li,@function
_ZL29rocblas_internal_gemmt_kernelIlLi16ELi32ELi8ELc67ELc67ELc76ELb1ELb1E19rocblas_complex_numIfES1_PKPKS1_PKPS1_EviT_T9_T10_S9_lSB_S9_lSA_T11_S9_li: ; @_ZL29rocblas_internal_gemmt_kernelIlLi16ELi32ELi8ELc67ELc67ELc76ELb1ELb1E19rocblas_complex_numIfES1_PKPKS1_PKPS1_EviT_T9_T10_S9_lSB_S9_lSA_T11_S9_li
; %bb.0:
	s_clause 0x1
	s_load_b64 s[6:7], s[0:1], 0x48
	s_load_b128 s[16:19], s[0:1], 0x8
	s_wait_kmcnt 0x0
	s_cmp_neq_f32 s6, 1.0
	s_cselect_b32 s3, -1, 0
	s_and_b32 s4, s7, 0x7fffffff
	s_delay_alu instid0(SALU_CYCLE_1) | instskip(SKIP_3) | instid1(SALU_CYCLE_1)
	s_cmp_eq_u32 s4, 0
	s_cselect_b32 s2, -1, 0
	s_cmp_lg_u32 s4, 0
	s_cselect_b32 s4, -1, 0
	s_or_b32 s3, s3, s4
	s_delay_alu instid0(SALU_CYCLE_1)
	s_and_b32 vcc_lo, exec_lo, s3
	s_cbranch_vccnz .LBB539_2
; %bb.1:
	s_cmp_lg_u64 s[16:17], 0
	s_cselect_b32 s3, -1, 0
	s_cmp_neq_f32 s18, 0
	s_cselect_b32 s4, -1, 0
	s_cmp_neq_f32 s19, 0
	s_cselect_b32 s5, -1, 0
	s_delay_alu instid0(SALU_CYCLE_1) | instskip(NEXT) | instid1(SALU_CYCLE_1)
	s_or_b32 s4, s4, s5
	s_and_b32 s3, s3, s4
.LBB539_2:
	s_delay_alu instid0(SALU_CYCLE_1)
	s_and_not1_b32 vcc_lo, exec_lo, s3
	s_cbranch_vccnz .LBB539_40
; %bb.3:
	s_load_b32 s33, s[0:1], 0x68
	s_bfe_u32 s3, ttmp6, 0x40014
	s_lshr_b32 s4, ttmp7, 16
	s_add_co_i32 s3, s3, 1
	s_bfe_u32 s8, ttmp6, 0x40008
	s_mul_i32 s5, s4, s3
	s_getreg_b32 s3, hwreg(HW_REG_IB_STS2, 6, 4)
	s_add_co_i32 s8, s8, s5
	s_cmp_eq_u32 s3, 0
	s_mov_b32 s29, 0
	s_cselect_b32 s28, s4, s8
	s_wait_kmcnt 0x0
	s_cmp_ge_u32 s28, s33
	s_cbranch_scc1 .LBB539_40
; %bb.4:
	v_and_b32_e32 v9, 0x3ff, v0
	v_bfe_u32 v15, v0, 10, 10
	s_bfe_u32 s8, ttmp6, 0x4000c
	s_bfe_u32 s9, ttmp6, 0x40010
	s_and_b32 s20, ttmp7, 0xffff
	s_add_co_i32 s8, s8, 1
	s_add_co_i32 s9, s9, 1
	s_and_b32 s5, ttmp6, 15
	v_lshl_add_u32 v1, v15, 4, v9
	s_mul_i32 s8, ttmp9, s8
	s_mul_i32 s9, s20, s9
	s_bfe_u32 s10, ttmp6, 0x40004
	s_add_co_i32 s5, s5, s8
	s_add_co_i32 s21, s10, s9
	s_cmp_eq_u32 s3, 0
	v_dual_lshrrev_b32 v2, 5, v1 :: v_dual_bitop2_b32 v0, 7, v0 bitop3:0x40
	s_clause 0x1
	s_load_b32 s4, s[0:1], 0x0
	s_load_b256 s[8:15], s[0:1], 0x18
	s_cselect_b32 s3, ttmp9, s5
	s_cselect_b32 s5, s20, s21
	v_dual_lshrrev_b32 v3, 3, v1 :: v_dual_bitop2_b32 v1, 31, v1 bitop3:0x40
	s_clause 0x1
	s_load_b128 s[20:23], s[0:1], 0x38
	s_load_b128 s[24:27], s[0:1], 0x50
	s_lshl_b32 s3, s3, 5
	s_lshl_b32 s5, s5, 5
	s_cmp_neq_f32 s18, 0
	v_dual_add_nc_u32 v4, s5, v3 :: v_dual_bitop2_b32 v6, s3, v1 bitop3:0x54
	v_add_nc_u32_e32 v16, s5, v15
	s_cselect_b32 s34, -1, 0
	s_cmp_neq_f32 s19, 0
	s_delay_alu instid0(VALU_DEP_2) | instskip(NEXT) | instid1(VALU_DEP_2)
	v_dual_ashrrev_i32 v7, 31, v6 :: v_dual_lshlrev_b32 v5, 3, v0
	v_dual_lshlrev_b32 v1, 3, v1 :: v_dual_add_nc_u32 v18, 16, v16
	v_ashrrev_i32_e32 v17, 31, v16
	s_load_b64 s[30:31], s[0:1], 0x60
	s_wait_xcnt 0x0
	s_cselect_b32 s0, -1, 0
	v_lshl_or_b32 v3, v3, 6, v5
	v_dual_ashrrev_i32 v19, 31, v18 :: v_dual_ashrrev_i32 v5, 31, v4
	s_or_b32 s39, s34, s0
	s_wait_kmcnt 0x0
	v_cmp_gt_i32_e64 s0, s4, v6
	v_cmp_le_i32_e64 s34, s4, v6
	v_mul_u64_e32 v[6:7], s[10:11], v[6:7]
	v_mul_u64_e32 v[10:11], s[26:27], v[16:17]
	;; [unrolled: 1-line block ×3, first 2 shown]
	v_dual_add_nc_u32 v8, s3, v9 :: v_dual_lshlrev_b32 v27, 3, v9
	s_cmp_neq_f32 s6, 0
	v_cmp_gt_i64_e64 s40, s[16:17], 0
	v_cmp_gt_i32_e32 vcc_lo, s4, v4
	s_delay_alu instid0(VALU_DEP_3)
	v_dual_add_nc_u32 v14, 16, v8 :: v_dual_ashrrev_i32 v9, 31, v8
	s_cselect_b32 s3, -1, 0
	s_xor_b32 s5, s2, -1
	v_cmp_le_i32_e64 s1, v16, v8
	v_cmp_gt_i32_e64 s2, s4, v8
	s_or_b32 s35, s3, s5
	v_cmp_le_i32_e64 s3, v16, v14
	v_cmp_gt_i32_e64 s4, s4, v14
	v_cmp_le_i32_e64 s5, v18, v14
	s_and_b32 s36, s1, s2
	v_cmp_le_i32_e64 s1, v18, v8
	v_lshl_or_b32 v1, v2, 8, v1
	v_add_nc_u32_e32 v3, 0x800, v3
	v_lshl_add_u32 v29, v15, 6, 0x800
	v_dual_ashrrev_i32 v15, 31, v14 :: v_dual_mov_b32 v17, 0
	s_and_b32 s37, s3, s4
	s_and_b32 s1, s1, s2
	s_and_b32 s38, s5, s4
	s_mov_b32 s2, s6
	s_mov_b32 s3, s6
	;; [unrolled: 1-line block ×5, first 2 shown]
	s_and_b32 s39, s39, s40
	s_lshl_b64 s[10:11], s[22:23], 3
	s_lshl_b64 s[12:13], s[12:13], 3
	s_xor_b32 s40, vcc_lo, -1
	s_lshl_b64 s[22:23], s[30:31], 3
                                        ; implicit-def: $vgpr18_vgpr19
	s_branch .LBB539_6
.LBB539_5:                              ;   in Loop: Header=BB539_6 Depth=1
	s_wait_xcnt 0x0
	s_or_b32 exec_lo, exec_lo, s26
	s_add_co_i32 s28, s28, 0x10000
	s_delay_alu instid0(SALU_CYCLE_1)
	s_cmp_lt_u32 s28, s33
	s_cbranch_scc0 .LBB539_40
.LBB539_6:                              ; =>This Loop Header: Depth=1
                                        ;     Child Loop BB539_9 Depth 2
	v_mov_b32_e32 v16, s28
	s_and_not1_b32 vcc_lo, exec_lo, s39
	global_load_b64 v[20:21], v16, s[24:25] scale_offset
	s_cbranch_vccnz .LBB539_19
; %bb.7:                                ;   in Loop: Header=BB539_6 Depth=1
	s_lshl_b64 s[26:27], s[28:29], 3
	v_dual_mov_b32 v26, 0 :: v_dual_mov_b32 v28, 0
	s_add_nc_u64 s[30:31], s[8:9], s[26:27]
	s_add_nc_u64 s[26:27], s[14:15], s[26:27]
	s_clause 0x1
	global_load_b64 v[22:23], v17, s[30:31]
	global_load_b64 v[24:25], v17, s[26:27]
	v_dual_mov_b32 v32, 0 :: v_dual_mov_b32 v30, 0
	v_dual_mov_b32 v36, 0 :: v_dual_mov_b32 v34, 0
	;; [unrolled: 1-line block ×3, first 2 shown]
	s_wait_xcnt 0x0
	s_mov_b64 s[26:27], 0
	s_wait_loadcnt 0x1
	v_add_nc_u64_e32 v[22:23], s[12:13], v[22:23]
	s_wait_loadcnt 0x0
	v_add_nc_u64_e32 v[24:25], s[10:11], v[24:25]
	s_delay_alu instid0(VALU_DEP_2) | instskip(NEXT) | instid1(VALU_DEP_2)
	v_lshl_add_u64 v[22:23], v[6:7], 3, v[22:23]
	v_lshl_add_u64 v[24:25], v[4:5], 3, v[24:25]
	s_branch .LBB539_9
.LBB539_8:                              ;   in Loop: Header=BB539_9 Depth=2
	s_wait_xcnt 0x0
	s_or_b32 exec_lo, exec_lo, s30
	ds_store_b32 v3, v31 offset:4
	s_wait_dscnt 0x0
	s_barrier_signal -1
	s_barrier_wait -1
	ds_load_b128 v[42:45], v29
	ds_load_2addr_b64 v[46:49], v27 offset1:16
	ds_load_b128 v[50:53], v29 offset:1024
	ds_load_b128 v[54:57], v29 offset:16
	;; [unrolled: 1-line block ×4, first 2 shown]
	ds_load_2addr_b64 v[66:69], v27 offset0:32 offset1:48
	ds_load_b128 v[70:73], v29 offset:1040
	s_add_nc_u64 s[26:27], s[26:27], 8
	s_delay_alu instid0(SALU_CYCLE_1)
	v_cmp_gt_i64_e64 s30, s[16:17], s[26:27]
	s_and_b32 vcc_lo, exec_lo, s30
	s_wait_dscnt 0x6
	v_dual_mul_f32 v16, v43, v47 :: v_dual_mul_f32 v31, v42, v47
	v_dual_mul_f32 v33, v43, v49 :: v_dual_mul_f32 v35, v42, v49
	s_wait_dscnt 0x5
	v_dual_mul_f32 v37, v51, v47 :: v_dual_mul_f32 v39, v50, v47
	v_dual_mul_f32 v41, v51, v49 :: v_dual_mul_f32 v47, v50, v49
	v_dual_fma_f32 v16, v42, v46, -v16 :: v_dual_fmac_f32 v31, v43, v46
	v_dual_fma_f32 v33, v42, v48, -v33 :: v_dual_fmac_f32 v35, v43, v48
	s_delay_alu instid0(VALU_DEP_4) | instskip(NEXT) | instid1(VALU_DEP_3)
	v_dual_fma_f32 v37, v50, v46, -v37 :: v_dual_fmac_f32 v39, v51, v46
	v_dual_add_f32 v16, v38, v16 :: v_dual_add_f32 v38, v40, v31
	v_fma_f32 v31, v50, v48, -v41
	s_delay_alu instid0(VALU_DEP_4) | instskip(NEXT) | instid1(VALU_DEP_4)
	v_dual_add_f32 v34, v34, v33 :: v_dual_add_f32 v35, v36, v35
	v_dual_add_f32 v36, v30, v37 :: v_dual_add_f32 v37, v32, v39
	s_wait_dscnt 0x1
	v_dual_mul_f32 v39, v45, v67 :: v_dual_fmac_f32 v47, v51, v48
	v_add_f32_e32 v28, v28, v31
	ds_load_2addr_b64 v[30:33], v27 offset0:64 offset1:80
	v_dual_mul_f32 v40, v44, v67 :: v_dual_fma_f32 v39, v44, v66, -v39
	v_dual_mul_f32 v41, v45, v69 :: v_dual_add_f32 v26, v26, v47
	s_delay_alu instid0(VALU_DEP_2) | instskip(NEXT) | instid1(VALU_DEP_3)
	v_dual_mul_f32 v42, v44, v69 :: v_dual_fmac_f32 v40, v45, v66
	v_add_f32_e32 v16, v16, v39
	s_delay_alu instid0(VALU_DEP_3) | instskip(NEXT) | instid1(VALU_DEP_3)
	v_dual_fma_f32 v39, v44, v68, -v41 :: v_dual_mul_f32 v41, v53, v67
	v_fmac_f32_e32 v42, v45, v68
	s_delay_alu instid0(VALU_DEP_4) | instskip(NEXT) | instid1(VALU_DEP_3)
	v_dual_add_f32 v38, v38, v40 :: v_dual_mul_f32 v40, v52, v67
	v_dual_add_f32 v39, v34, v39 :: v_dual_fma_f32 v34, v52, v66, -v41
	s_delay_alu instid0(VALU_DEP_3) | instskip(NEXT) | instid1(VALU_DEP_3)
	v_dual_mul_f32 v41, v53, v69 :: v_dual_add_f32 v42, v35, v42
	v_dual_fmac_f32 v40, v53, v66 :: v_dual_mul_f32 v43, v52, v69
	s_wait_dscnt 0x0
	s_delay_alu instid0(VALU_DEP_3) | instskip(NEXT) | instid1(VALU_DEP_3)
	v_dual_add_f32 v44, v36, v34 :: v_dual_mul_f32 v35, v55, v31
	v_fma_f32 v34, v52, v68, -v41
	s_delay_alu instid0(VALU_DEP_3) | instskip(SKIP_1) | instid1(VALU_DEP_4)
	v_dual_add_f32 v40, v37, v40 :: v_dual_mul_f32 v41, v54, v31
	v_fmac_f32_e32 v43, v53, v68
	v_fma_f32 v45, v54, v30, -v35
	s_delay_alu instid0(VALU_DEP_4) | instskip(SKIP_4) | instid1(VALU_DEP_3)
	v_dual_add_f32 v28, v28, v34 :: v_dual_mul_f32 v46, v55, v33
	ds_load_2addr_b64 v[34:37], v27 offset0:96 offset1:112
	v_dual_fmac_f32 v41, v55, v30 :: v_dual_add_f32 v26, v26, v43
	v_add_f32_e32 v16, v16, v45
	v_dual_mul_f32 v43, v54, v33 :: v_dual_fma_f32 v45, v54, v32, -v46
	v_dual_add_f32 v38, v38, v41 :: v_dual_mul_f32 v41, v71, v31
	s_delay_alu instid0(VALU_DEP_2) | instskip(NEXT) | instid1(VALU_DEP_3)
	v_dual_mul_f32 v31, v70, v31 :: v_dual_fmac_f32 v43, v55, v32
	v_add_f32_e32 v39, v39, v45
	s_delay_alu instid0(VALU_DEP_3) | instskip(NEXT) | instid1(VALU_DEP_3)
	v_dual_mul_f32 v45, v71, v33 :: v_dual_fma_f32 v41, v70, v30, -v41
	v_dual_fmac_f32 v31, v71, v30 :: v_dual_mul_f32 v46, v70, v33
	s_delay_alu instid0(VALU_DEP_4) | instskip(NEXT) | instid1(VALU_DEP_3)
	v_add_f32_e32 v42, v42, v43
	v_dual_fma_f32 v30, v70, v32, -v45 :: v_dual_add_f32 v43, v44, v41
	s_delay_alu instid0(VALU_DEP_3) | instskip(SKIP_1) | instid1(VALU_DEP_2)
	v_dual_add_f32 v44, v40, v31 :: v_dual_fmac_f32 v46, v71, v32
	s_wait_dscnt 0x0
	v_dual_mul_f32 v40, v57, v35 :: v_dual_add_f32 v28, v28, v30
	ds_load_2addr_b64 v[30:33], v27 offset0:128 offset1:144
	v_dual_mul_f32 v41, v56, v35 :: v_dual_mul_f32 v45, v57, v37
	v_fma_f32 v40, v56, v34, -v40
	v_dual_add_f32 v26, v26, v46 :: v_dual_mul_f32 v46, v56, v37
	s_delay_alu instid0(VALU_DEP_3) | instskip(NEXT) | instid1(VALU_DEP_4)
	v_fmac_f32_e32 v41, v57, v34
	v_fma_f32 v45, v56, v36, -v45
	s_delay_alu instid0(VALU_DEP_4) | instskip(NEXT) | instid1(VALU_DEP_3)
	v_dual_add_f32 v16, v16, v40 :: v_dual_mul_f32 v40, v73, v35
	v_dual_fmac_f32 v46, v57, v36 :: v_dual_add_f32 v47, v38, v41
	s_delay_alu instid0(VALU_DEP_3) | instskip(NEXT) | instid1(VALU_DEP_3)
	v_dual_add_f32 v48, v39, v45 :: v_dual_mul_f32 v35, v72, v35
	v_dual_fma_f32 v45, v72, v34, -v40 :: v_dual_mul_f32 v49, v73, v37
	s_delay_alu instid0(VALU_DEP_3)
	v_add_f32_e32 v46, v42, v46
	ds_load_b128 v[38:41], v29 offset:1056
	v_dual_fmac_f32 v35, v73, v34 :: v_dual_mul_f32 v42, v72, v37
	v_dual_fma_f32 v34, v72, v36, -v49 :: v_dual_add_f32 v49, v43, v45
	s_wait_dscnt 0x1
	v_dual_mul_f32 v37, v59, v31 :: v_dual_mul_f32 v51, v58, v31
	s_delay_alu instid0(VALU_DEP_3) | instskip(NEXT) | instid1(VALU_DEP_3)
	v_dual_fmac_f32 v42, v73, v36 :: v_dual_add_f32 v50, v44, v35
	v_add_f32_e32 v28, v28, v34
	s_delay_alu instid0(VALU_DEP_3) | instskip(NEXT) | instid1(VALU_DEP_3)
	v_dual_fma_f32 v43, v58, v30, -v37 :: v_dual_mul_f32 v44, v59, v33
	v_add_f32_e32 v26, v26, v42
	ds_load_2addr_b64 v[34:37], v27 offset0:160 offset1:176
	v_dual_fmac_f32 v51, v59, v30 :: v_dual_add_f32 v16, v16, v43
	v_dual_fma_f32 v52, v58, v32, -v44 :: v_dual_mul_f32 v53, v58, v33
	ds_load_b128 v[42:45], v29 offset:1072
	v_add_f32_e32 v47, v47, v51
	s_wait_dscnt 0x2
	v_dual_mul_f32 v54, v39, v31 :: v_dual_mul_f32 v31, v38, v31
	v_fmac_f32_e32 v53, v59, v32
	v_dual_add_f32 v48, v48, v52 :: v_dual_mul_f32 v52, v39, v33
	s_delay_alu instid0(VALU_DEP_3) | instskip(NEXT) | instid1(VALU_DEP_3)
	v_dual_fma_f32 v51, v38, v30, -v54 :: v_dual_fmac_f32 v31, v39, v30
	v_add_f32_e32 v46, v46, v53
	s_delay_alu instid0(VALU_DEP_3) | instskip(NEXT) | instid1(VALU_DEP_3)
	v_dual_mul_f32 v53, v38, v33 :: v_dual_fma_f32 v30, v38, v32, -v52
	v_add_f32_e32 v49, v49, v51
	s_delay_alu instid0(VALU_DEP_2)
	v_dual_add_f32 v38, v50, v31 :: v_dual_fmac_f32 v53, v39, v32
	s_wait_dscnt 0x1
	v_dual_mul_f32 v50, v61, v35 :: v_dual_mul_f32 v39, v60, v35
	v_dual_add_f32 v28, v28, v30 :: v_dual_mul_f32 v51, v61, v37
	ds_load_2addr_b64 v[30:33], v27 offset0:192 offset1:208
	v_dual_fma_f32 v50, v60, v34, -v50 :: v_dual_fmac_f32 v39, v61, v34
	v_add_f32_e32 v26, v26, v53
	v_mul_f32_e32 v52, v60, v37
	s_delay_alu instid0(VALU_DEP_3) | instskip(NEXT) | instid1(VALU_DEP_4)
	v_add_f32_e32 v16, v16, v50
	v_dual_fma_f32 v50, v60, v36, -v51 :: v_dual_add_f32 v39, v47, v39
	s_delay_alu instid0(VALU_DEP_3) | instskip(SKIP_1) | instid1(VALU_DEP_3)
	v_fmac_f32_e32 v52, v61, v36
	v_dual_mul_f32 v47, v41, v35 :: v_dual_mul_f32 v35, v40, v35
	v_dual_add_f32 v50, v48, v50 :: v_dual_mul_f32 v48, v41, v37
	s_delay_alu instid0(VALU_DEP_2) | instskip(NEXT) | instid1(VALU_DEP_3)
	v_dual_add_f32 v51, v46, v52 :: v_dual_fma_f32 v47, v40, v34, -v47
	v_dual_fmac_f32 v35, v41, v34 :: v_dual_mul_f32 v34, v40, v37
	s_delay_alu instid0(VALU_DEP_2) | instskip(SKIP_1) | instid1(VALU_DEP_2)
	v_dual_fma_f32 v37, v40, v36, -v48 :: v_dual_add_f32 v40, v49, v47
	s_wait_dscnt 0x0
	v_dual_mul_f32 v46, v63, v31 :: v_dual_fmac_f32 v34, v41, v36
	s_delay_alu instid0(VALU_DEP_2) | instskip(NEXT) | instid1(VALU_DEP_2)
	v_dual_add_f32 v35, v38, v35 :: v_dual_add_f32 v28, v28, v37
	v_dual_mul_f32 v36, v62, v31 :: v_dual_fma_f32 v37, v62, v30, -v46
	ds_load_2addr_b64 v[46:49], v27 offset0:224 offset1:240
	v_dual_add_f32 v26, v26, v34 :: v_dual_mul_f32 v34, v63, v33
	v_dual_fmac_f32 v36, v63, v30 :: v_dual_add_f32 v16, v16, v37
	v_dual_mul_f32 v37, v62, v33 :: v_dual_mul_f32 v38, v43, v31
	s_delay_alu instid0(VALU_DEP_3) | instskip(NEXT) | instid1(VALU_DEP_3)
	v_fma_f32 v34, v62, v32, -v34
	v_dual_mul_f32 v31, v42, v31 :: v_dual_add_f32 v36, v39, v36
	s_delay_alu instid0(VALU_DEP_3) | instskip(NEXT) | instid1(VALU_DEP_3)
	v_dual_fmac_f32 v37, v63, v32 :: v_dual_fma_f32 v38, v42, v30, -v38
	v_add_f32_e32 v34, v50, v34
	s_delay_alu instid0(VALU_DEP_3) | instskip(SKIP_1) | instid1(VALU_DEP_4)
	v_dual_fmac_f32 v31, v43, v30 :: v_dual_mul_f32 v30, v43, v33
	v_mul_f32_e32 v33, v42, v33
	v_dual_add_f32 v37, v51, v37 :: v_dual_add_f32 v39, v40, v38
	s_delay_alu instid0(VALU_DEP_3) | instskip(SKIP_3) | instid1(VALU_DEP_3)
	v_dual_add_f32 v31, v35, v31 :: v_dual_fma_f32 v30, v42, v32, -v30
	s_wait_dscnt 0x0
	v_dual_mul_f32 v35, v65, v47 :: v_dual_mul_f32 v40, v64, v47
	v_dual_fmac_f32 v33, v43, v32 :: v_dual_mul_f32 v32, v65, v49
	v_add_f32_e32 v28, v28, v30
	s_delay_alu instid0(VALU_DEP_3) | instskip(NEXT) | instid1(VALU_DEP_3)
	v_dual_fma_f32 v30, v64, v46, -v35 :: v_dual_fmac_f32 v40, v65, v46
	v_dual_mul_f32 v35, v64, v49 :: v_dual_fma_f32 v32, v64, v48, -v32
	s_delay_alu instid0(VALU_DEP_2) | instskip(NEXT) | instid1(VALU_DEP_3)
	v_dual_add_f32 v26, v26, v33 :: v_dual_add_f32 v38, v16, v30
	v_dual_add_f32 v40, v36, v40 :: v_dual_mul_f32 v16, v45, v47
	s_delay_alu instid0(VALU_DEP_3) | instskip(NEXT) | instid1(VALU_DEP_4)
	v_fmac_f32_e32 v35, v65, v48
	v_dual_add_f32 v34, v34, v32 :: v_dual_mul_f32 v30, v45, v49
	v_dual_mul_f32 v32, v44, v47 :: v_dual_mul_f32 v33, v44, v49
	s_delay_alu instid0(VALU_DEP_3) | instskip(NEXT) | instid1(VALU_DEP_2)
	v_dual_add_f32 v36, v37, v35 :: v_dual_fma_f32 v16, v44, v46, -v16
	v_dual_fma_f32 v35, v44, v48, -v30 :: v_dual_fmac_f32 v32, v45, v46
	s_delay_alu instid0(VALU_DEP_3) | instskip(NEXT) | instid1(VALU_DEP_2)
	v_fmac_f32_e32 v33, v45, v48
	v_dual_add_f32 v30, v39, v16 :: v_dual_add_f32 v28, v28, v35
	s_delay_alu instid0(VALU_DEP_2)
	v_dual_add_f32 v32, v31, v32 :: v_dual_add_f32 v26, v26, v33
	s_barrier_signal -1
	s_barrier_wait -1
	s_cbranch_vccz .LBB539_20
.LBB539_9:                              ;   Parent Loop BB539_6 Depth=1
                                        ; =>  This Inner Loop Header: Depth=2
	s_mov_b32 s30, 0
	s_mov_b32 s41, s34
	s_and_saveexec_b32 s31, s0
	s_cbranch_execnz .LBB539_17
; %bb.10:                               ;   in Loop: Header=BB539_9 Depth=2
	s_or_b32 exec_lo, exec_lo, s31
	s_and_saveexec_b32 s31, s41
	s_delay_alu instid0(SALU_CYCLE_1)
	s_xor_b32 s31, exec_lo, s31
	s_cbranch_execnz .LBB539_18
.LBB539_11:                             ;   in Loop: Header=BB539_9 Depth=2
	s_or_b32 exec_lo, exec_lo, s31
	v_mov_b32_e32 v31, 0
	s_and_saveexec_b32 s31, s30
	s_cbranch_execz .LBB539_13
.LBB539_12:                             ;   in Loop: Header=BB539_9 Depth=2
	v_lshl_add_u64 v[42:43], v[18:19], 3, v[22:23]
	flat_load_b64 v[42:43], v[42:43]
	s_wait_loadcnt_dscnt 0x0
	v_xor_b32_e32 v31, 0x80000000, v43
	ds_store_b32 v1, v42
.LBB539_13:                             ;   in Loop: Header=BB539_9 Depth=2
	s_wait_xcnt 0x0
	s_or_b32 exec_lo, exec_lo, s31
	v_add_nc_u32_e32 v16, s26, v0
	ds_store_b32 v1, v31 offset:4
	v_cmp_le_u64_e32 vcc_lo, s[16:17], v[16:17]
	s_or_b32 s30, vcc_lo, s40
	s_delay_alu instid0(SALU_CYCLE_1) | instskip(NEXT) | instid1(SALU_CYCLE_1)
	s_and_saveexec_b32 s31, s30
	s_xor_b32 s30, exec_lo, s31
; %bb.14:                               ;   in Loop: Header=BB539_9 Depth=2
	ds_store_b32 v3, v17
; %bb.15:                               ;   in Loop: Header=BB539_9 Depth=2
	s_or_saveexec_b32 s30, s30
	v_mov_b32_e32 v31, 0
	s_xor_b32 exec_lo, exec_lo, s30
	s_cbranch_execz .LBB539_8
; %bb.16:                               ;   in Loop: Header=BB539_9 Depth=2
	v_mul_u64_e32 v[42:43], s[20:21], v[16:17]
	s_delay_alu instid0(VALU_DEP_1)
	v_lshl_add_u64 v[42:43], v[42:43], 3, v[24:25]
	flat_load_b64 v[42:43], v[42:43]
	s_wait_loadcnt_dscnt 0x0
	v_xor_b32_e32 v31, 0x80000000, v43
	ds_store_b32 v3, v42
	s_branch .LBB539_8
.LBB539_17:                             ;   in Loop: Header=BB539_9 Depth=2
	v_add_nc_u32_e32 v16, s26, v2
	s_and_not1_b32 s41, s34, exec_lo
	s_mov_b32 s30, exec_lo
	s_delay_alu instid0(VALU_DEP_1) | instskip(SKIP_2) | instid1(SALU_CYCLE_1)
	v_cmp_le_u64_e32 vcc_lo, s[16:17], v[16:17]
	v_mov_b64_e32 v[18:19], v[16:17]
	s_and_b32 s42, vcc_lo, exec_lo
	s_or_b32 s41, s41, s42
	s_or_b32 exec_lo, exec_lo, s31
	s_and_saveexec_b32 s31, s41
	s_delay_alu instid0(SALU_CYCLE_1)
	s_xor_b32 s31, exec_lo, s31
	s_cbranch_execz .LBB539_11
.LBB539_18:                             ;   in Loop: Header=BB539_9 Depth=2
	s_and_not1_b32 s30, s30, exec_lo
	ds_store_b32 v1, v17
	s_or_b32 exec_lo, exec_lo, s31
	v_mov_b32_e32 v31, 0
	s_and_saveexec_b32 s31, s30
	s_cbranch_execnz .LBB539_12
	s_branch .LBB539_13
.LBB539_19:                             ;   in Loop: Header=BB539_6 Depth=1
	v_dual_mov_b32 v38, v17 :: v_dual_mov_b32 v40, v17
	v_dual_mov_b32 v34, v17 :: v_dual_mov_b32 v36, v17
	;; [unrolled: 1-line block ×4, first 2 shown]
.LBB539_20:                             ;   in Loop: Header=BB539_6 Depth=1
	s_wait_loadcnt 0x0
	v_add_nc_u64_e32 v[20:21], s[22:23], v[20:21]
	s_delay_alu instid0(VALU_DEP_1)
	v_lshl_add_u64 v[22:23], v[10:11], 3, v[20:21]
	s_wait_xcnt 0x0
	s_and_saveexec_b32 s26, s36
	s_cbranch_execz .LBB539_25
; %bb.21:                               ;   in Loop: Header=BB539_6 Depth=1
	v_mov_b64_e32 v[24:25], s[4:5]
	v_mov_b64_e32 v[42:43], s[18:19]
	s_and_b32 vcc_lo, exec_lo, s35
	s_mov_b32 s27, -1
	s_delay_alu instid0(VALU_DEP_2) | instskip(NEXT) | instid1(VALU_DEP_1)
	v_pk_mul_f32 v[24:25], v[40:41], v[24:25] op_sel_hi:[0,1]
	v_pk_fma_f32 v[40:41], v[38:39], v[42:43], v[24:25] op_sel_hi:[0,1,1]
	v_pk_fma_f32 v[24:25], v[38:39], v[42:43], v[24:25] neg_lo:[0,0,1] neg_hi:[0,0,1]
	v_lshl_add_u64 v[38:39], v[8:9], 3, v[22:23]
	s_delay_alu instid0(VALU_DEP_3)
	v_mov_b32_e32 v25, v41
	s_cbranch_vccz .LBB539_23
; %bb.22:                               ;   in Loop: Header=BB539_6 Depth=1
	flat_load_b64 v[40:41], v[38:39]
	v_mov_b64_e32 v[42:43], s[6:7]
	v_mov_b64_e32 v[44:45], s[2:3]
	s_mov_b32 s27, 0
	s_wait_loadcnt_dscnt 0x0
	s_delay_alu instid0(VALU_DEP_2) | instskip(NEXT) | instid1(VALU_DEP_1)
	v_pk_mul_f32 v[42:43], v[40:41], v[42:43]
	v_pk_fma_f32 v[46:47], v[40:41], v[44:45], v[42:43] op_sel:[0,0,1] op_sel_hi:[1,1,0]
	v_pk_fma_f32 v[40:41], v[40:41], v[44:45], v[42:43] op_sel:[0,0,1] op_sel_hi:[1,1,0] neg_lo:[0,0,1] neg_hi:[0,0,1]
	s_delay_alu instid0(VALU_DEP_2) | instskip(NEXT) | instid1(VALU_DEP_1)
	v_mov_b32_e32 v41, v47
	v_pk_add_f32 v[40:41], v[24:25], v[40:41]
	flat_store_b64 v[38:39], v[40:41]
.LBB539_23:                             ;   in Loop: Header=BB539_6 Depth=1
	s_and_not1_b32 vcc_lo, exec_lo, s27
	s_cbranch_vccnz .LBB539_25
; %bb.24:                               ;   in Loop: Header=BB539_6 Depth=1
	flat_store_b64 v[38:39], v[24:25]
.LBB539_25:                             ;   in Loop: Header=BB539_6 Depth=1
	s_wait_xcnt 0x0
	s_or_b32 exec_lo, exec_lo, s26
	s_and_saveexec_b32 s26, s37
	s_cbranch_execz .LBB539_30
; %bb.26:                               ;   in Loop: Header=BB539_6 Depth=1
	v_mov_b64_e32 v[24:25], s[4:5]
	v_mov_b64_e32 v[38:39], s[18:19]
	v_lshl_add_u64 v[22:23], v[14:15], 3, v[22:23]
	s_and_not1_b32 vcc_lo, exec_lo, s35
	s_mov_b32 s27, -1
	s_delay_alu instid0(VALU_DEP_3) | instskip(NEXT) | instid1(VALU_DEP_1)
	v_pk_mul_f32 v[24:25], v[36:37], v[24:25] op_sel_hi:[0,1]
	v_pk_fma_f32 v[36:37], v[34:35], v[38:39], v[24:25] op_sel_hi:[0,1,1]
	v_pk_fma_f32 v[24:25], v[34:35], v[38:39], v[24:25] neg_lo:[0,0,1] neg_hi:[0,0,1]
	s_delay_alu instid0(VALU_DEP_2)
	v_mov_b32_e32 v25, v37
	s_cbranch_vccnz .LBB539_28
; %bb.27:                               ;   in Loop: Header=BB539_6 Depth=1
	flat_load_b64 v[34:35], v[22:23]
	v_mov_b64_e32 v[36:37], s[6:7]
	v_mov_b64_e32 v[38:39], s[2:3]
	s_mov_b32 s27, 0
	s_wait_loadcnt_dscnt 0x0
	s_delay_alu instid0(VALU_DEP_2) | instskip(NEXT) | instid1(VALU_DEP_1)
	v_pk_mul_f32 v[36:37], v[34:35], v[36:37]
	v_pk_fma_f32 v[40:41], v[34:35], v[38:39], v[36:37] op_sel:[0,0,1] op_sel_hi:[1,1,0]
	v_pk_fma_f32 v[34:35], v[34:35], v[38:39], v[36:37] op_sel:[0,0,1] op_sel_hi:[1,1,0] neg_lo:[0,0,1] neg_hi:[0,0,1]
	s_delay_alu instid0(VALU_DEP_2) | instskip(NEXT) | instid1(VALU_DEP_1)
	v_mov_b32_e32 v35, v41
	v_pk_add_f32 v[34:35], v[24:25], v[34:35]
	flat_store_b64 v[22:23], v[34:35]
.LBB539_28:                             ;   in Loop: Header=BB539_6 Depth=1
	s_and_not1_b32 vcc_lo, exec_lo, s27
	s_cbranch_vccnz .LBB539_30
; %bb.29:                               ;   in Loop: Header=BB539_6 Depth=1
	flat_store_b64 v[22:23], v[24:25]
.LBB539_30:                             ;   in Loop: Header=BB539_6 Depth=1
	s_wait_xcnt 0x0
	s_or_b32 exec_lo, exec_lo, s26
	v_lshl_add_u64 v[20:21], v[12:13], 3, v[20:21]
	s_and_saveexec_b32 s26, s1
	s_cbranch_execz .LBB539_35
; %bb.31:                               ;   in Loop: Header=BB539_6 Depth=1
	v_mov_b64_e32 v[22:23], s[4:5]
	v_mov_b64_e32 v[24:25], s[18:19]
	s_and_not1_b32 vcc_lo, exec_lo, s35
	s_mov_b32 s27, -1
	s_delay_alu instid0(VALU_DEP_2) | instskip(NEXT) | instid1(VALU_DEP_1)
	v_pk_mul_f32 v[22:23], v[32:33], v[22:23] op_sel_hi:[0,1]
	v_pk_fma_f32 v[32:33], v[30:31], v[24:25], v[22:23] op_sel_hi:[0,1,1]
	v_pk_fma_f32 v[22:23], v[30:31], v[24:25], v[22:23] neg_lo:[0,0,1] neg_hi:[0,0,1]
	v_lshl_add_u64 v[24:25], v[8:9], 3, v[20:21]
	s_delay_alu instid0(VALU_DEP_3)
	v_mov_b32_e32 v23, v33
	s_cbranch_vccnz .LBB539_33
; %bb.32:                               ;   in Loop: Header=BB539_6 Depth=1
	flat_load_b64 v[30:31], v[24:25]
	v_mov_b64_e32 v[32:33], s[6:7]
	v_mov_b64_e32 v[34:35], s[2:3]
	s_mov_b32 s27, 0
	s_wait_loadcnt_dscnt 0x0
	s_delay_alu instid0(VALU_DEP_2) | instskip(NEXT) | instid1(VALU_DEP_1)
	v_pk_mul_f32 v[32:33], v[30:31], v[32:33]
	v_pk_fma_f32 v[36:37], v[30:31], v[34:35], v[32:33] op_sel:[0,0,1] op_sel_hi:[1,1,0]
	v_pk_fma_f32 v[30:31], v[30:31], v[34:35], v[32:33] op_sel:[0,0,1] op_sel_hi:[1,1,0] neg_lo:[0,0,1] neg_hi:[0,0,1]
	s_delay_alu instid0(VALU_DEP_2) | instskip(NEXT) | instid1(VALU_DEP_1)
	v_mov_b32_e32 v31, v37
	v_pk_add_f32 v[30:31], v[22:23], v[30:31]
	flat_store_b64 v[24:25], v[30:31]
.LBB539_33:                             ;   in Loop: Header=BB539_6 Depth=1
	s_and_not1_b32 vcc_lo, exec_lo, s27
	s_cbranch_vccnz .LBB539_35
; %bb.34:                               ;   in Loop: Header=BB539_6 Depth=1
	flat_store_b64 v[24:25], v[22:23]
.LBB539_35:                             ;   in Loop: Header=BB539_6 Depth=1
	s_wait_xcnt 0x0
	s_or_b32 exec_lo, exec_lo, s26
	s_and_saveexec_b32 s26, s38
	s_cbranch_execz .LBB539_5
; %bb.36:                               ;   in Loop: Header=BB539_6 Depth=1
	v_mov_b64_e32 v[22:23], s[4:5]
	v_mov_b64_e32 v[24:25], s[18:19]
	v_lshl_add_u64 v[20:21], v[14:15], 3, v[20:21]
	s_and_not1_b32 vcc_lo, exec_lo, s35
	s_mov_b32 s27, -1
	s_delay_alu instid0(VALU_DEP_3) | instskip(NEXT) | instid1(VALU_DEP_1)
	v_pk_mul_f32 v[22:23], v[26:27], v[22:23] op_sel_hi:[0,1]
	v_pk_fma_f32 v[30:31], v[28:29], v[24:25], v[22:23] op_sel_hi:[0,1,1]
	v_pk_fma_f32 v[22:23], v[28:29], v[24:25], v[22:23] neg_lo:[0,0,1] neg_hi:[0,0,1]
	s_delay_alu instid0(VALU_DEP_2)
	v_mov_b32_e32 v23, v31
	s_cbranch_vccnz .LBB539_38
; %bb.37:                               ;   in Loop: Header=BB539_6 Depth=1
	flat_load_b64 v[24:25], v[20:21]
	v_mov_b64_e32 v[30:31], s[6:7]
	v_mov_b64_e32 v[32:33], s[2:3]
	s_mov_b32 s27, 0
	s_wait_loadcnt_dscnt 0x0
	s_delay_alu instid0(VALU_DEP_2) | instskip(NEXT) | instid1(VALU_DEP_1)
	v_pk_mul_f32 v[30:31], v[24:25], v[30:31]
	v_pk_fma_f32 v[34:35], v[24:25], v[32:33], v[30:31] op_sel:[0,0,1] op_sel_hi:[1,1,0]
	v_pk_fma_f32 v[24:25], v[24:25], v[32:33], v[30:31] op_sel:[0,0,1] op_sel_hi:[1,1,0] neg_lo:[0,0,1] neg_hi:[0,0,1]
	s_delay_alu instid0(VALU_DEP_2) | instskip(NEXT) | instid1(VALU_DEP_1)
	v_mov_b32_e32 v25, v35
	v_pk_add_f32 v[24:25], v[22:23], v[24:25]
	flat_store_b64 v[20:21], v[24:25]
.LBB539_38:                             ;   in Loop: Header=BB539_6 Depth=1
	s_and_not1_b32 vcc_lo, exec_lo, s27
	s_cbranch_vccnz .LBB539_5
; %bb.39:                               ;   in Loop: Header=BB539_6 Depth=1
	flat_store_b64 v[20:21], v[22:23]
	s_branch .LBB539_5
.LBB539_40:
	s_sendmsg sendmsg(MSG_DEALLOC_VGPRS)
	s_endpgm
	.section	.rodata,"a",@progbits
	.p2align	6, 0x0
	.amdhsa_kernel _ZL29rocblas_internal_gemmt_kernelIlLi16ELi32ELi8ELc67ELc67ELc76ELb1ELb1E19rocblas_complex_numIfES1_PKPKS1_PKPS1_EviT_T9_T10_S9_lSB_S9_lSA_T11_S9_li
		.amdhsa_group_segment_fixed_size 4096
		.amdhsa_private_segment_fixed_size 0
		.amdhsa_kernarg_size 108
		.amdhsa_user_sgpr_count 2
		.amdhsa_user_sgpr_dispatch_ptr 0
		.amdhsa_user_sgpr_queue_ptr 0
		.amdhsa_user_sgpr_kernarg_segment_ptr 1
		.amdhsa_user_sgpr_dispatch_id 0
		.amdhsa_user_sgpr_kernarg_preload_length 0
		.amdhsa_user_sgpr_kernarg_preload_offset 0
		.amdhsa_user_sgpr_private_segment_size 0
		.amdhsa_wavefront_size32 1
		.amdhsa_uses_dynamic_stack 0
		.amdhsa_enable_private_segment 0
		.amdhsa_system_sgpr_workgroup_id_x 1
		.amdhsa_system_sgpr_workgroup_id_y 1
		.amdhsa_system_sgpr_workgroup_id_z 1
		.amdhsa_system_sgpr_workgroup_info 0
		.amdhsa_system_vgpr_workitem_id 1
		.amdhsa_next_free_vgpr 74
		.amdhsa_next_free_sgpr 43
		.amdhsa_named_barrier_count 0
		.amdhsa_reserve_vcc 1
		.amdhsa_float_round_mode_32 0
		.amdhsa_float_round_mode_16_64 0
		.amdhsa_float_denorm_mode_32 3
		.amdhsa_float_denorm_mode_16_64 3
		.amdhsa_fp16_overflow 0
		.amdhsa_memory_ordered 1
		.amdhsa_forward_progress 1
		.amdhsa_inst_pref_size 27
		.amdhsa_round_robin_scheduling 0
		.amdhsa_exception_fp_ieee_invalid_op 0
		.amdhsa_exception_fp_denorm_src 0
		.amdhsa_exception_fp_ieee_div_zero 0
		.amdhsa_exception_fp_ieee_overflow 0
		.amdhsa_exception_fp_ieee_underflow 0
		.amdhsa_exception_fp_ieee_inexact 0
		.amdhsa_exception_int_div_zero 0
	.end_amdhsa_kernel
	.section	.text._ZL29rocblas_internal_gemmt_kernelIlLi16ELi32ELi8ELc67ELc67ELc76ELb1ELb1E19rocblas_complex_numIfES1_PKPKS1_PKPS1_EviT_T9_T10_S9_lSB_S9_lSA_T11_S9_li,"axG",@progbits,_ZL29rocblas_internal_gemmt_kernelIlLi16ELi32ELi8ELc67ELc67ELc76ELb1ELb1E19rocblas_complex_numIfES1_PKPKS1_PKPS1_EviT_T9_T10_S9_lSB_S9_lSA_T11_S9_li,comdat
.Lfunc_end539:
	.size	_ZL29rocblas_internal_gemmt_kernelIlLi16ELi32ELi8ELc67ELc67ELc76ELb1ELb1E19rocblas_complex_numIfES1_PKPKS1_PKPS1_EviT_T9_T10_S9_lSB_S9_lSA_T11_S9_li, .Lfunc_end539-_ZL29rocblas_internal_gemmt_kernelIlLi16ELi32ELi8ELc67ELc67ELc76ELb1ELb1E19rocblas_complex_numIfES1_PKPKS1_PKPS1_EviT_T9_T10_S9_lSB_S9_lSA_T11_S9_li
                                        ; -- End function
	.set _ZL29rocblas_internal_gemmt_kernelIlLi16ELi32ELi8ELc67ELc67ELc76ELb1ELb1E19rocblas_complex_numIfES1_PKPKS1_PKPS1_EviT_T9_T10_S9_lSB_S9_lSA_T11_S9_li.num_vgpr, 74
	.set _ZL29rocblas_internal_gemmt_kernelIlLi16ELi32ELi8ELc67ELc67ELc76ELb1ELb1E19rocblas_complex_numIfES1_PKPKS1_PKPS1_EviT_T9_T10_S9_lSB_S9_lSA_T11_S9_li.num_agpr, 0
	.set _ZL29rocblas_internal_gemmt_kernelIlLi16ELi32ELi8ELc67ELc67ELc76ELb1ELb1E19rocblas_complex_numIfES1_PKPKS1_PKPS1_EviT_T9_T10_S9_lSB_S9_lSA_T11_S9_li.numbered_sgpr, 43
	.set _ZL29rocblas_internal_gemmt_kernelIlLi16ELi32ELi8ELc67ELc67ELc76ELb1ELb1E19rocblas_complex_numIfES1_PKPKS1_PKPS1_EviT_T9_T10_S9_lSB_S9_lSA_T11_S9_li.num_named_barrier, 0
	.set _ZL29rocblas_internal_gemmt_kernelIlLi16ELi32ELi8ELc67ELc67ELc76ELb1ELb1E19rocblas_complex_numIfES1_PKPKS1_PKPS1_EviT_T9_T10_S9_lSB_S9_lSA_T11_S9_li.private_seg_size, 0
	.set _ZL29rocblas_internal_gemmt_kernelIlLi16ELi32ELi8ELc67ELc67ELc76ELb1ELb1E19rocblas_complex_numIfES1_PKPKS1_PKPS1_EviT_T9_T10_S9_lSB_S9_lSA_T11_S9_li.uses_vcc, 1
	.set _ZL29rocblas_internal_gemmt_kernelIlLi16ELi32ELi8ELc67ELc67ELc76ELb1ELb1E19rocblas_complex_numIfES1_PKPKS1_PKPS1_EviT_T9_T10_S9_lSB_S9_lSA_T11_S9_li.uses_flat_scratch, 0
	.set _ZL29rocblas_internal_gemmt_kernelIlLi16ELi32ELi8ELc67ELc67ELc76ELb1ELb1E19rocblas_complex_numIfES1_PKPKS1_PKPS1_EviT_T9_T10_S9_lSB_S9_lSA_T11_S9_li.has_dyn_sized_stack, 0
	.set _ZL29rocblas_internal_gemmt_kernelIlLi16ELi32ELi8ELc67ELc67ELc76ELb1ELb1E19rocblas_complex_numIfES1_PKPKS1_PKPS1_EviT_T9_T10_S9_lSB_S9_lSA_T11_S9_li.has_recursion, 0
	.set _ZL29rocblas_internal_gemmt_kernelIlLi16ELi32ELi8ELc67ELc67ELc76ELb1ELb1E19rocblas_complex_numIfES1_PKPKS1_PKPS1_EviT_T9_T10_S9_lSB_S9_lSA_T11_S9_li.has_indirect_call, 0
	.section	.AMDGPU.csdata,"",@progbits
; Kernel info:
; codeLenInByte = 3380
; TotalNumSgprs: 45
; NumVgprs: 74
; ScratchSize: 0
; MemoryBound: 0
; FloatMode: 240
; IeeeMode: 1
; LDSByteSize: 4096 bytes/workgroup (compile time only)
; SGPRBlocks: 0
; VGPRBlocks: 4
; NumSGPRsForWavesPerEU: 45
; NumVGPRsForWavesPerEU: 74
; NamedBarCnt: 0
; Occupancy: 12
; WaveLimiterHint : 1
; COMPUTE_PGM_RSRC2:SCRATCH_EN: 0
; COMPUTE_PGM_RSRC2:USER_SGPR: 2
; COMPUTE_PGM_RSRC2:TRAP_HANDLER: 0
; COMPUTE_PGM_RSRC2:TGID_X_EN: 1
; COMPUTE_PGM_RSRC2:TGID_Y_EN: 1
; COMPUTE_PGM_RSRC2:TGID_Z_EN: 1
; COMPUTE_PGM_RSRC2:TIDIG_COMP_CNT: 1
	.section	.text._ZL29rocblas_internal_gemmt_kernelIlLi16ELi32ELi8ELc78ELc78ELc85ELb0ELb0E19rocblas_complex_numIdEPKS1_PKS3_PKPS1_EviT_T9_T10_S9_lSB_S9_lSA_T11_S9_li,"axG",@progbits,_ZL29rocblas_internal_gemmt_kernelIlLi16ELi32ELi8ELc78ELc78ELc85ELb0ELb0E19rocblas_complex_numIdEPKS1_PKS3_PKPS1_EviT_T9_T10_S9_lSB_S9_lSA_T11_S9_li,comdat
	.globl	_ZL29rocblas_internal_gemmt_kernelIlLi16ELi32ELi8ELc78ELc78ELc85ELb0ELb0E19rocblas_complex_numIdEPKS1_PKS3_PKPS1_EviT_T9_T10_S9_lSB_S9_lSA_T11_S9_li ; -- Begin function _ZL29rocblas_internal_gemmt_kernelIlLi16ELi32ELi8ELc78ELc78ELc85ELb0ELb0E19rocblas_complex_numIdEPKS1_PKS3_PKPS1_EviT_T9_T10_S9_lSB_S9_lSA_T11_S9_li
	.p2align	8
	.type	_ZL29rocblas_internal_gemmt_kernelIlLi16ELi32ELi8ELc78ELc78ELc85ELb0ELb0E19rocblas_complex_numIdEPKS1_PKS3_PKPS1_EviT_T9_T10_S9_lSB_S9_lSA_T11_S9_li,@function
_ZL29rocblas_internal_gemmt_kernelIlLi16ELi32ELi8ELc78ELc78ELc85ELb0ELb0E19rocblas_complex_numIdEPKS1_PKS3_PKPS1_EviT_T9_T10_S9_lSB_S9_lSA_T11_S9_li: ; @_ZL29rocblas_internal_gemmt_kernelIlLi16ELi32ELi8ELc78ELc78ELc85ELb0ELb0E19rocblas_complex_numIdEPKS1_PKS3_PKPS1_EviT_T9_T10_S9_lSB_S9_lSA_T11_S9_li
; %bb.0:
	s_clause 0x1
	s_load_b256 s[24:31], s[0:1], 0x48
	s_load_b512 s[8:23], s[0:1], 0x8
	s_wait_kmcnt 0x0
	s_load_b128 s[36:39], s[24:25], 0x0
	s_load_b128 s[40:43], s[10:11], 0x0
	s_wait_kmcnt 0x0
	v_cmp_eq_f64_e64 s2, s[36:37], 1.0
	v_cmp_eq_f64_e64 s3, s[38:39], 0
	s_and_b32 s2, s2, s3
	s_delay_alu instid0(SALU_CYCLE_1)
	s_and_not1_b32 vcc_lo, exec_lo, s2
	s_mov_b32 s2, -1
	s_cbranch_vccnz .LBB540_3
; %bb.1:
	s_cmp_lg_u64 s[8:9], 0
	s_cbranch_scc0 .LBB540_41
; %bb.2:
	v_cmp_neq_f64_e64 s2, s[40:41], 0
	v_cmp_neq_f64_e64 s4, s[42:43], 0
	s_or_b32 s2, s2, s4
.LBB540_3:
	s_delay_alu instid0(SALU_CYCLE_1)
	s_and_b32 vcc_lo, exec_lo, s2
	s_cbranch_vccz .LBB540_42
; %bb.4:
	s_load_b32 s24, s[0:1], 0x68
	s_bfe_u32 s2, ttmp6, 0x40014
	s_lshr_b32 s4, ttmp7, 16
	s_add_co_i32 s2, s2, 1
	s_bfe_u32 s6, ttmp6, 0x40008
	s_mul_i32 s5, s4, s2
	s_getreg_b32 s2, hwreg(HW_REG_IB_STS2, 6, 4)
	s_add_co_i32 s6, s6, s5
	s_cmp_eq_u32 s2, 0
	s_mov_b32 s7, 0
	s_cselect_b32 s6, s4, s6
	s_wait_kmcnt 0x0
	s_cmp_ge_u32 s6, s24
	s_cbranch_scc1 .LBB540_42
; %bb.5:
	s_load_b32 s10, s[0:1], 0x0
	s_wait_xcnt 0x0
	s_bfe_u32 s1, ttmp6, 0x4000c
	s_bfe_u32 s25, ttmp6, 0x40010
	s_and_b32 s11, ttmp7, 0xffff
	s_add_co_i32 s1, s1, 1
	s_add_co_i32 s25, s25, 1
	v_and_b32_e32 v19, 0x3ff, v0
	v_bfe_u32 v21, v0, 10, 10
	s_and_b32 s0, ttmp6, 15
	s_bfe_u32 s33, ttmp6, 0x40004
	s_mul_i32 s1, ttmp9, s1
	s_mul_i32 s25, s11, s25
	s_add_co_i32 s0, s0, s1
	s_add_co_i32 s33, s33, s25
	s_cmp_eq_u32 s2, 0
	v_lshl_add_u32 v1, v21, 4, v19
	s_cselect_b32 s1, s11, s33
	s_cselect_b32 s0, ttmp9, s0
	s_lshl_b32 s1, s1, 5
	s_delay_alu instid0(VALU_DEP_1)
	v_dual_lshrrev_b32 v7, 3, v1 :: v_dual_bitop2_b32 v6, 7, v0 bitop3:0x40
	v_dual_lshrrev_b32 v10, 5, v1 :: v_dual_bitop2_b32 v9, 31, v1 bitop3:0x40
	v_add_nc_u32_e32 v0, s1, v21
	s_lshl_b32 s2, s0, 5
	s_delay_alu instid0(VALU_DEP_2) | instid1(SALU_CYCLE_1)
	v_dual_add_nc_u32 v2, s1, v7 :: v_dual_bitop2_b32 v8, s2, v9 bitop3:0x54
	v_cmp_neq_f64_e64 s4, s[40:41], 0
	s_delay_alu instid0(VALU_DEP_3) | instskip(SKIP_3) | instid1(VALU_DEP_4)
	v_add_nc_u32_e32 v4, 16, v0
	v_cmp_neq_f64_e64 s5, s[42:43], 0
	v_cmp_neq_f64_e64 s34, s[36:37], 0
	v_dual_ashrrev_i32 v3, 31, v2 :: v_dual_ashrrev_i32 v1, 31, v0
	v_dual_ashrrev_i32 v5, 31, v4 :: v_dual_lshlrev_b32 v11, 4, v6
	v_dual_lshlrev_b32 v9, 4, v9 :: v_dual_add_nc_u32 v18, s2, v19
	s_delay_alu instid0(VALU_DEP_3) | instskip(NEXT) | instid1(VALU_DEP_4)
	v_mul_u64_e32 v[12:13], s[20:21], v[2:3]
	v_mul_u64_e32 v[14:15], s[28:29], v[0:1]
	s_delay_alu instid0(VALU_DEP_4)
	v_mul_u64_e32 v[16:17], s[28:29], v[4:5]
	s_wait_kmcnt 0x0
	v_cmp_gt_i32_e64 s1, s10, v0
	v_cmp_le_i32_e64 s2, v18, v0
	v_add_nc_u32_e32 v20, 16, v18
	v_lshl_or_b32 v1, v7, 7, v11
	v_cmp_gt_i64_e64 s11, s[8:9], 0
	s_xor_b32 s3, s3, -1
	v_lshl_or_b32 v7, v10, 9, v9
	v_dual_ashrrev_i32 v9, 31, v8 :: v_dual_lshlrev_b32 v44, 4, v19
	v_cmp_gt_i32_e32 vcc_lo, s10, v2
	s_and_b32 s21, s1, s2
	v_ashrrev_i32_e32 v19, 31, v18
	v_cmp_le_i32_e64 s2, v20, v0
	v_cmp_gt_i32_e64 s0, s10, v8
	v_cmp_le_i32_e64 s25, s10, v8
	v_add_nc_u32_e32 v11, 0x1000, v1
	v_lshl_add_u32 v45, v21, 7, 0x1000
	v_dual_ashrrev_i32 v21, 31, v20 :: v_dual_mov_b32 v1, 0
	s_and_b32 s1, s1, s2
                                        ; implicit-def: $vgpr22_vgpr23
	s_or_b32 s33, s4, s5
	s_or_b32 s20, s34, s3
	v_cmp_gt_i32_e64 s3, s10, v4
	v_cmp_le_i32_e64 s4, v18, v4
	v_cmp_le_i32_e64 s5, v20, v4
	s_and_b32 s33, s33, s11
	s_lshl_b64 s[10:11], s[30:31], 4
	s_and_b32 s28, s3, s4
	s_and_b32 s29, s3, s5
	s_lshl_b64 s[2:3], s[22:23], 4
	s_lshl_b64 s[4:5], s[16:17], 4
	s_xor_b32 s22, vcc_lo, -1
	s_branch .LBB540_7
.LBB540_6:                              ;   in Loop: Header=BB540_7 Depth=1
	s_wait_xcnt 0x0
	s_or_b32 exec_lo, exec_lo, s16
	s_add_co_i32 s6, s6, 0x10000
	s_delay_alu instid0(SALU_CYCLE_1)
	s_cmp_lt_u32 s6, s24
	s_cbranch_scc0 .LBB540_42
.LBB540_7:                              ; =>This Loop Header: Depth=1
                                        ;     Child Loop BB540_10 Depth 2
	v_mov_b32_e32 v0, s6
	v_mov_b64_e32 v[40:41], 0
	s_and_not1_b32 vcc_lo, exec_lo, s33
	global_load_b64 v[4:5], v0, s[26:27] scale_offset
	s_cbranch_vccnz .LBB540_20
; %bb.8:                                ;   in Loop: Header=BB540_7 Depth=1
	s_lshl_b64 s[16:17], s[6:7], 3
	v_mov_b64_e32 v[24:25], 0
	s_add_nc_u64 s[30:31], s[12:13], s[16:17]
	s_add_nc_u64 s[16:17], s[18:19], s[16:17]
	s_clause 0x1
	global_load_b64 v[2:3], v1, s[30:31]
	global_load_b64 v[28:29], v1, s[16:17]
	v_mov_b64_e32 v[26:27], 0
	v_mov_b64_e32 v[34:35], 0
	;; [unrolled: 1-line block ×7, first 2 shown]
	s_wait_xcnt 0x0
	s_mov_b64 s[16:17], 0
	s_wait_loadcnt 0x1
	v_add_nc_u64_e32 v[2:3], s[4:5], v[2:3]
	s_wait_loadcnt 0x0
	v_add_nc_u64_e32 v[30:31], s[2:3], v[28:29]
	s_delay_alu instid0(VALU_DEP_2) | instskip(NEXT) | instid1(VALU_DEP_2)
	v_lshl_add_u64 v[28:29], v[8:9], 4, v[2:3]
	v_lshl_add_u64 v[30:31], v[12:13], 4, v[30:31]
	s_branch .LBB540_10
.LBB540_9:                              ;   in Loop: Header=BB540_10 Depth=2
	s_wait_xcnt 0x0
	s_or_b32 exec_lo, exec_lo, s23
	s_wait_dscnt 0x0
	s_barrier_signal -1
	s_barrier_wait -1
	ds_load_b128 v[46:49], v45
	ds_load_b128 v[50:53], v44
	ds_load_b128 v[54:57], v44 offset:256
	ds_load_b128 v[58:61], v45 offset:2048
	;; [unrolled: 1-line block ×10, first 2 shown]
	s_add_nc_u64 s[16:17], s[16:17], 8
	s_delay_alu instid0(SALU_CYCLE_1)
	v_cmp_gt_i64_e64 s23, s[8:9], s[16:17]
	s_and_b32 vcc_lo, exec_lo, s23
	s_wait_dscnt 0xa
	v_mul_f64_e32 v[2:3], v[48:49], v[52:53]
	v_mul_f64_e32 v[94:95], v[46:47], v[52:53]
	s_wait_dscnt 0x9
	v_mul_f64_e32 v[96:97], v[48:49], v[56:57]
	v_mul_f64_e32 v[98:99], v[46:47], v[56:57]
	s_wait_dscnt 0x8
	v_mul_f64_e32 v[100:101], v[60:61], v[52:53]
	v_mul_f64_e32 v[102:103], v[58:59], v[52:53]
	v_mul_f64_e32 v[52:53], v[60:61], v[56:57]
	v_mul_f64_e32 v[104:105], v[58:59], v[56:57]
	s_wait_dscnt 0x6
	v_mul_f64_e32 v[106:107], v[64:65], v[68:69]
	v_mul_f64_e32 v[108:109], v[62:63], v[68:69]
	s_wait_dscnt 0x5
	v_mul_f64_e32 v[110:111], v[64:65], v[72:73]
	v_mul_f64_e32 v[112:113], v[62:63], v[72:73]
	s_wait_dscnt 0x4
	v_mul_f64_e32 v[114:115], v[76:77], v[68:69]
	v_mul_f64_e32 v[68:69], v[74:75], v[68:69]
	v_mul_f64_e32 v[116:117], v[76:77], v[72:73]
	v_mul_f64_e32 v[72:73], v[74:75], v[72:73]
	;; [unrolled: 11-line block ×3, first 2 shown]
	v_fma_f64 v[2:3], v[46:47], v[50:51], -v[2:3]
	v_fmac_f64_e32 v[94:95], v[48:49], v[50:51]
	v_fma_f64 v[96:97], v[46:47], v[54:55], -v[96:97]
	v_fmac_f64_e32 v[98:99], v[48:49], v[54:55]
	;; [unrolled: 2-line block ×8, first 2 shown]
	ds_load_b128 v[46:49], v45 offset:48
	ds_load_b128 v[50:53], v45 offset:2096
	;; [unrolled: 1-line block ×4, first 2 shown]
	v_fma_f64 v[120:121], v[78:79], v[82:83], -v[120:121]
	v_fmac_f64_e32 v[122:123], v[80:81], v[82:83]
	v_fma_f64 v[78:79], v[78:79], v[86:87], -v[124:125]
	v_fmac_f64_e32 v[126:127], v[80:81], v[86:87]
	;; [unrolled: 2-line block ×4, first 2 shown]
	v_add_f64_e32 v[2:3], v[40:41], v[2:3]
	v_add_f64_e32 v[70:71], v[94:95], v[42:43]
	;; [unrolled: 1-line block ×8, first 2 shown]
	s_wait_dscnt 0x1
	v_mul_f64_e32 v[102:103], v[48:49], v[56:57]
	v_mul_f64_e32 v[104:105], v[46:47], v[56:57]
	s_wait_dscnt 0x0
	v_mul_f64_e32 v[110:111], v[48:49], v[60:61]
	v_mul_f64_e32 v[114:115], v[46:47], v[60:61]
	;; [unrolled: 1-line block ×6, first 2 shown]
	ds_load_b128 v[24:27], v45 offset:64
	ds_load_b128 v[32:35], v44 offset:2048
	;; [unrolled: 1-line block ×4, first 2 shown]
	v_add_f64_e32 v[2:3], v[2:3], v[106:107]
	v_add_f64_e32 v[86:87], v[108:109], v[70:71]
	;; [unrolled: 1-line block ×8, first 2 shown]
	s_wait_dscnt 0x2
	v_mul_f64_e32 v[100:101], v[26:27], v[34:35]
	v_mul_f64_e32 v[106:107], v[24:25], v[34:35]
	s_wait_dscnt 0x1
	v_mul_f64_e32 v[108:109], v[26:27], v[38:39]
	v_mul_f64_e32 v[112:113], v[24:25], v[38:39]
	;; [unrolled: 3-line block ×3, first 2 shown]
	v_mul_f64_e32 v[34:35], v[42:43], v[38:39]
	v_mul_f64_e32 v[130:131], v[40:41], v[38:39]
	v_fma_f64 v[38:39], v[46:47], v[54:55], -v[102:103]
	v_fmac_f64_e32 v[104:105], v[48:49], v[54:55]
	v_fma_f64 v[102:103], v[46:47], v[58:59], -v[110:111]
	v_fmac_f64_e32 v[114:115], v[48:49], v[58:59]
	;; [unrolled: 2-line block ×4, first 2 shown]
	ds_load_b128 v[60:63], v45 offset:80
	ds_load_b128 v[64:67], v45 offset:2128
	;; [unrolled: 1-line block ×4, first 2 shown]
	v_add_f64_e32 v[2:3], v[2:3], v[120:121]
	v_add_f64_e32 v[58:59], v[122:123], v[86:87]
	;; [unrolled: 1-line block ×8, first 2 shown]
	v_fma_f64 v[100:101], v[24:25], v[32:33], -v[100:101]
	v_fmac_f64_e32 v[106:107], v[26:27], v[32:33]
	v_fma_f64 v[108:109], v[24:25], v[36:37], -v[108:109]
	s_wait_dscnt 0x1
	v_mul_f64_e32 v[92:93], v[62:63], v[70:71]
	v_mul_f64_e32 v[94:95], v[60:61], v[70:71]
	s_wait_dscnt 0x0
	v_mul_f64_e32 v[96:97], v[62:63], v[74:75]
	v_mul_f64_e32 v[98:99], v[60:61], v[74:75]
	;; [unrolled: 1-line block ×6, first 2 shown]
	v_fmac_f64_e32 v[112:113], v[26:27], v[36:37]
	v_fma_f64 v[124:125], v[40:41], v[32:33], -v[124:125]
	v_fmac_f64_e32 v[128:129], v[42:43], v[32:33]
	v_fma_f64 v[126:127], v[40:41], v[36:37], -v[34:35]
	v_fmac_f64_e32 v[130:131], v[42:43], v[36:37]
	ds_load_b128 v[46:49], v45 offset:96
	ds_load_b128 v[50:53], v44 offset:3072
	;; [unrolled: 1-line block ×4, first 2 shown]
	v_add_f64_e32 v[2:3], v[2:3], v[38:39]
	v_add_f64_e32 v[58:59], v[104:105], v[58:59]
	;; [unrolled: 1-line block ×8, first 2 shown]
	ds_load_b128 v[24:27], v45 offset:112
	ds_load_b128 v[32:35], v45 offset:2160
	;; [unrolled: 1-line block ×4, first 2 shown]
	s_wait_dscnt 0x0
	v_mul_f64_e32 v[102:103], v[48:49], v[52:53]
	v_mul_f64_e32 v[104:105], v[46:47], v[52:53]
	;; [unrolled: 1-line block ×8, first 2 shown]
	v_fma_f64 v[92:93], v[60:61], v[68:69], -v[92:93]
	v_fmac_f64_e32 v[94:95], v[62:63], v[68:69]
	v_fma_f64 v[60:61], v[60:61], v[72:73], -v[96:97]
	v_fmac_f64_e32 v[98:99], v[62:63], v[72:73]
	;; [unrolled: 2-line block ×4, first 2 shown]
	s_barrier_signal -1
	s_barrier_wait -1
	v_mul_f64_e32 v[96:97], v[24:25], v[42:43]
	v_add_f64_e32 v[2:3], v[2:3], v[100:101]
	v_add_f64_e32 v[58:59], v[106:107], v[58:59]
	;; [unrolled: 1-line block ×8, first 2 shown]
	v_mul_f64_e32 v[86:87], v[26:27], v[38:39]
	v_mul_f64_e32 v[88:89], v[24:25], v[38:39]
	;; [unrolled: 1-line block ×7, first 2 shown]
	v_fma_f64 v[42:43], v[46:47], v[50:51], -v[102:103]
	v_fmac_f64_e32 v[104:105], v[48:49], v[50:51]
	v_fma_f64 v[46:47], v[46:47], v[54:55], -v[110:111]
	v_fmac_f64_e32 v[114:115], v[48:49], v[54:55]
	;; [unrolled: 2-line block ×4, first 2 shown]
	v_fmac_f64_e32 v[96:97], v[26:27], v[40:41]
	v_add_f64_e32 v[2:3], v[2:3], v[92:93]
	v_add_f64_e32 v[54:55], v[94:95], v[58:59]
	;; [unrolled: 1-line block ×8, first 2 shown]
	v_fma_f64 v[70:71], v[24:25], v[36:37], -v[86:87]
	v_fmac_f64_e32 v[88:89], v[26:27], v[36:37]
	v_fma_f64 v[24:25], v[24:25], v[40:41], -v[90:91]
	v_fma_f64 v[26:27], v[32:33], v[36:37], -v[100:101]
	v_fmac_f64_e32 v[106:107], v[34:35], v[36:37]
	v_fma_f64 v[72:73], v[32:33], v[40:41], -v[38:39]
	v_fmac_f64_e32 v[108:109], v[34:35], v[40:41]
	v_add_f64_e32 v[2:3], v[2:3], v[42:43]
	v_add_f64_e32 v[32:33], v[104:105], v[54:55]
	;; [unrolled: 1-line block ×16, first 2 shown]
	s_cbranch_vccz .LBB540_21
.LBB540_10:                             ;   Parent Loop BB540_7 Depth=1
                                        ; =>  This Inner Loop Header: Depth=2
	s_mov_b32 s23, 0
	s_mov_b32 s31, s25
	s_and_saveexec_b32 s30, s0
	s_cbranch_execnz .LBB540_18
; %bb.11:                               ;   in Loop: Header=BB540_10 Depth=2
	s_or_b32 exec_lo, exec_lo, s30
	s_and_saveexec_b32 s30, s31
	s_delay_alu instid0(SALU_CYCLE_1)
	s_xor_b32 s30, exec_lo, s30
	s_cbranch_execnz .LBB540_19
.LBB540_12:                             ;   in Loop: Header=BB540_10 Depth=2
	s_or_b32 exec_lo, exec_lo, s30
	s_and_saveexec_b32 s30, s23
	s_cbranch_execz .LBB540_14
.LBB540_13:                             ;   in Loop: Header=BB540_10 Depth=2
	v_mul_u64_e32 v[2:3], s[14:15], v[22:23]
	s_delay_alu instid0(VALU_DEP_1)
	v_lshl_add_u64 v[2:3], v[2:3], 4, v[28:29]
	flat_load_b128 v[46:49], v[2:3]
	s_wait_loadcnt_dscnt 0x0
	ds_store_2addr_b64 v7, v[46:47], v[48:49] offset1:1
.LBB540_14:                             ;   in Loop: Header=BB540_10 Depth=2
	s_wait_xcnt 0x0
	s_or_b32 exec_lo, exec_lo, s30
	v_add_nc_u32_e32 v0, s16, v6
	s_delay_alu instid0(VALU_DEP_1) | instskip(SKIP_1) | instid1(SALU_CYCLE_1)
	v_cmp_le_u64_e32 vcc_lo, s[8:9], v[0:1]
	s_or_b32 s23, vcc_lo, s22
	s_and_saveexec_b32 s30, s23
	s_delay_alu instid0(SALU_CYCLE_1)
	s_xor_b32 s23, exec_lo, s30
; %bb.15:                               ;   in Loop: Header=BB540_10 Depth=2
	v_dual_mov_b32 v0, v1 :: v_dual_mov_b32 v2, v1
	v_mov_b32_e32 v3, v1
	ds_store_b128 v11, v[0:3]
; %bb.16:                               ;   in Loop: Header=BB540_10 Depth=2
	s_and_not1_saveexec_b32 s23, s23
	s_cbranch_execz .LBB540_9
; %bb.17:                               ;   in Loop: Header=BB540_10 Depth=2
	v_lshl_add_u64 v[2:3], v[0:1], 4, v[30:31]
	flat_load_b128 v[46:49], v[2:3]
	s_wait_loadcnt_dscnt 0x0
	ds_store_2addr_b64 v11, v[46:47], v[48:49] offset1:1
	s_branch .LBB540_9
.LBB540_18:                             ;   in Loop: Header=BB540_10 Depth=2
	v_add_nc_u32_e32 v0, s16, v10
	s_and_not1_b32 s31, s25, exec_lo
	s_mov_b32 s23, exec_lo
	s_delay_alu instid0(VALU_DEP_1) | instskip(SKIP_2) | instid1(SALU_CYCLE_1)
	v_cmp_le_u64_e32 vcc_lo, s[8:9], v[0:1]
	v_mov_b64_e32 v[22:23], v[0:1]
	s_and_b32 s34, vcc_lo, exec_lo
	s_or_b32 s31, s31, s34
	s_or_b32 exec_lo, exec_lo, s30
	s_and_saveexec_b32 s30, s31
	s_delay_alu instid0(SALU_CYCLE_1)
	s_xor_b32 s30, exec_lo, s30
	s_cbranch_execz .LBB540_12
.LBB540_19:                             ;   in Loop: Header=BB540_10 Depth=2
	v_dual_mov_b32 v0, v1 :: v_dual_mov_b32 v2, v1
	v_mov_b32_e32 v3, v1
	s_and_not1_b32 s23, s23, exec_lo
	ds_store_b128 v7, v[0:3]
	s_or_b32 exec_lo, exec_lo, s30
	s_and_saveexec_b32 s30, s23
	s_cbranch_execnz .LBB540_13
	s_branch .LBB540_14
.LBB540_20:                             ;   in Loop: Header=BB540_7 Depth=1
	v_mov_b64_e32 v[42:43], 0
	v_mov_b64_e32 v[36:37], 0
	v_mov_b64_e32 v[38:39], 0
	v_mov_b64_e32 v[32:33], 0
	v_mov_b64_e32 v[34:35], 0
	v_mov_b64_e32 v[26:27], 0
	v_mov_b64_e32 v[24:25], 0
.LBB540_21:                             ;   in Loop: Header=BB540_7 Depth=1
	s_wait_loadcnt 0x0
	v_add_nc_u64_e32 v[28:29], s[10:11], v[4:5]
	s_delay_alu instid0(VALU_DEP_1)
	v_lshl_add_u64 v[30:31], v[14:15], 4, v[28:29]
	s_wait_xcnt 0x0
	s_and_saveexec_b32 s16, s21
	s_cbranch_execz .LBB540_26
; %bb.22:                               ;   in Loop: Header=BB540_7 Depth=1
	v_mul_f64_e32 v[2:3], s[42:43], v[42:43]
	v_mul_f64_e32 v[4:5], s[40:41], v[42:43]
	s_and_b32 vcc_lo, exec_lo, s20
	s_mov_b32 s17, -1
	s_delay_alu instid0(VALU_DEP_2) | instskip(NEXT) | instid1(VALU_DEP_2)
	v_fma_f64 v[2:3], s[40:41], v[40:41], -v[2:3]
	v_fmac_f64_e32 v[4:5], s[42:43], v[40:41]
	v_lshl_add_u64 v[40:41], v[18:19], 4, v[30:31]
	s_cbranch_vccz .LBB540_24
; %bb.23:                               ;   in Loop: Header=BB540_7 Depth=1
	flat_load_b128 v[46:49], v[40:41]
	s_mov_b32 s17, 0
	s_wait_loadcnt_dscnt 0x0
	v_mul_f64_e32 v[42:43], s[38:39], v[48:49]
	v_mul_f64_e32 v[48:49], s[36:37], v[48:49]
	s_delay_alu instid0(VALU_DEP_2) | instskip(NEXT) | instid1(VALU_DEP_2)
	v_fma_f64 v[42:43], s[36:37], v[46:47], -v[42:43]
	v_fmac_f64_e32 v[48:49], s[38:39], v[46:47]
	s_delay_alu instid0(VALU_DEP_2) | instskip(NEXT) | instid1(VALU_DEP_2)
	v_add_f64_e32 v[46:47], v[2:3], v[42:43]
	v_add_f64_e32 v[48:49], v[4:5], v[48:49]
	flat_store_b128 v[40:41], v[46:49]
.LBB540_24:                             ;   in Loop: Header=BB540_7 Depth=1
	s_and_not1_b32 vcc_lo, exec_lo, s17
	s_cbranch_vccnz .LBB540_26
; %bb.25:                               ;   in Loop: Header=BB540_7 Depth=1
	flat_store_b128 v[40:41], v[2:5]
.LBB540_26:                             ;   in Loop: Header=BB540_7 Depth=1
	s_wait_xcnt 0x0
	s_or_b32 exec_lo, exec_lo, s16
	s_and_saveexec_b32 s16, s1
	s_cbranch_execz .LBB540_31
; %bb.27:                               ;   in Loop: Header=BB540_7 Depth=1
	v_mul_f64_e32 v[2:3], s[42:43], v[38:39]
	v_mul_f64_e32 v[4:5], s[40:41], v[38:39]
	v_lshl_add_u64 v[30:31], v[20:21], 4, v[30:31]
	s_and_not1_b32 vcc_lo, exec_lo, s20
	s_mov_b32 s17, -1
	s_delay_alu instid0(VALU_DEP_3) | instskip(NEXT) | instid1(VALU_DEP_3)
	v_fma_f64 v[2:3], s[40:41], v[36:37], -v[2:3]
	v_fmac_f64_e32 v[4:5], s[42:43], v[36:37]
	s_cbranch_vccnz .LBB540_29
; %bb.28:                               ;   in Loop: Header=BB540_7 Depth=1
	flat_load_b128 v[36:39], v[30:31]
	s_mov_b32 s17, 0
	s_wait_loadcnt_dscnt 0x0
	v_mul_f64_e32 v[40:41], s[38:39], v[38:39]
	v_mul_f64_e32 v[38:39], s[36:37], v[38:39]
	s_delay_alu instid0(VALU_DEP_2) | instskip(NEXT) | instid1(VALU_DEP_2)
	v_fma_f64 v[40:41], s[36:37], v[36:37], -v[40:41]
	v_fmac_f64_e32 v[38:39], s[38:39], v[36:37]
	s_delay_alu instid0(VALU_DEP_2) | instskip(NEXT) | instid1(VALU_DEP_2)
	v_add_f64_e32 v[36:37], v[2:3], v[40:41]
	v_add_f64_e32 v[38:39], v[4:5], v[38:39]
	flat_store_b128 v[30:31], v[36:39]
.LBB540_29:                             ;   in Loop: Header=BB540_7 Depth=1
	s_and_not1_b32 vcc_lo, exec_lo, s17
	s_cbranch_vccnz .LBB540_31
; %bb.30:                               ;   in Loop: Header=BB540_7 Depth=1
	flat_store_b128 v[30:31], v[2:5]
.LBB540_31:                             ;   in Loop: Header=BB540_7 Depth=1
	s_wait_xcnt 0x0
	s_or_b32 exec_lo, exec_lo, s16
	v_lshl_add_u64 v[28:29], v[16:17], 4, v[28:29]
	s_and_saveexec_b32 s16, s28
	s_cbranch_execz .LBB540_36
; %bb.32:                               ;   in Loop: Header=BB540_7 Depth=1
	v_mul_f64_e32 v[2:3], s[42:43], v[34:35]
	v_mul_f64_e32 v[4:5], s[40:41], v[34:35]
	v_lshl_add_u64 v[30:31], v[18:19], 4, v[28:29]
	s_and_not1_b32 vcc_lo, exec_lo, s20
	s_mov_b32 s17, -1
	s_delay_alu instid0(VALU_DEP_3) | instskip(NEXT) | instid1(VALU_DEP_3)
	v_fma_f64 v[2:3], s[40:41], v[32:33], -v[2:3]
	v_fmac_f64_e32 v[4:5], s[42:43], v[32:33]
	s_cbranch_vccnz .LBB540_34
; %bb.33:                               ;   in Loop: Header=BB540_7 Depth=1
	flat_load_b128 v[32:35], v[30:31]
	s_mov_b32 s17, 0
	s_wait_loadcnt_dscnt 0x0
	v_mul_f64_e32 v[36:37], s[38:39], v[34:35]
	v_mul_f64_e32 v[34:35], s[36:37], v[34:35]
	s_delay_alu instid0(VALU_DEP_2) | instskip(NEXT) | instid1(VALU_DEP_2)
	v_fma_f64 v[36:37], s[36:37], v[32:33], -v[36:37]
	v_fmac_f64_e32 v[34:35], s[38:39], v[32:33]
	s_delay_alu instid0(VALU_DEP_2) | instskip(NEXT) | instid1(VALU_DEP_2)
	v_add_f64_e32 v[32:33], v[2:3], v[36:37]
	v_add_f64_e32 v[34:35], v[4:5], v[34:35]
	flat_store_b128 v[30:31], v[32:35]
.LBB540_34:                             ;   in Loop: Header=BB540_7 Depth=1
	s_and_not1_b32 vcc_lo, exec_lo, s17
	s_cbranch_vccnz .LBB540_36
; %bb.35:                               ;   in Loop: Header=BB540_7 Depth=1
	flat_store_b128 v[30:31], v[2:5]
.LBB540_36:                             ;   in Loop: Header=BB540_7 Depth=1
	s_wait_xcnt 0x0
	s_or_b32 exec_lo, exec_lo, s16
	s_and_saveexec_b32 s16, s29
	s_cbranch_execz .LBB540_6
; %bb.37:                               ;   in Loop: Header=BB540_7 Depth=1
	s_delay_alu instid0(VALU_DEP_4) | instskip(SKIP_4) | instid1(VALU_DEP_3)
	v_mul_f64_e32 v[2:3], s[42:43], v[24:25]
	v_mul_f64_e32 v[4:5], s[40:41], v[24:25]
	v_lshl_add_u64 v[24:25], v[20:21], 4, v[28:29]
	s_and_not1_b32 vcc_lo, exec_lo, s20
	s_mov_b32 s17, -1
	v_fma_f64 v[2:3], s[40:41], v[26:27], -v[2:3]
	s_delay_alu instid0(VALU_DEP_3)
	v_fmac_f64_e32 v[4:5], s[42:43], v[26:27]
	s_cbranch_vccnz .LBB540_39
; %bb.38:                               ;   in Loop: Header=BB540_7 Depth=1
	flat_load_b128 v[26:29], v[24:25]
	s_mov_b32 s17, 0
	s_wait_loadcnt_dscnt 0x0
	v_mul_f64_e32 v[30:31], s[38:39], v[28:29]
	v_mul_f64_e32 v[28:29], s[36:37], v[28:29]
	s_delay_alu instid0(VALU_DEP_2) | instskip(NEXT) | instid1(VALU_DEP_2)
	v_fma_f64 v[30:31], s[36:37], v[26:27], -v[30:31]
	v_fmac_f64_e32 v[28:29], s[38:39], v[26:27]
	s_delay_alu instid0(VALU_DEP_2) | instskip(NEXT) | instid1(VALU_DEP_2)
	v_add_f64_e32 v[26:27], v[2:3], v[30:31]
	v_add_f64_e32 v[28:29], v[4:5], v[28:29]
	flat_store_b128 v[24:25], v[26:29]
.LBB540_39:                             ;   in Loop: Header=BB540_7 Depth=1
	s_and_not1_b32 vcc_lo, exec_lo, s17
	s_cbranch_vccnz .LBB540_6
; %bb.40:                               ;   in Loop: Header=BB540_7 Depth=1
	flat_store_b128 v[24:25], v[2:5]
	s_branch .LBB540_6
.LBB540_41:
.LBB540_42:
	s_sendmsg sendmsg(MSG_DEALLOC_VGPRS)
	s_endpgm
	.section	.rodata,"a",@progbits
	.p2align	6, 0x0
	.amdhsa_kernel _ZL29rocblas_internal_gemmt_kernelIlLi16ELi32ELi8ELc78ELc78ELc85ELb0ELb0E19rocblas_complex_numIdEPKS1_PKS3_PKPS1_EviT_T9_T10_S9_lSB_S9_lSA_T11_S9_li
		.amdhsa_group_segment_fixed_size 8192
		.amdhsa_private_segment_fixed_size 0
		.amdhsa_kernarg_size 108
		.amdhsa_user_sgpr_count 2
		.amdhsa_user_sgpr_dispatch_ptr 0
		.amdhsa_user_sgpr_queue_ptr 0
		.amdhsa_user_sgpr_kernarg_segment_ptr 1
		.amdhsa_user_sgpr_dispatch_id 0
		.amdhsa_user_sgpr_kernarg_preload_length 0
		.amdhsa_user_sgpr_kernarg_preload_offset 0
		.amdhsa_user_sgpr_private_segment_size 0
		.amdhsa_wavefront_size32 1
		.amdhsa_uses_dynamic_stack 0
		.amdhsa_enable_private_segment 0
		.amdhsa_system_sgpr_workgroup_id_x 1
		.amdhsa_system_sgpr_workgroup_id_y 1
		.amdhsa_system_sgpr_workgroup_id_z 1
		.amdhsa_system_sgpr_workgroup_info 0
		.amdhsa_system_vgpr_workitem_id 1
		.amdhsa_next_free_vgpr 134
		.amdhsa_next_free_sgpr 44
		.amdhsa_named_barrier_count 0
		.amdhsa_reserve_vcc 1
		.amdhsa_float_round_mode_32 0
		.amdhsa_float_round_mode_16_64 0
		.amdhsa_float_denorm_mode_32 3
		.amdhsa_float_denorm_mode_16_64 3
		.amdhsa_fp16_overflow 0
		.amdhsa_memory_ordered 1
		.amdhsa_forward_progress 1
		.amdhsa_inst_pref_size 24
		.amdhsa_round_robin_scheduling 0
		.amdhsa_exception_fp_ieee_invalid_op 0
		.amdhsa_exception_fp_denorm_src 0
		.amdhsa_exception_fp_ieee_div_zero 0
		.amdhsa_exception_fp_ieee_overflow 0
		.amdhsa_exception_fp_ieee_underflow 0
		.amdhsa_exception_fp_ieee_inexact 0
		.amdhsa_exception_int_div_zero 0
	.end_amdhsa_kernel
	.section	.text._ZL29rocblas_internal_gemmt_kernelIlLi16ELi32ELi8ELc78ELc78ELc85ELb0ELb0E19rocblas_complex_numIdEPKS1_PKS3_PKPS1_EviT_T9_T10_S9_lSB_S9_lSA_T11_S9_li,"axG",@progbits,_ZL29rocblas_internal_gemmt_kernelIlLi16ELi32ELi8ELc78ELc78ELc85ELb0ELb0E19rocblas_complex_numIdEPKS1_PKS3_PKPS1_EviT_T9_T10_S9_lSB_S9_lSA_T11_S9_li,comdat
.Lfunc_end540:
	.size	_ZL29rocblas_internal_gemmt_kernelIlLi16ELi32ELi8ELc78ELc78ELc85ELb0ELb0E19rocblas_complex_numIdEPKS1_PKS3_PKPS1_EviT_T9_T10_S9_lSB_S9_lSA_T11_S9_li, .Lfunc_end540-_ZL29rocblas_internal_gemmt_kernelIlLi16ELi32ELi8ELc78ELc78ELc85ELb0ELb0E19rocblas_complex_numIdEPKS1_PKS3_PKPS1_EviT_T9_T10_S9_lSB_S9_lSA_T11_S9_li
                                        ; -- End function
	.set _ZL29rocblas_internal_gemmt_kernelIlLi16ELi32ELi8ELc78ELc78ELc85ELb0ELb0E19rocblas_complex_numIdEPKS1_PKS3_PKPS1_EviT_T9_T10_S9_lSB_S9_lSA_T11_S9_li.num_vgpr, 134
	.set _ZL29rocblas_internal_gemmt_kernelIlLi16ELi32ELi8ELc78ELc78ELc85ELb0ELb0E19rocblas_complex_numIdEPKS1_PKS3_PKPS1_EviT_T9_T10_S9_lSB_S9_lSA_T11_S9_li.num_agpr, 0
	.set _ZL29rocblas_internal_gemmt_kernelIlLi16ELi32ELi8ELc78ELc78ELc85ELb0ELb0E19rocblas_complex_numIdEPKS1_PKS3_PKPS1_EviT_T9_T10_S9_lSB_S9_lSA_T11_S9_li.numbered_sgpr, 44
	.set _ZL29rocblas_internal_gemmt_kernelIlLi16ELi32ELi8ELc78ELc78ELc85ELb0ELb0E19rocblas_complex_numIdEPKS1_PKS3_PKPS1_EviT_T9_T10_S9_lSB_S9_lSA_T11_S9_li.num_named_barrier, 0
	.set _ZL29rocblas_internal_gemmt_kernelIlLi16ELi32ELi8ELc78ELc78ELc85ELb0ELb0E19rocblas_complex_numIdEPKS1_PKS3_PKPS1_EviT_T9_T10_S9_lSB_S9_lSA_T11_S9_li.private_seg_size, 0
	.set _ZL29rocblas_internal_gemmt_kernelIlLi16ELi32ELi8ELc78ELc78ELc85ELb0ELb0E19rocblas_complex_numIdEPKS1_PKS3_PKPS1_EviT_T9_T10_S9_lSB_S9_lSA_T11_S9_li.uses_vcc, 1
	.set _ZL29rocblas_internal_gemmt_kernelIlLi16ELi32ELi8ELc78ELc78ELc85ELb0ELb0E19rocblas_complex_numIdEPKS1_PKS3_PKPS1_EviT_T9_T10_S9_lSB_S9_lSA_T11_S9_li.uses_flat_scratch, 0
	.set _ZL29rocblas_internal_gemmt_kernelIlLi16ELi32ELi8ELc78ELc78ELc85ELb0ELb0E19rocblas_complex_numIdEPKS1_PKS3_PKPS1_EviT_T9_T10_S9_lSB_S9_lSA_T11_S9_li.has_dyn_sized_stack, 0
	.set _ZL29rocblas_internal_gemmt_kernelIlLi16ELi32ELi8ELc78ELc78ELc85ELb0ELb0E19rocblas_complex_numIdEPKS1_PKS3_PKPS1_EviT_T9_T10_S9_lSB_S9_lSA_T11_S9_li.has_recursion, 0
	.set _ZL29rocblas_internal_gemmt_kernelIlLi16ELi32ELi8ELc78ELc78ELc85ELb0ELb0E19rocblas_complex_numIdEPKS1_PKS3_PKPS1_EviT_T9_T10_S9_lSB_S9_lSA_T11_S9_li.has_indirect_call, 0
	.section	.AMDGPU.csdata,"",@progbits
; Kernel info:
; codeLenInByte = 3036
; TotalNumSgprs: 46
; NumVgprs: 134
; ScratchSize: 0
; MemoryBound: 0
; FloatMode: 240
; IeeeMode: 1
; LDSByteSize: 8192 bytes/workgroup (compile time only)
; SGPRBlocks: 0
; VGPRBlocks: 8
; NumSGPRsForWavesPerEU: 46
; NumVGPRsForWavesPerEU: 134
; NamedBarCnt: 0
; Occupancy: 7
; WaveLimiterHint : 1
; COMPUTE_PGM_RSRC2:SCRATCH_EN: 0
; COMPUTE_PGM_RSRC2:USER_SGPR: 2
; COMPUTE_PGM_RSRC2:TRAP_HANDLER: 0
; COMPUTE_PGM_RSRC2:TGID_X_EN: 1
; COMPUTE_PGM_RSRC2:TGID_Y_EN: 1
; COMPUTE_PGM_RSRC2:TGID_Z_EN: 1
; COMPUTE_PGM_RSRC2:TIDIG_COMP_CNT: 1
	.section	.text._ZL29rocblas_internal_gemmt_kernelIlLi16ELi32ELi8ELc78ELc84ELc85ELb0ELb0E19rocblas_complex_numIdEPKS1_PKS3_PKPS1_EviT_T9_T10_S9_lSB_S9_lSA_T11_S9_li,"axG",@progbits,_ZL29rocblas_internal_gemmt_kernelIlLi16ELi32ELi8ELc78ELc84ELc85ELb0ELb0E19rocblas_complex_numIdEPKS1_PKS3_PKPS1_EviT_T9_T10_S9_lSB_S9_lSA_T11_S9_li,comdat
	.globl	_ZL29rocblas_internal_gemmt_kernelIlLi16ELi32ELi8ELc78ELc84ELc85ELb0ELb0E19rocblas_complex_numIdEPKS1_PKS3_PKPS1_EviT_T9_T10_S9_lSB_S9_lSA_T11_S9_li ; -- Begin function _ZL29rocblas_internal_gemmt_kernelIlLi16ELi32ELi8ELc78ELc84ELc85ELb0ELb0E19rocblas_complex_numIdEPKS1_PKS3_PKPS1_EviT_T9_T10_S9_lSB_S9_lSA_T11_S9_li
	.p2align	8
	.type	_ZL29rocblas_internal_gemmt_kernelIlLi16ELi32ELi8ELc78ELc84ELc85ELb0ELb0E19rocblas_complex_numIdEPKS1_PKS3_PKPS1_EviT_T9_T10_S9_lSB_S9_lSA_T11_S9_li,@function
_ZL29rocblas_internal_gemmt_kernelIlLi16ELi32ELi8ELc78ELc84ELc85ELb0ELb0E19rocblas_complex_numIdEPKS1_PKS3_PKPS1_EviT_T9_T10_S9_lSB_S9_lSA_T11_S9_li: ; @_ZL29rocblas_internal_gemmt_kernelIlLi16ELi32ELi8ELc78ELc84ELc85ELb0ELb0E19rocblas_complex_numIdEPKS1_PKS3_PKPS1_EviT_T9_T10_S9_lSB_S9_lSA_T11_S9_li
; %bb.0:
	s_clause 0x1
	s_load_b256 s[24:31], s[0:1], 0x48
	s_load_b512 s[8:23], s[0:1], 0x8
	s_wait_kmcnt 0x0
	s_load_b128 s[36:39], s[24:25], 0x0
	s_load_b128 s[40:43], s[10:11], 0x0
	s_wait_kmcnt 0x0
	v_cmp_eq_f64_e64 s2, s[36:37], 1.0
	v_cmp_eq_f64_e64 s3, s[38:39], 0
	s_and_b32 s2, s2, s3
	s_delay_alu instid0(SALU_CYCLE_1)
	s_and_not1_b32 vcc_lo, exec_lo, s2
	s_mov_b32 s2, -1
	s_cbranch_vccnz .LBB541_3
; %bb.1:
	s_cmp_lg_u64 s[8:9], 0
	s_cbranch_scc0 .LBB541_41
; %bb.2:
	v_cmp_neq_f64_e64 s2, s[40:41], 0
	v_cmp_neq_f64_e64 s4, s[42:43], 0
	s_or_b32 s2, s2, s4
.LBB541_3:
	s_delay_alu instid0(SALU_CYCLE_1)
	s_and_b32 vcc_lo, exec_lo, s2
	s_cbranch_vccz .LBB541_42
; %bb.4:
	s_load_b32 s24, s[0:1], 0x68
	s_bfe_u32 s2, ttmp6, 0x40014
	s_lshr_b32 s4, ttmp7, 16
	s_add_co_i32 s2, s2, 1
	s_bfe_u32 s6, ttmp6, 0x40008
	s_mul_i32 s5, s4, s2
	s_getreg_b32 s2, hwreg(HW_REG_IB_STS2, 6, 4)
	s_add_co_i32 s6, s6, s5
	s_cmp_eq_u32 s2, 0
	s_mov_b32 s7, 0
	s_cselect_b32 s6, s4, s6
	s_wait_kmcnt 0x0
	s_cmp_ge_u32 s6, s24
	s_cbranch_scc1 .LBB541_42
; %bb.5:
	s_load_b32 s10, s[0:1], 0x0
	s_wait_xcnt 0x0
	s_bfe_u32 s1, ttmp6, 0x4000c
	s_bfe_u32 s25, ttmp6, 0x40010
	s_and_b32 s11, ttmp7, 0xffff
	s_add_co_i32 s1, s1, 1
	s_add_co_i32 s25, s25, 1
	v_and_b32_e32 v4, 0x3ff, v0
	v_bfe_u32 v5, v0, 10, 10
	s_and_b32 s0, ttmp6, 15
	s_bfe_u32 s33, ttmp6, 0x40004
	s_mul_i32 s1, ttmp9, s1
	s_mul_i32 s25, s11, s25
	s_add_co_i32 s0, s0, s1
	s_add_co_i32 s33, s33, s25
	s_cmp_eq_u32 s2, 0
	v_lshl_add_u32 v1, v5, 4, v4
	s_cselect_b32 s1, s11, s33
	s_cselect_b32 s0, ttmp9, s0
	s_lshl_b32 s1, s1, 5
	s_delay_alu instid0(VALU_DEP_1)
	v_dual_lshrrev_b32 v7, 3, v1 :: v_dual_bitop2_b32 v6, 7, v0 bitop3:0x40
	v_dual_lshrrev_b32 v10, 5, v1 :: v_dual_bitop2_b32 v9, 31, v1 bitop3:0x40
	v_add_nc_u32_e32 v0, s1, v5
	s_lshl_b32 s2, s0, 5
	s_delay_alu instid0(VALU_DEP_2) | instid1(SALU_CYCLE_1)
	v_dual_add_nc_u32 v12, s1, v7 :: v_dual_bitop2_b32 v8, s2, v9 bitop3:0x54
	v_cmp_neq_f64_e64 s4, s[40:41], 0
	s_delay_alu instid0(VALU_DEP_3) | instskip(SKIP_3) | instid1(VALU_DEP_4)
	v_add_nc_u32_e32 v2, 16, v0
	v_cmp_neq_f64_e64 s5, s[42:43], 0
	v_cmp_neq_f64_e64 s34, s[36:37], 0
	v_dual_lshlrev_b32 v11, 4, v6 :: v_dual_ashrrev_i32 v1, 31, v0
	v_dual_ashrrev_i32 v3, 31, v2 :: v_dual_lshlrev_b32 v9, 4, v9
	v_dual_add_nc_u32 v18, s2, v4 :: v_dual_lshlrev_b32 v44, 4, v4
	s_delay_alu instid0(VALU_DEP_3) | instskip(NEXT) | instid1(VALU_DEP_3)
	v_mul_u64_e32 v[14:15], s[28:29], v[0:1]
	v_mul_u64_e32 v[16:17], s[28:29], v[2:3]
	v_lshl_or_b32 v11, v7, 7, v11
	v_lshl_or_b32 v7, v10, 9, v9
	v_dual_ashrrev_i32 v9, 31, v8 :: v_dual_add_nc_u32 v20, 16, v18
	s_wait_kmcnt 0x0
	v_cmp_gt_i32_e64 s1, s10, v0
	v_cmp_le_i32_e64 s2, v18, v0
	v_cmp_gt_i64_e64 s11, s[8:9], 0
	s_xor_b32 s3, s3, -1
	v_cmp_gt_i32_e32 vcc_lo, s10, v12
	v_cmp_gt_i32_e64 s0, s10, v8
	s_and_b32 s29, s1, s2
	v_cmp_le_i32_e64 s2, v20, v0
	v_cmp_le_i32_e64 s25, s10, v8
	v_add_nc_u32_e32 v11, 0x1000, v11
	v_dual_ashrrev_i32 v13, 31, v12 :: v_dual_ashrrev_i32 v19, 31, v18
	v_lshl_add_u32 v45, v5, 7, 0x1000
	v_dual_ashrrev_i32 v21, 31, v20 :: v_dual_mov_b32 v1, 0
	s_and_b32 s1, s1, s2
                                        ; implicit-def: $vgpr22_vgpr23
	s_or_b32 s35, s4, s5
	s_or_b32 s28, s34, s3
	v_cmp_gt_i32_e64 s3, s10, v2
	v_cmp_le_i32_e64 s4, v18, v2
	v_cmp_le_i32_e64 s5, v20, v2
	s_and_b32 s35, s35, s11
	s_lshl_b64 s[10:11], s[30:31], 4
	s_and_b32 s33, s3, s4
	s_and_b32 s34, s3, s5
	s_lshl_b64 s[2:3], s[22:23], 4
	s_lshl_b64 s[4:5], s[16:17], 4
	s_xor_b32 s22, vcc_lo, -1
	s_branch .LBB541_7
.LBB541_6:                              ;   in Loop: Header=BB541_7 Depth=1
	s_wait_xcnt 0x0
	s_or_b32 exec_lo, exec_lo, s16
	s_add_co_i32 s6, s6, 0x10000
	s_delay_alu instid0(SALU_CYCLE_1)
	s_cmp_lt_u32 s6, s24
	s_cbranch_scc0 .LBB541_42
.LBB541_7:                              ; =>This Loop Header: Depth=1
                                        ;     Child Loop BB541_10 Depth 2
	v_mov_b32_e32 v0, s6
	v_mov_b64_e32 v[40:41], 0
	s_and_not1_b32 vcc_lo, exec_lo, s35
	global_load_b64 v[4:5], v0, s[26:27] scale_offset
	s_cbranch_vccnz .LBB541_20
; %bb.8:                                ;   in Loop: Header=BB541_7 Depth=1
	s_lshl_b64 s[16:17], s[6:7], 3
	v_mov_b64_e32 v[24:25], 0
	s_add_nc_u64 s[30:31], s[12:13], s[16:17]
	s_add_nc_u64 s[16:17], s[18:19], s[16:17]
	s_clause 0x1
	global_load_b64 v[2:3], v1, s[30:31]
	global_load_b64 v[28:29], v1, s[16:17]
	v_mov_b64_e32 v[26:27], 0
	v_mov_b64_e32 v[34:35], 0
	;; [unrolled: 1-line block ×7, first 2 shown]
	s_wait_xcnt 0x0
	s_mov_b64 s[16:17], 0
	s_wait_loadcnt 0x1
	v_add_nc_u64_e32 v[2:3], s[4:5], v[2:3]
	s_wait_loadcnt 0x0
	v_add_nc_u64_e32 v[30:31], s[2:3], v[28:29]
	s_delay_alu instid0(VALU_DEP_2) | instskip(NEXT) | instid1(VALU_DEP_2)
	v_lshl_add_u64 v[28:29], v[8:9], 4, v[2:3]
	v_lshl_add_u64 v[30:31], v[12:13], 4, v[30:31]
	s_branch .LBB541_10
.LBB541_9:                              ;   in Loop: Header=BB541_10 Depth=2
	s_wait_xcnt 0x0
	s_or_b32 exec_lo, exec_lo, s23
	s_wait_dscnt 0x0
	s_barrier_signal -1
	s_barrier_wait -1
	ds_load_b128 v[46:49], v45
	ds_load_b128 v[50:53], v44
	ds_load_b128 v[54:57], v44 offset:256
	ds_load_b128 v[58:61], v45 offset:2048
	;; [unrolled: 1-line block ×10, first 2 shown]
	s_add_nc_u64 s[16:17], s[16:17], 8
	s_delay_alu instid0(SALU_CYCLE_1)
	v_cmp_gt_i64_e64 s23, s[8:9], s[16:17]
	s_and_b32 vcc_lo, exec_lo, s23
	s_wait_dscnt 0xa
	v_mul_f64_e32 v[2:3], v[48:49], v[52:53]
	v_mul_f64_e32 v[94:95], v[46:47], v[52:53]
	s_wait_dscnt 0x9
	v_mul_f64_e32 v[96:97], v[48:49], v[56:57]
	v_mul_f64_e32 v[98:99], v[46:47], v[56:57]
	s_wait_dscnt 0x8
	v_mul_f64_e32 v[100:101], v[60:61], v[52:53]
	v_mul_f64_e32 v[102:103], v[58:59], v[52:53]
	v_mul_f64_e32 v[52:53], v[60:61], v[56:57]
	v_mul_f64_e32 v[104:105], v[58:59], v[56:57]
	s_wait_dscnt 0x6
	v_mul_f64_e32 v[106:107], v[64:65], v[68:69]
	v_mul_f64_e32 v[108:109], v[62:63], v[68:69]
	s_wait_dscnt 0x5
	v_mul_f64_e32 v[110:111], v[64:65], v[72:73]
	v_mul_f64_e32 v[112:113], v[62:63], v[72:73]
	s_wait_dscnt 0x4
	v_mul_f64_e32 v[114:115], v[76:77], v[68:69]
	v_mul_f64_e32 v[68:69], v[74:75], v[68:69]
	v_mul_f64_e32 v[116:117], v[76:77], v[72:73]
	v_mul_f64_e32 v[72:73], v[74:75], v[72:73]
	;; [unrolled: 11-line block ×3, first 2 shown]
	v_fma_f64 v[2:3], v[46:47], v[50:51], -v[2:3]
	v_fmac_f64_e32 v[94:95], v[48:49], v[50:51]
	v_fma_f64 v[96:97], v[46:47], v[54:55], -v[96:97]
	v_fmac_f64_e32 v[98:99], v[48:49], v[54:55]
	v_fma_f64 v[100:101], v[58:59], v[50:51], -v[100:101]
	v_fmac_f64_e32 v[102:103], v[60:61], v[50:51]
	v_fma_f64 v[118:119], v[58:59], v[54:55], -v[52:53]
	v_fmac_f64_e32 v[104:105], v[60:61], v[54:55]
	v_fma_f64 v[106:107], v[62:63], v[66:67], -v[106:107]
	v_fmac_f64_e32 v[108:109], v[64:65], v[66:67]
	v_fma_f64 v[62:63], v[62:63], v[70:71], -v[110:111]
	v_fmac_f64_e32 v[112:113], v[64:65], v[70:71]
	v_fma_f64 v[64:65], v[74:75], v[66:67], -v[114:115]
	v_fmac_f64_e32 v[68:69], v[76:77], v[66:67]
	v_fma_f64 v[66:67], v[74:75], v[70:71], -v[116:117]
	v_fmac_f64_e32 v[72:73], v[76:77], v[70:71]
	ds_load_b128 v[46:49], v45 offset:48
	ds_load_b128 v[50:53], v45 offset:2096
	;; [unrolled: 1-line block ×4, first 2 shown]
	v_fma_f64 v[120:121], v[78:79], v[82:83], -v[120:121]
	v_fmac_f64_e32 v[122:123], v[80:81], v[82:83]
	v_fma_f64 v[78:79], v[78:79], v[86:87], -v[124:125]
	v_fmac_f64_e32 v[126:127], v[80:81], v[86:87]
	;; [unrolled: 2-line block ×4, first 2 shown]
	v_add_f64_e32 v[2:3], v[40:41], v[2:3]
	v_add_f64_e32 v[70:71], v[94:95], v[42:43]
	;; [unrolled: 1-line block ×8, first 2 shown]
	s_wait_dscnt 0x1
	v_mul_f64_e32 v[102:103], v[48:49], v[56:57]
	v_mul_f64_e32 v[104:105], v[46:47], v[56:57]
	s_wait_dscnt 0x0
	v_mul_f64_e32 v[110:111], v[48:49], v[60:61]
	v_mul_f64_e32 v[114:115], v[46:47], v[60:61]
	;; [unrolled: 1-line block ×6, first 2 shown]
	ds_load_b128 v[24:27], v45 offset:64
	ds_load_b128 v[32:35], v44 offset:2048
	;; [unrolled: 1-line block ×4, first 2 shown]
	v_add_f64_e32 v[2:3], v[2:3], v[106:107]
	v_add_f64_e32 v[86:87], v[108:109], v[70:71]
	;; [unrolled: 1-line block ×8, first 2 shown]
	s_wait_dscnt 0x2
	v_mul_f64_e32 v[100:101], v[26:27], v[34:35]
	v_mul_f64_e32 v[106:107], v[24:25], v[34:35]
	s_wait_dscnt 0x1
	v_mul_f64_e32 v[108:109], v[26:27], v[38:39]
	v_mul_f64_e32 v[112:113], v[24:25], v[38:39]
	s_wait_dscnt 0x0
	v_mul_f64_e32 v[124:125], v[42:43], v[34:35]
	v_mul_f64_e32 v[128:129], v[40:41], v[34:35]
	v_mul_f64_e32 v[34:35], v[42:43], v[38:39]
	v_mul_f64_e32 v[130:131], v[40:41], v[38:39]
	v_fma_f64 v[38:39], v[46:47], v[54:55], -v[102:103]
	v_fmac_f64_e32 v[104:105], v[48:49], v[54:55]
	v_fma_f64 v[102:103], v[46:47], v[58:59], -v[110:111]
	v_fmac_f64_e32 v[114:115], v[48:49], v[58:59]
	;; [unrolled: 2-line block ×4, first 2 shown]
	ds_load_b128 v[60:63], v45 offset:80
	ds_load_b128 v[64:67], v45 offset:2128
	;; [unrolled: 1-line block ×4, first 2 shown]
	v_add_f64_e32 v[2:3], v[2:3], v[120:121]
	v_add_f64_e32 v[58:59], v[122:123], v[86:87]
	;; [unrolled: 1-line block ×8, first 2 shown]
	v_fma_f64 v[100:101], v[24:25], v[32:33], -v[100:101]
	v_fmac_f64_e32 v[106:107], v[26:27], v[32:33]
	v_fma_f64 v[108:109], v[24:25], v[36:37], -v[108:109]
	s_wait_dscnt 0x1
	v_mul_f64_e32 v[92:93], v[62:63], v[70:71]
	v_mul_f64_e32 v[94:95], v[60:61], v[70:71]
	s_wait_dscnt 0x0
	v_mul_f64_e32 v[96:97], v[62:63], v[74:75]
	v_mul_f64_e32 v[98:99], v[60:61], v[74:75]
	;; [unrolled: 1-line block ×6, first 2 shown]
	v_fmac_f64_e32 v[112:113], v[26:27], v[36:37]
	v_fma_f64 v[124:125], v[40:41], v[32:33], -v[124:125]
	v_fmac_f64_e32 v[128:129], v[42:43], v[32:33]
	v_fma_f64 v[126:127], v[40:41], v[36:37], -v[34:35]
	v_fmac_f64_e32 v[130:131], v[42:43], v[36:37]
	ds_load_b128 v[46:49], v45 offset:96
	ds_load_b128 v[50:53], v44 offset:3072
	;; [unrolled: 1-line block ×4, first 2 shown]
	v_add_f64_e32 v[2:3], v[2:3], v[38:39]
	v_add_f64_e32 v[58:59], v[104:105], v[58:59]
	;; [unrolled: 1-line block ×8, first 2 shown]
	ds_load_b128 v[24:27], v45 offset:112
	ds_load_b128 v[32:35], v45 offset:2160
	;; [unrolled: 1-line block ×4, first 2 shown]
	s_wait_dscnt 0x0
	v_mul_f64_e32 v[102:103], v[48:49], v[52:53]
	v_mul_f64_e32 v[104:105], v[46:47], v[52:53]
	;; [unrolled: 1-line block ×8, first 2 shown]
	v_fma_f64 v[92:93], v[60:61], v[68:69], -v[92:93]
	v_fmac_f64_e32 v[94:95], v[62:63], v[68:69]
	v_fma_f64 v[60:61], v[60:61], v[72:73], -v[96:97]
	v_fmac_f64_e32 v[98:99], v[62:63], v[72:73]
	;; [unrolled: 2-line block ×4, first 2 shown]
	s_barrier_signal -1
	s_barrier_wait -1
	v_mul_f64_e32 v[96:97], v[24:25], v[42:43]
	v_add_f64_e32 v[2:3], v[2:3], v[100:101]
	v_add_f64_e32 v[58:59], v[106:107], v[58:59]
	;; [unrolled: 1-line block ×8, first 2 shown]
	v_mul_f64_e32 v[86:87], v[26:27], v[38:39]
	v_mul_f64_e32 v[88:89], v[24:25], v[38:39]
	;; [unrolled: 1-line block ×7, first 2 shown]
	v_fma_f64 v[42:43], v[46:47], v[50:51], -v[102:103]
	v_fmac_f64_e32 v[104:105], v[48:49], v[50:51]
	v_fma_f64 v[46:47], v[46:47], v[54:55], -v[110:111]
	v_fmac_f64_e32 v[114:115], v[48:49], v[54:55]
	;; [unrolled: 2-line block ×4, first 2 shown]
	v_fmac_f64_e32 v[96:97], v[26:27], v[40:41]
	v_add_f64_e32 v[2:3], v[2:3], v[92:93]
	v_add_f64_e32 v[54:55], v[94:95], v[58:59]
	;; [unrolled: 1-line block ×8, first 2 shown]
	v_fma_f64 v[70:71], v[24:25], v[36:37], -v[86:87]
	v_fmac_f64_e32 v[88:89], v[26:27], v[36:37]
	v_fma_f64 v[24:25], v[24:25], v[40:41], -v[90:91]
	v_fma_f64 v[26:27], v[32:33], v[36:37], -v[100:101]
	v_fmac_f64_e32 v[106:107], v[34:35], v[36:37]
	v_fma_f64 v[72:73], v[32:33], v[40:41], -v[38:39]
	v_fmac_f64_e32 v[108:109], v[34:35], v[40:41]
	v_add_f64_e32 v[2:3], v[2:3], v[42:43]
	v_add_f64_e32 v[32:33], v[104:105], v[54:55]
	;; [unrolled: 1-line block ×16, first 2 shown]
	s_cbranch_vccz .LBB541_21
.LBB541_10:                             ;   Parent Loop BB541_7 Depth=1
                                        ; =>  This Inner Loop Header: Depth=2
	s_mov_b32 s23, 0
	s_mov_b32 s31, s25
	s_and_saveexec_b32 s30, s0
	s_cbranch_execnz .LBB541_18
; %bb.11:                               ;   in Loop: Header=BB541_10 Depth=2
	s_or_b32 exec_lo, exec_lo, s30
	s_and_saveexec_b32 s30, s31
	s_delay_alu instid0(SALU_CYCLE_1)
	s_xor_b32 s30, exec_lo, s30
	s_cbranch_execnz .LBB541_19
.LBB541_12:                             ;   in Loop: Header=BB541_10 Depth=2
	s_or_b32 exec_lo, exec_lo, s30
	s_and_saveexec_b32 s30, s23
	s_cbranch_execz .LBB541_14
.LBB541_13:                             ;   in Loop: Header=BB541_10 Depth=2
	v_mul_u64_e32 v[2:3], s[14:15], v[22:23]
	s_delay_alu instid0(VALU_DEP_1)
	v_lshl_add_u64 v[2:3], v[2:3], 4, v[28:29]
	flat_load_b128 v[46:49], v[2:3]
	s_wait_loadcnt_dscnt 0x0
	ds_store_2addr_b64 v7, v[46:47], v[48:49] offset1:1
.LBB541_14:                             ;   in Loop: Header=BB541_10 Depth=2
	s_wait_xcnt 0x0
	s_or_b32 exec_lo, exec_lo, s30
	v_add_nc_u32_e32 v0, s16, v6
	s_delay_alu instid0(VALU_DEP_1) | instskip(SKIP_1) | instid1(SALU_CYCLE_1)
	v_cmp_le_u64_e32 vcc_lo, s[8:9], v[0:1]
	s_or_b32 s23, vcc_lo, s22
	s_and_saveexec_b32 s30, s23
	s_delay_alu instid0(SALU_CYCLE_1)
	s_xor_b32 s23, exec_lo, s30
; %bb.15:                               ;   in Loop: Header=BB541_10 Depth=2
	v_dual_mov_b32 v0, v1 :: v_dual_mov_b32 v2, v1
	v_mov_b32_e32 v3, v1
	ds_store_b128 v11, v[0:3]
; %bb.16:                               ;   in Loop: Header=BB541_10 Depth=2
	s_and_not1_saveexec_b32 s23, s23
	s_cbranch_execz .LBB541_9
; %bb.17:                               ;   in Loop: Header=BB541_10 Depth=2
	v_mul_u64_e32 v[2:3], s[20:21], v[0:1]
	s_delay_alu instid0(VALU_DEP_1)
	v_lshl_add_u64 v[2:3], v[2:3], 4, v[30:31]
	flat_load_b128 v[46:49], v[2:3]
	s_wait_loadcnt_dscnt 0x0
	ds_store_2addr_b64 v11, v[46:47], v[48:49] offset1:1
	s_branch .LBB541_9
.LBB541_18:                             ;   in Loop: Header=BB541_10 Depth=2
	v_add_nc_u32_e32 v0, s16, v10
	s_and_not1_b32 s31, s25, exec_lo
	s_mov_b32 s23, exec_lo
	s_delay_alu instid0(VALU_DEP_1) | instskip(SKIP_2) | instid1(SALU_CYCLE_1)
	v_cmp_le_u64_e32 vcc_lo, s[8:9], v[0:1]
	v_mov_b64_e32 v[22:23], v[0:1]
	s_and_b32 s44, vcc_lo, exec_lo
	s_or_b32 s31, s31, s44
	s_or_b32 exec_lo, exec_lo, s30
	s_and_saveexec_b32 s30, s31
	s_delay_alu instid0(SALU_CYCLE_1)
	s_xor_b32 s30, exec_lo, s30
	s_cbranch_execz .LBB541_12
.LBB541_19:                             ;   in Loop: Header=BB541_10 Depth=2
	v_dual_mov_b32 v0, v1 :: v_dual_mov_b32 v2, v1
	v_mov_b32_e32 v3, v1
	s_and_not1_b32 s23, s23, exec_lo
	ds_store_b128 v7, v[0:3]
	s_or_b32 exec_lo, exec_lo, s30
	s_and_saveexec_b32 s30, s23
	s_cbranch_execnz .LBB541_13
	s_branch .LBB541_14
.LBB541_20:                             ;   in Loop: Header=BB541_7 Depth=1
	v_mov_b64_e32 v[42:43], 0
	v_mov_b64_e32 v[36:37], 0
	;; [unrolled: 1-line block ×7, first 2 shown]
.LBB541_21:                             ;   in Loop: Header=BB541_7 Depth=1
	s_wait_loadcnt 0x0
	v_add_nc_u64_e32 v[28:29], s[10:11], v[4:5]
	s_delay_alu instid0(VALU_DEP_1)
	v_lshl_add_u64 v[30:31], v[14:15], 4, v[28:29]
	s_wait_xcnt 0x0
	s_and_saveexec_b32 s16, s29
	s_cbranch_execz .LBB541_26
; %bb.22:                               ;   in Loop: Header=BB541_7 Depth=1
	v_mul_f64_e32 v[2:3], s[42:43], v[42:43]
	v_mul_f64_e32 v[4:5], s[40:41], v[42:43]
	s_and_b32 vcc_lo, exec_lo, s28
	s_mov_b32 s17, -1
	s_delay_alu instid0(VALU_DEP_2) | instskip(NEXT) | instid1(VALU_DEP_2)
	v_fma_f64 v[2:3], s[40:41], v[40:41], -v[2:3]
	v_fmac_f64_e32 v[4:5], s[42:43], v[40:41]
	v_lshl_add_u64 v[40:41], v[18:19], 4, v[30:31]
	s_cbranch_vccz .LBB541_24
; %bb.23:                               ;   in Loop: Header=BB541_7 Depth=1
	flat_load_b128 v[46:49], v[40:41]
	s_mov_b32 s17, 0
	s_wait_loadcnt_dscnt 0x0
	v_mul_f64_e32 v[42:43], s[38:39], v[48:49]
	v_mul_f64_e32 v[48:49], s[36:37], v[48:49]
	s_delay_alu instid0(VALU_DEP_2) | instskip(NEXT) | instid1(VALU_DEP_2)
	v_fma_f64 v[42:43], s[36:37], v[46:47], -v[42:43]
	v_fmac_f64_e32 v[48:49], s[38:39], v[46:47]
	s_delay_alu instid0(VALU_DEP_2) | instskip(NEXT) | instid1(VALU_DEP_2)
	v_add_f64_e32 v[46:47], v[2:3], v[42:43]
	v_add_f64_e32 v[48:49], v[4:5], v[48:49]
	flat_store_b128 v[40:41], v[46:49]
.LBB541_24:                             ;   in Loop: Header=BB541_7 Depth=1
	s_and_not1_b32 vcc_lo, exec_lo, s17
	s_cbranch_vccnz .LBB541_26
; %bb.25:                               ;   in Loop: Header=BB541_7 Depth=1
	flat_store_b128 v[40:41], v[2:5]
.LBB541_26:                             ;   in Loop: Header=BB541_7 Depth=1
	s_wait_xcnt 0x0
	s_or_b32 exec_lo, exec_lo, s16
	s_and_saveexec_b32 s16, s1
	s_cbranch_execz .LBB541_31
; %bb.27:                               ;   in Loop: Header=BB541_7 Depth=1
	v_mul_f64_e32 v[2:3], s[42:43], v[38:39]
	v_mul_f64_e32 v[4:5], s[40:41], v[38:39]
	v_lshl_add_u64 v[30:31], v[20:21], 4, v[30:31]
	s_and_not1_b32 vcc_lo, exec_lo, s28
	s_mov_b32 s17, -1
	s_delay_alu instid0(VALU_DEP_3) | instskip(NEXT) | instid1(VALU_DEP_3)
	v_fma_f64 v[2:3], s[40:41], v[36:37], -v[2:3]
	v_fmac_f64_e32 v[4:5], s[42:43], v[36:37]
	s_cbranch_vccnz .LBB541_29
; %bb.28:                               ;   in Loop: Header=BB541_7 Depth=1
	flat_load_b128 v[36:39], v[30:31]
	s_mov_b32 s17, 0
	s_wait_loadcnt_dscnt 0x0
	v_mul_f64_e32 v[40:41], s[38:39], v[38:39]
	v_mul_f64_e32 v[38:39], s[36:37], v[38:39]
	s_delay_alu instid0(VALU_DEP_2) | instskip(NEXT) | instid1(VALU_DEP_2)
	v_fma_f64 v[40:41], s[36:37], v[36:37], -v[40:41]
	v_fmac_f64_e32 v[38:39], s[38:39], v[36:37]
	s_delay_alu instid0(VALU_DEP_2) | instskip(NEXT) | instid1(VALU_DEP_2)
	v_add_f64_e32 v[36:37], v[2:3], v[40:41]
	v_add_f64_e32 v[38:39], v[4:5], v[38:39]
	flat_store_b128 v[30:31], v[36:39]
.LBB541_29:                             ;   in Loop: Header=BB541_7 Depth=1
	s_and_not1_b32 vcc_lo, exec_lo, s17
	s_cbranch_vccnz .LBB541_31
; %bb.30:                               ;   in Loop: Header=BB541_7 Depth=1
	flat_store_b128 v[30:31], v[2:5]
.LBB541_31:                             ;   in Loop: Header=BB541_7 Depth=1
	s_wait_xcnt 0x0
	s_or_b32 exec_lo, exec_lo, s16
	v_lshl_add_u64 v[28:29], v[16:17], 4, v[28:29]
	s_and_saveexec_b32 s16, s33
	s_cbranch_execz .LBB541_36
; %bb.32:                               ;   in Loop: Header=BB541_7 Depth=1
	v_mul_f64_e32 v[2:3], s[42:43], v[34:35]
	v_mul_f64_e32 v[4:5], s[40:41], v[34:35]
	v_lshl_add_u64 v[30:31], v[18:19], 4, v[28:29]
	s_and_not1_b32 vcc_lo, exec_lo, s28
	s_mov_b32 s17, -1
	s_delay_alu instid0(VALU_DEP_3) | instskip(NEXT) | instid1(VALU_DEP_3)
	v_fma_f64 v[2:3], s[40:41], v[32:33], -v[2:3]
	v_fmac_f64_e32 v[4:5], s[42:43], v[32:33]
	s_cbranch_vccnz .LBB541_34
; %bb.33:                               ;   in Loop: Header=BB541_7 Depth=1
	flat_load_b128 v[32:35], v[30:31]
	s_mov_b32 s17, 0
	s_wait_loadcnt_dscnt 0x0
	v_mul_f64_e32 v[36:37], s[38:39], v[34:35]
	v_mul_f64_e32 v[34:35], s[36:37], v[34:35]
	s_delay_alu instid0(VALU_DEP_2) | instskip(NEXT) | instid1(VALU_DEP_2)
	v_fma_f64 v[36:37], s[36:37], v[32:33], -v[36:37]
	v_fmac_f64_e32 v[34:35], s[38:39], v[32:33]
	s_delay_alu instid0(VALU_DEP_2) | instskip(NEXT) | instid1(VALU_DEP_2)
	v_add_f64_e32 v[32:33], v[2:3], v[36:37]
	v_add_f64_e32 v[34:35], v[4:5], v[34:35]
	flat_store_b128 v[30:31], v[32:35]
.LBB541_34:                             ;   in Loop: Header=BB541_7 Depth=1
	s_and_not1_b32 vcc_lo, exec_lo, s17
	s_cbranch_vccnz .LBB541_36
; %bb.35:                               ;   in Loop: Header=BB541_7 Depth=1
	flat_store_b128 v[30:31], v[2:5]
.LBB541_36:                             ;   in Loop: Header=BB541_7 Depth=1
	s_wait_xcnt 0x0
	s_or_b32 exec_lo, exec_lo, s16
	s_and_saveexec_b32 s16, s34
	s_cbranch_execz .LBB541_6
; %bb.37:                               ;   in Loop: Header=BB541_7 Depth=1
	s_delay_alu instid0(VALU_DEP_4) | instskip(SKIP_4) | instid1(VALU_DEP_3)
	v_mul_f64_e32 v[2:3], s[42:43], v[24:25]
	v_mul_f64_e32 v[4:5], s[40:41], v[24:25]
	v_lshl_add_u64 v[24:25], v[20:21], 4, v[28:29]
	s_and_not1_b32 vcc_lo, exec_lo, s28
	s_mov_b32 s17, -1
	v_fma_f64 v[2:3], s[40:41], v[26:27], -v[2:3]
	s_delay_alu instid0(VALU_DEP_3)
	v_fmac_f64_e32 v[4:5], s[42:43], v[26:27]
	s_cbranch_vccnz .LBB541_39
; %bb.38:                               ;   in Loop: Header=BB541_7 Depth=1
	flat_load_b128 v[26:29], v[24:25]
	s_mov_b32 s17, 0
	s_wait_loadcnt_dscnt 0x0
	v_mul_f64_e32 v[30:31], s[38:39], v[28:29]
	v_mul_f64_e32 v[28:29], s[36:37], v[28:29]
	s_delay_alu instid0(VALU_DEP_2) | instskip(NEXT) | instid1(VALU_DEP_2)
	v_fma_f64 v[30:31], s[36:37], v[26:27], -v[30:31]
	v_fmac_f64_e32 v[28:29], s[38:39], v[26:27]
	s_delay_alu instid0(VALU_DEP_2) | instskip(NEXT) | instid1(VALU_DEP_2)
	v_add_f64_e32 v[26:27], v[2:3], v[30:31]
	v_add_f64_e32 v[28:29], v[4:5], v[28:29]
	flat_store_b128 v[24:25], v[26:29]
.LBB541_39:                             ;   in Loop: Header=BB541_7 Depth=1
	s_and_not1_b32 vcc_lo, exec_lo, s17
	s_cbranch_vccnz .LBB541_6
; %bb.40:                               ;   in Loop: Header=BB541_7 Depth=1
	flat_store_b128 v[24:25], v[2:5]
	s_branch .LBB541_6
.LBB541_41:
.LBB541_42:
	s_sendmsg sendmsg(MSG_DEALLOC_VGPRS)
	s_endpgm
	.section	.rodata,"a",@progbits
	.p2align	6, 0x0
	.amdhsa_kernel _ZL29rocblas_internal_gemmt_kernelIlLi16ELi32ELi8ELc78ELc84ELc85ELb0ELb0E19rocblas_complex_numIdEPKS1_PKS3_PKPS1_EviT_T9_T10_S9_lSB_S9_lSA_T11_S9_li
		.amdhsa_group_segment_fixed_size 8192
		.amdhsa_private_segment_fixed_size 0
		.amdhsa_kernarg_size 108
		.amdhsa_user_sgpr_count 2
		.amdhsa_user_sgpr_dispatch_ptr 0
		.amdhsa_user_sgpr_queue_ptr 0
		.amdhsa_user_sgpr_kernarg_segment_ptr 1
		.amdhsa_user_sgpr_dispatch_id 0
		.amdhsa_user_sgpr_kernarg_preload_length 0
		.amdhsa_user_sgpr_kernarg_preload_offset 0
		.amdhsa_user_sgpr_private_segment_size 0
		.amdhsa_wavefront_size32 1
		.amdhsa_uses_dynamic_stack 0
		.amdhsa_enable_private_segment 0
		.amdhsa_system_sgpr_workgroup_id_x 1
		.amdhsa_system_sgpr_workgroup_id_y 1
		.amdhsa_system_sgpr_workgroup_id_z 1
		.amdhsa_system_sgpr_workgroup_info 0
		.amdhsa_system_vgpr_workitem_id 1
		.amdhsa_next_free_vgpr 134
		.amdhsa_next_free_sgpr 45
		.amdhsa_named_barrier_count 0
		.amdhsa_reserve_vcc 1
		.amdhsa_float_round_mode_32 0
		.amdhsa_float_round_mode_16_64 0
		.amdhsa_float_denorm_mode_32 3
		.amdhsa_float_denorm_mode_16_64 3
		.amdhsa_fp16_overflow 0
		.amdhsa_memory_ordered 1
		.amdhsa_forward_progress 1
		.amdhsa_inst_pref_size 24
		.amdhsa_round_robin_scheduling 0
		.amdhsa_exception_fp_ieee_invalid_op 0
		.amdhsa_exception_fp_denorm_src 0
		.amdhsa_exception_fp_ieee_div_zero 0
		.amdhsa_exception_fp_ieee_overflow 0
		.amdhsa_exception_fp_ieee_underflow 0
		.amdhsa_exception_fp_ieee_inexact 0
		.amdhsa_exception_int_div_zero 0
	.end_amdhsa_kernel
	.section	.text._ZL29rocblas_internal_gemmt_kernelIlLi16ELi32ELi8ELc78ELc84ELc85ELb0ELb0E19rocblas_complex_numIdEPKS1_PKS3_PKPS1_EviT_T9_T10_S9_lSB_S9_lSA_T11_S9_li,"axG",@progbits,_ZL29rocblas_internal_gemmt_kernelIlLi16ELi32ELi8ELc78ELc84ELc85ELb0ELb0E19rocblas_complex_numIdEPKS1_PKS3_PKPS1_EviT_T9_T10_S9_lSB_S9_lSA_T11_S9_li,comdat
.Lfunc_end541:
	.size	_ZL29rocblas_internal_gemmt_kernelIlLi16ELi32ELi8ELc78ELc84ELc85ELb0ELb0E19rocblas_complex_numIdEPKS1_PKS3_PKPS1_EviT_T9_T10_S9_lSB_S9_lSA_T11_S9_li, .Lfunc_end541-_ZL29rocblas_internal_gemmt_kernelIlLi16ELi32ELi8ELc78ELc84ELc85ELb0ELb0E19rocblas_complex_numIdEPKS1_PKS3_PKPS1_EviT_T9_T10_S9_lSB_S9_lSA_T11_S9_li
                                        ; -- End function
	.set _ZL29rocblas_internal_gemmt_kernelIlLi16ELi32ELi8ELc78ELc84ELc85ELb0ELb0E19rocblas_complex_numIdEPKS1_PKS3_PKPS1_EviT_T9_T10_S9_lSB_S9_lSA_T11_S9_li.num_vgpr, 134
	.set _ZL29rocblas_internal_gemmt_kernelIlLi16ELi32ELi8ELc78ELc84ELc85ELb0ELb0E19rocblas_complex_numIdEPKS1_PKS3_PKPS1_EviT_T9_T10_S9_lSB_S9_lSA_T11_S9_li.num_agpr, 0
	.set _ZL29rocblas_internal_gemmt_kernelIlLi16ELi32ELi8ELc78ELc84ELc85ELb0ELb0E19rocblas_complex_numIdEPKS1_PKS3_PKPS1_EviT_T9_T10_S9_lSB_S9_lSA_T11_S9_li.numbered_sgpr, 45
	.set _ZL29rocblas_internal_gemmt_kernelIlLi16ELi32ELi8ELc78ELc84ELc85ELb0ELb0E19rocblas_complex_numIdEPKS1_PKS3_PKPS1_EviT_T9_T10_S9_lSB_S9_lSA_T11_S9_li.num_named_barrier, 0
	.set _ZL29rocblas_internal_gemmt_kernelIlLi16ELi32ELi8ELc78ELc84ELc85ELb0ELb0E19rocblas_complex_numIdEPKS1_PKS3_PKPS1_EviT_T9_T10_S9_lSB_S9_lSA_T11_S9_li.private_seg_size, 0
	.set _ZL29rocblas_internal_gemmt_kernelIlLi16ELi32ELi8ELc78ELc84ELc85ELb0ELb0E19rocblas_complex_numIdEPKS1_PKS3_PKPS1_EviT_T9_T10_S9_lSB_S9_lSA_T11_S9_li.uses_vcc, 1
	.set _ZL29rocblas_internal_gemmt_kernelIlLi16ELi32ELi8ELc78ELc84ELc85ELb0ELb0E19rocblas_complex_numIdEPKS1_PKS3_PKPS1_EviT_T9_T10_S9_lSB_S9_lSA_T11_S9_li.uses_flat_scratch, 0
	.set _ZL29rocblas_internal_gemmt_kernelIlLi16ELi32ELi8ELc78ELc84ELc85ELb0ELb0E19rocblas_complex_numIdEPKS1_PKS3_PKPS1_EviT_T9_T10_S9_lSB_S9_lSA_T11_S9_li.has_dyn_sized_stack, 0
	.set _ZL29rocblas_internal_gemmt_kernelIlLi16ELi32ELi8ELc78ELc84ELc85ELb0ELb0E19rocblas_complex_numIdEPKS1_PKS3_PKPS1_EviT_T9_T10_S9_lSB_S9_lSA_T11_S9_li.has_recursion, 0
	.set _ZL29rocblas_internal_gemmt_kernelIlLi16ELi32ELi8ELc78ELc84ELc85ELb0ELb0E19rocblas_complex_numIdEPKS1_PKS3_PKPS1_EviT_T9_T10_S9_lSB_S9_lSA_T11_S9_li.has_indirect_call, 0
	.section	.AMDGPU.csdata,"",@progbits
; Kernel info:
; codeLenInByte = 3040
; TotalNumSgprs: 47
; NumVgprs: 134
; ScratchSize: 0
; MemoryBound: 0
; FloatMode: 240
; IeeeMode: 1
; LDSByteSize: 8192 bytes/workgroup (compile time only)
; SGPRBlocks: 0
; VGPRBlocks: 8
; NumSGPRsForWavesPerEU: 47
; NumVGPRsForWavesPerEU: 134
; NamedBarCnt: 0
; Occupancy: 7
; WaveLimiterHint : 1
; COMPUTE_PGM_RSRC2:SCRATCH_EN: 0
; COMPUTE_PGM_RSRC2:USER_SGPR: 2
; COMPUTE_PGM_RSRC2:TRAP_HANDLER: 0
; COMPUTE_PGM_RSRC2:TGID_X_EN: 1
; COMPUTE_PGM_RSRC2:TGID_Y_EN: 1
; COMPUTE_PGM_RSRC2:TGID_Z_EN: 1
; COMPUTE_PGM_RSRC2:TIDIG_COMP_CNT: 1
	.section	.text._ZL29rocblas_internal_gemmt_kernelIlLi16ELi32ELi8ELc78ELc67ELc85ELb0ELb1E19rocblas_complex_numIdEPKS1_PKS3_PKPS1_EviT_T9_T10_S9_lSB_S9_lSA_T11_S9_li,"axG",@progbits,_ZL29rocblas_internal_gemmt_kernelIlLi16ELi32ELi8ELc78ELc67ELc85ELb0ELb1E19rocblas_complex_numIdEPKS1_PKS3_PKPS1_EviT_T9_T10_S9_lSB_S9_lSA_T11_S9_li,comdat
	.globl	_ZL29rocblas_internal_gemmt_kernelIlLi16ELi32ELi8ELc78ELc67ELc85ELb0ELb1E19rocblas_complex_numIdEPKS1_PKS3_PKPS1_EviT_T9_T10_S9_lSB_S9_lSA_T11_S9_li ; -- Begin function _ZL29rocblas_internal_gemmt_kernelIlLi16ELi32ELi8ELc78ELc67ELc85ELb0ELb1E19rocblas_complex_numIdEPKS1_PKS3_PKPS1_EviT_T9_T10_S9_lSB_S9_lSA_T11_S9_li
	.p2align	8
	.type	_ZL29rocblas_internal_gemmt_kernelIlLi16ELi32ELi8ELc78ELc67ELc85ELb0ELb1E19rocblas_complex_numIdEPKS1_PKS3_PKPS1_EviT_T9_T10_S9_lSB_S9_lSA_T11_S9_li,@function
_ZL29rocblas_internal_gemmt_kernelIlLi16ELi32ELi8ELc78ELc67ELc85ELb0ELb1E19rocblas_complex_numIdEPKS1_PKS3_PKPS1_EviT_T9_T10_S9_lSB_S9_lSA_T11_S9_li: ; @_ZL29rocblas_internal_gemmt_kernelIlLi16ELi32ELi8ELc78ELc67ELc85ELb0ELb1E19rocblas_complex_numIdEPKS1_PKS3_PKPS1_EviT_T9_T10_S9_lSB_S9_lSA_T11_S9_li
; %bb.0:
	s_clause 0x1
	s_load_b256 s[24:31], s[0:1], 0x48
	s_load_b512 s[8:23], s[0:1], 0x8
	s_wait_kmcnt 0x0
	s_load_b128 s[36:39], s[24:25], 0x0
	s_load_b128 s[40:43], s[10:11], 0x0
	s_wait_kmcnt 0x0
	v_cmp_eq_f64_e64 s2, s[36:37], 1.0
	v_cmp_eq_f64_e64 s3, s[38:39], 0
	s_and_b32 s2, s2, s3
	s_delay_alu instid0(SALU_CYCLE_1)
	s_and_not1_b32 vcc_lo, exec_lo, s2
	s_mov_b32 s2, -1
	s_cbranch_vccnz .LBB542_3
; %bb.1:
	s_cmp_lg_u64 s[8:9], 0
	s_cbranch_scc0 .LBB542_39
; %bb.2:
	v_cmp_neq_f64_e64 s2, s[40:41], 0
	v_cmp_neq_f64_e64 s4, s[42:43], 0
	s_or_b32 s2, s2, s4
.LBB542_3:
	s_delay_alu instid0(SALU_CYCLE_1)
	s_and_b32 vcc_lo, exec_lo, s2
	s_cbranch_vccz .LBB542_40
; %bb.4:
	s_load_b32 s24, s[0:1], 0x68
	s_bfe_u32 s2, ttmp6, 0x40014
	s_lshr_b32 s4, ttmp7, 16
	s_add_co_i32 s2, s2, 1
	s_bfe_u32 s6, ttmp6, 0x40008
	s_mul_i32 s5, s4, s2
	s_getreg_b32 s2, hwreg(HW_REG_IB_STS2, 6, 4)
	s_add_co_i32 s6, s6, s5
	s_cmp_eq_u32 s2, 0
	s_mov_b32 s7, 0
	s_cselect_b32 s6, s4, s6
	s_wait_kmcnt 0x0
	s_cmp_ge_u32 s6, s24
	s_cbranch_scc1 .LBB542_40
; %bb.5:
	s_load_b32 s10, s[0:1], 0x0
	s_wait_xcnt 0x0
	s_bfe_u32 s1, ttmp6, 0x4000c
	s_bfe_u32 s25, ttmp6, 0x40010
	s_and_b32 s11, ttmp7, 0xffff
	s_add_co_i32 s1, s1, 1
	s_add_co_i32 s25, s25, 1
	v_and_b32_e32 v4, 0x3ff, v0
	v_bfe_u32 v5, v0, 10, 10
	s_and_b32 s0, ttmp6, 15
	s_bfe_u32 s33, ttmp6, 0x40004
	s_mul_i32 s1, ttmp9, s1
	s_mul_i32 s25, s11, s25
	s_add_co_i32 s0, s0, s1
	s_add_co_i32 s33, s33, s25
	s_cmp_eq_u32 s2, 0
	v_lshl_add_u32 v1, v5, 4, v4
	s_cselect_b32 s1, s11, s33
	s_cselect_b32 s0, ttmp9, s0
	s_lshl_b32 s1, s1, 5
	s_delay_alu instid0(VALU_DEP_1) | instskip(SKIP_4) | instid1(VALU_DEP_3)
	v_dual_lshrrev_b32 v9, 3, v1 :: v_dual_bitop2_b32 v6, 7, v0 bitop3:0x40
	v_dual_lshrrev_b32 v10, 5, v1 :: v_dual_bitop2_b32 v7, 31, v1 bitop3:0x40
	s_lshl_b32 s2, s0, 5
	v_add_nc_u32_e32 v0, s1, v5
	v_cmp_neq_f64_e64 s4, s[40:41], 0
	v_or_b32_e32 v8, s2, v7
	v_cmp_neq_f64_e64 s5, s[42:43], 0
	v_cmp_neq_f64_e64 s34, s[36:37], 0
	v_dual_add_nc_u32 v2, 16, v0 :: v_dual_add_nc_u32 v12, s1, v9
	v_dual_ashrrev_i32 v1, 31, v0 :: v_dual_lshlrev_b32 v11, 4, v6
	s_delay_alu instid0(VALU_DEP_2) | instskip(SKIP_1) | instid1(VALU_DEP_3)
	v_dual_lshlrev_b32 v7, 4, v7 :: v_dual_ashrrev_i32 v3, 31, v2
	v_dual_add_nc_u32 v18, s2, v4 :: v_dual_lshlrev_b32 v46, 4, v4
	v_mul_u64_e32 v[14:15], s[28:29], v[0:1]
	s_delay_alu instid0(VALU_DEP_4) | instskip(NEXT) | instid1(VALU_DEP_4)
	v_lshl_or_b32 v1, v9, 7, v11
	v_mul_u64_e32 v[16:17], s[28:29], v[2:3]
	s_delay_alu instid0(VALU_DEP_4)
	v_dual_ashrrev_i32 v9, 31, v8 :: v_dual_add_nc_u32 v20, 16, v18
	s_wait_kmcnt 0x0
	v_cmp_gt_i32_e32 vcc_lo, s10, v0
	v_cmp_le_i32_e64 s2, v18, v0
	v_cmp_gt_i64_e64 s11, s[8:9], 0
	s_xor_b32 s3, s3, -1
	v_cmp_gt_i32_e64 s0, s10, v8
	v_cmp_le_i32_e64 s25, s10, v8
	s_and_b32 s29, vcc_lo, s2
	v_cmp_le_i32_e64 s2, v20, v0
	v_lshl_or_b32 v7, v10, 9, v7
	v_cmp_gt_i32_e64 s1, s10, v12
	v_add_nc_u32_e32 v11, 0x1000, v1
	v_dual_ashrrev_i32 v13, 31, v12 :: v_dual_ashrrev_i32 v19, 31, v18
	v_lshl_add_u32 v47, v5, 7, 0x1000
	v_dual_ashrrev_i32 v21, 31, v20 :: v_dual_mov_b32 v1, 0
	s_and_b32 s33, vcc_lo, s2
	s_or_b32 s44, s4, s5
	s_or_b32 s28, s34, s3
	v_cmp_gt_i32_e64 s3, s10, v2
	v_cmp_le_i32_e64 s4, v18, v2
	v_cmp_le_i32_e64 s5, v20, v2
	s_and_b32 s44, s44, s11
	s_lshl_b64 s[10:11], s[30:31], 4
                                        ; implicit-def: $vgpr22_vgpr23
	s_and_b32 s34, s3, s4
	s_and_b32 s35, s3, s5
	s_lshl_b64 s[2:3], s[22:23], 4
	s_lshl_b64 s[4:5], s[16:17], 4
	s_branch .LBB542_7
.LBB542_6:                              ;   in Loop: Header=BB542_7 Depth=1
	s_wait_xcnt 0x0
	s_or_b32 exec_lo, exec_lo, s16
	s_add_co_i32 s6, s6, 0x10000
	s_delay_alu instid0(SALU_CYCLE_1)
	s_cmp_lt_u32 s6, s24
	s_cbranch_scc0 .LBB542_40
.LBB542_7:                              ; =>This Loop Header: Depth=1
                                        ;     Child Loop BB542_10 Depth 2
	v_mov_b32_e32 v0, s6
	v_mov_b64_e32 v[42:43], 0
	s_and_not1_b32 vcc_lo, exec_lo, s44
	global_load_b64 v[24:25], v0, s[26:27] scale_offset
	s_cbranch_vccnz .LBB542_18
; %bb.8:                                ;   in Loop: Header=BB542_7 Depth=1
	s_lshl_b64 s[16:17], s[6:7], 3
	v_mov_b64_e32 v[26:27], 0
	s_add_nc_u64 s[22:23], s[12:13], s[16:17]
	s_add_nc_u64 s[16:17], s[18:19], s[16:17]
	s_clause 0x1
	global_load_b64 v[2:3], v1, s[22:23]
	global_load_b64 v[4:5], v1, s[16:17]
	v_mov_b64_e32 v[28:29], 0
	v_mov_b64_e32 v[36:37], 0
	;; [unrolled: 1-line block ×7, first 2 shown]
	s_wait_xcnt 0x0
	s_mov_b64 s[16:17], 0
	s_wait_loadcnt 0x1
	v_add_nc_u64_e32 v[2:3], s[4:5], v[2:3]
	s_wait_loadcnt 0x0
	v_add_nc_u64_e32 v[4:5], s[2:3], v[4:5]
	s_delay_alu instid0(VALU_DEP_2) | instskip(NEXT) | instid1(VALU_DEP_2)
	v_lshl_add_u64 v[30:31], v[8:9], 4, v[2:3]
	v_lshl_add_u64 v[32:33], v[12:13], 4, v[4:5]
	s_branch .LBB542_10
.LBB542_9:                              ;   in Loop: Header=BB542_10 Depth=2
	s_wait_xcnt 0x0
	s_or_b32 exec_lo, exec_lo, s22
	ds_store_b128 v11, v[2:5]
	s_wait_dscnt 0x0
	s_barrier_signal -1
	s_barrier_wait -1
	ds_load_b128 v[2:5], v47
	ds_load_b128 v[48:51], v46
	ds_load_b128 v[52:55], v46 offset:256
	ds_load_b128 v[56:59], v47 offset:2048
	ds_load_b128 v[60:63], v47 offset:16
	ds_load_b128 v[64:67], v46 offset:512
	ds_load_b128 v[68:71], v46 offset:768
	ds_load_b128 v[72:75], v47 offset:2064
	ds_load_b128 v[76:79], v47 offset:32
	ds_load_b128 v[80:83], v46 offset:1024
	ds_load_b128 v[84:87], v46 offset:1280
	ds_load_b128 v[88:91], v47 offset:2080
	s_add_nc_u64 s[16:17], s[16:17], 8
	s_delay_alu instid0(SALU_CYCLE_1)
	v_cmp_gt_i64_e64 s22, s[8:9], s[16:17]
	s_and_b32 vcc_lo, exec_lo, s22
	s_wait_dscnt 0xa
	v_mul_f64_e32 v[92:93], v[4:5], v[50:51]
	v_mul_f64_e32 v[94:95], v[2:3], v[50:51]
	s_wait_dscnt 0x9
	v_mul_f64_e32 v[96:97], v[4:5], v[54:55]
	v_mul_f64_e32 v[98:99], v[2:3], v[54:55]
	s_wait_dscnt 0x8
	v_mul_f64_e32 v[100:101], v[58:59], v[50:51]
	v_mul_f64_e32 v[102:103], v[56:57], v[50:51]
	v_mul_f64_e32 v[50:51], v[58:59], v[54:55]
	v_mul_f64_e32 v[104:105], v[56:57], v[54:55]
	s_wait_dscnt 0x6
	v_mul_f64_e32 v[106:107], v[62:63], v[66:67]
	v_mul_f64_e32 v[108:109], v[60:61], v[66:67]
	s_wait_dscnt 0x5
	v_mul_f64_e32 v[110:111], v[62:63], v[70:71]
	v_mul_f64_e32 v[112:113], v[60:61], v[70:71]
	s_wait_dscnt 0x4
	v_mul_f64_e32 v[114:115], v[74:75], v[66:67]
	v_mul_f64_e32 v[66:67], v[72:73], v[66:67]
	v_mul_f64_e32 v[116:117], v[74:75], v[70:71]
	v_mul_f64_e32 v[70:71], v[72:73], v[70:71]
	;; [unrolled: 11-line block ×3, first 2 shown]
	v_fma_f64 v[92:93], v[2:3], v[48:49], -v[92:93]
	v_fmac_f64_e32 v[94:95], v[4:5], v[48:49]
	v_fma_f64 v[96:97], v[2:3], v[52:53], -v[96:97]
	v_fmac_f64_e32 v[98:99], v[4:5], v[52:53]
	v_fma_f64 v[100:101], v[56:57], v[48:49], -v[100:101]
	v_fmac_f64_e32 v[102:103], v[58:59], v[48:49]
	v_fma_f64 v[118:119], v[56:57], v[52:53], -v[50:51]
	v_fmac_f64_e32 v[104:105], v[58:59], v[52:53]
	v_fma_f64 v[106:107], v[60:61], v[64:65], -v[106:107]
	v_fmac_f64_e32 v[108:109], v[62:63], v[64:65]
	v_fma_f64 v[60:61], v[60:61], v[68:69], -v[110:111]
	v_fmac_f64_e32 v[112:113], v[62:63], v[68:69]
	v_fma_f64 v[62:63], v[72:73], v[64:65], -v[114:115]
	v_fmac_f64_e32 v[66:67], v[74:75], v[64:65]
	v_fma_f64 v[64:65], v[72:73], v[68:69], -v[116:117]
	v_fmac_f64_e32 v[70:71], v[74:75], v[68:69]
	ds_load_b128 v[2:5], v47 offset:48
	ds_load_b128 v[48:51], v47 offset:2096
	;; [unrolled: 1-line block ×4, first 2 shown]
	v_fma_f64 v[120:121], v[76:77], v[80:81], -v[120:121]
	v_fmac_f64_e32 v[122:123], v[78:79], v[80:81]
	v_fma_f64 v[76:77], v[76:77], v[84:85], -v[124:125]
	v_fmac_f64_e32 v[126:127], v[78:79], v[84:85]
	;; [unrolled: 2-line block ×4, first 2 shown]
	v_add_f64_e32 v[68:69], v[42:43], v[92:93]
	v_add_f64_e32 v[72:73], v[94:95], v[44:45]
	;; [unrolled: 1-line block ×8, first 2 shown]
	s_wait_dscnt 0x1
	v_mul_f64_e32 v[102:103], v[4:5], v[54:55]
	v_mul_f64_e32 v[104:105], v[2:3], v[54:55]
	s_wait_dscnt 0x0
	v_mul_f64_e32 v[110:111], v[4:5], v[58:59]
	v_mul_f64_e32 v[114:115], v[2:3], v[58:59]
	;; [unrolled: 1-line block ×6, first 2 shown]
	ds_load_b128 v[26:29], v47 offset:64
	ds_load_b128 v[34:37], v46 offset:2048
	;; [unrolled: 1-line block ×4, first 2 shown]
	v_add_f64_e32 v[84:85], v[68:69], v[106:107]
	v_add_f64_e32 v[88:89], v[108:109], v[72:73]
	;; [unrolled: 1-line block ×8, first 2 shown]
	s_wait_dscnt 0x2
	v_mul_f64_e32 v[100:101], v[28:29], v[36:37]
	v_mul_f64_e32 v[106:107], v[26:27], v[36:37]
	s_wait_dscnt 0x1
	v_mul_f64_e32 v[108:109], v[28:29], v[40:41]
	v_mul_f64_e32 v[112:113], v[26:27], v[40:41]
	;; [unrolled: 3-line block ×3, first 2 shown]
	v_mul_f64_e32 v[36:37], v[44:45], v[40:41]
	v_mul_f64_e32 v[130:131], v[42:43], v[40:41]
	v_fma_f64 v[40:41], v[2:3], v[52:53], -v[102:103]
	v_fmac_f64_e32 v[104:105], v[4:5], v[52:53]
	v_fma_f64 v[102:103], v[2:3], v[56:57], -v[110:111]
	v_fmac_f64_e32 v[114:115], v[4:5], v[56:57]
	;; [unrolled: 2-line block ×4, first 2 shown]
	ds_load_b128 v[58:61], v47 offset:80
	ds_load_b128 v[62:65], v47 offset:2128
	;; [unrolled: 1-line block ×4, first 2 shown]
	v_add_f64_e32 v[56:57], v[84:85], v[120:121]
	v_add_f64_e32 v[84:85], v[122:123], v[88:89]
	;; [unrolled: 1-line block ×8, first 2 shown]
	v_fma_f64 v[100:101], v[26:27], v[34:35], -v[100:101]
	v_fmac_f64_e32 v[106:107], v[28:29], v[34:35]
	v_fma_f64 v[108:109], v[26:27], v[38:39], -v[108:109]
	s_wait_dscnt 0x1
	v_mul_f64_e32 v[92:93], v[60:61], v[68:69]
	v_mul_f64_e32 v[94:95], v[58:59], v[68:69]
	s_wait_dscnt 0x0
	v_mul_f64_e32 v[96:97], v[60:61], v[72:73]
	v_mul_f64_e32 v[98:99], v[58:59], v[72:73]
	;; [unrolled: 1-line block ×6, first 2 shown]
	v_fmac_f64_e32 v[112:113], v[28:29], v[38:39]
	v_fma_f64 v[124:125], v[42:43], v[34:35], -v[124:125]
	v_fmac_f64_e32 v[128:129], v[44:45], v[34:35]
	v_fma_f64 v[126:127], v[42:43], v[38:39], -v[36:37]
	v_fmac_f64_e32 v[130:131], v[44:45], v[38:39]
	ds_load_b128 v[2:5], v47 offset:96
	ds_load_b128 v[48:51], v46 offset:3072
	;; [unrolled: 1-line block ×4, first 2 shown]
	v_add_f64_e32 v[56:57], v[56:57], v[40:41]
	v_add_f64_e32 v[84:85], v[104:105], v[84:85]
	;; [unrolled: 1-line block ×8, first 2 shown]
	ds_load_b128 v[26:29], v47 offset:112
	ds_load_b128 v[34:37], v47 offset:2160
	;; [unrolled: 1-line block ×4, first 2 shown]
	s_wait_dscnt 0x0
	v_mul_f64_e32 v[102:103], v[4:5], v[50:51]
	v_mul_f64_e32 v[104:105], v[2:3], v[50:51]
	;; [unrolled: 1-line block ×8, first 2 shown]
	v_fma_f64 v[92:93], v[58:59], v[66:67], -v[92:93]
	v_fmac_f64_e32 v[94:95], v[60:61], v[66:67]
	v_fma_f64 v[58:59], v[58:59], v[70:71], -v[96:97]
	v_fmac_f64_e32 v[98:99], v[60:61], v[70:71]
	;; [unrolled: 2-line block ×4, first 2 shown]
	s_barrier_signal -1
	s_barrier_wait -1
	v_mul_f64_e32 v[96:97], v[26:27], v[44:45]
	v_add_f64_e32 v[56:57], v[56:57], v[100:101]
	v_add_f64_e32 v[64:65], v[106:107], v[84:85]
	;; [unrolled: 1-line block ×8, first 2 shown]
	v_mul_f64_e32 v[86:87], v[28:29], v[40:41]
	v_mul_f64_e32 v[88:89], v[26:27], v[40:41]
	;; [unrolled: 1-line block ×7, first 2 shown]
	v_fma_f64 v[44:45], v[2:3], v[48:49], -v[102:103]
	v_fmac_f64_e32 v[104:105], v[4:5], v[48:49]
	v_fma_f64 v[2:3], v[2:3], v[52:53], -v[110:111]
	v_fmac_f64_e32 v[114:115], v[4:5], v[52:53]
	;; [unrolled: 2-line block ×4, first 2 shown]
	v_fmac_f64_e32 v[96:97], v[28:29], v[42:43]
	v_add_f64_e32 v[52:53], v[56:57], v[92:93]
	v_add_f64_e32 v[56:57], v[94:95], v[64:65]
	;; [unrolled: 1-line block ×8, first 2 shown]
	v_fma_f64 v[70:71], v[26:27], v[38:39], -v[86:87]
	v_fmac_f64_e32 v[88:89], v[28:29], v[38:39]
	v_fma_f64 v[26:27], v[26:27], v[42:43], -v[90:91]
	v_fma_f64 v[28:29], v[34:35], v[38:39], -v[100:101]
	v_fmac_f64_e32 v[106:107], v[36:37], v[38:39]
	v_fma_f64 v[72:73], v[34:35], v[42:43], -v[40:41]
	v_fmac_f64_e32 v[108:109], v[36:37], v[42:43]
	v_add_f64_e32 v[34:35], v[52:53], v[44:45]
	v_add_f64_e32 v[36:37], v[104:105], v[56:57]
	;; [unrolled: 1-line block ×16, first 2 shown]
	s_cbranch_vccz .LBB542_19
.LBB542_10:                             ;   Parent Loop BB542_7 Depth=1
                                        ; =>  This Inner Loop Header: Depth=2
	s_mov_b32 s22, 0
	s_mov_b32 s30, s25
	s_and_saveexec_b32 s23, s0
	s_cbranch_execnz .LBB542_16
; %bb.11:                               ;   in Loop: Header=BB542_10 Depth=2
	s_or_b32 exec_lo, exec_lo, s23
	s_and_saveexec_b32 s23, s30
	s_delay_alu instid0(SALU_CYCLE_1)
	s_xor_b32 s23, exec_lo, s23
	s_cbranch_execnz .LBB542_17
.LBB542_12:                             ;   in Loop: Header=BB542_10 Depth=2
	s_or_b32 exec_lo, exec_lo, s23
	s_and_saveexec_b32 s23, s22
	s_cbranch_execz .LBB542_14
.LBB542_13:                             ;   in Loop: Header=BB542_10 Depth=2
	v_mul_u64_e32 v[2:3], s[14:15], v[22:23]
	s_delay_alu instid0(VALU_DEP_1)
	v_lshl_add_u64 v[2:3], v[2:3], 4, v[30:31]
	flat_load_b128 v[2:5], v[2:3]
	s_wait_loadcnt_dscnt 0x0
	ds_store_2addr_b64 v7, v[2:3], v[4:5] offset1:1
.LBB542_14:                             ;   in Loop: Header=BB542_10 Depth=2
	s_wait_xcnt 0x0
	s_or_b32 exec_lo, exec_lo, s23
	v_add_nc_u32_e32 v0, s16, v6
	v_mov_b64_e32 v[2:3], 0
	v_mov_b64_e32 v[4:5], 0
	s_delay_alu instid0(VALU_DEP_3) | instskip(SKIP_1) | instid1(SALU_CYCLE_1)
	v_cmp_gt_u64_e32 vcc_lo, s[8:9], v[0:1]
	s_and_b32 s23, vcc_lo, s1
	s_and_saveexec_b32 s22, s23
	s_cbranch_execz .LBB542_9
; %bb.15:                               ;   in Loop: Header=BB542_10 Depth=2
	v_mul_u64_e32 v[2:3], s[20:21], v[0:1]
	s_delay_alu instid0(VALU_DEP_1)
	v_lshl_add_u64 v[2:3], v[2:3], 4, v[32:33]
	flat_load_b128 v[2:5], v[2:3]
	s_wait_loadcnt_dscnt 0x0
	v_xor_b32_e32 v5, 0x80000000, v5
	s_branch .LBB542_9
.LBB542_16:                             ;   in Loop: Header=BB542_10 Depth=2
	v_add_nc_u32_e32 v0, s16, v10
	s_and_not1_b32 s30, s25, exec_lo
	s_mov_b32 s22, exec_lo
	s_delay_alu instid0(VALU_DEP_1) | instskip(SKIP_2) | instid1(SALU_CYCLE_1)
	v_cmp_le_u64_e32 vcc_lo, s[8:9], v[0:1]
	v_mov_b64_e32 v[22:23], v[0:1]
	s_and_b32 s31, vcc_lo, exec_lo
	s_or_b32 s30, s30, s31
	s_or_b32 exec_lo, exec_lo, s23
	s_and_saveexec_b32 s23, s30
	s_delay_alu instid0(SALU_CYCLE_1)
	s_xor_b32 s23, exec_lo, s23
	s_cbranch_execz .LBB542_12
.LBB542_17:                             ;   in Loop: Header=BB542_10 Depth=2
	v_dual_mov_b32 v0, v1 :: v_dual_mov_b32 v2, v1
	v_mov_b32_e32 v3, v1
	s_and_not1_b32 s22, s22, exec_lo
	ds_store_b128 v7, v[0:3]
	s_or_b32 exec_lo, exec_lo, s23
	s_and_saveexec_b32 s23, s22
	s_cbranch_execnz .LBB542_13
	s_branch .LBB542_14
.LBB542_18:                             ;   in Loop: Header=BB542_7 Depth=1
	v_mov_b64_e32 v[44:45], 0
	v_mov_b64_e32 v[38:39], 0
	;; [unrolled: 1-line block ×7, first 2 shown]
.LBB542_19:                             ;   in Loop: Header=BB542_7 Depth=1
	s_wait_loadcnt 0x0
	v_add_nc_u64_e32 v[24:25], s[10:11], v[24:25]
	s_delay_alu instid0(VALU_DEP_1)
	v_lshl_add_u64 v[30:31], v[14:15], 4, v[24:25]
	s_wait_xcnt 0x0
	s_and_saveexec_b32 s16, s29
	s_cbranch_execz .LBB542_24
; %bb.20:                               ;   in Loop: Header=BB542_7 Depth=1
	v_mul_f64_e32 v[2:3], s[42:43], v[44:45]
	v_mul_f64_e32 v[4:5], s[40:41], v[44:45]
	v_lshl_add_u64 v[32:33], v[18:19], 4, v[30:31]
	s_and_b32 vcc_lo, exec_lo, s28
	s_mov_b32 s17, -1
	s_delay_alu instid0(VALU_DEP_3) | instskip(NEXT) | instid1(VALU_DEP_3)
	v_fma_f64 v[2:3], s[40:41], v[42:43], -v[2:3]
	v_fmac_f64_e32 v[4:5], s[42:43], v[42:43]
	s_cbranch_vccz .LBB542_22
; %bb.21:                               ;   in Loop: Header=BB542_7 Depth=1
	flat_load_b128 v[42:45], v[32:33]
	s_mov_b32 s17, 0
	s_wait_loadcnt_dscnt 0x0
	v_mul_f64_e32 v[48:49], s[38:39], v[44:45]
	v_mul_f64_e32 v[44:45], s[36:37], v[44:45]
	s_delay_alu instid0(VALU_DEP_2) | instskip(NEXT) | instid1(VALU_DEP_2)
	v_fma_f64 v[48:49], s[36:37], v[42:43], -v[48:49]
	v_fmac_f64_e32 v[44:45], s[38:39], v[42:43]
	s_delay_alu instid0(VALU_DEP_2) | instskip(NEXT) | instid1(VALU_DEP_2)
	v_add_f64_e32 v[42:43], v[2:3], v[48:49]
	v_add_f64_e32 v[44:45], v[4:5], v[44:45]
	flat_store_b128 v[32:33], v[42:45]
.LBB542_22:                             ;   in Loop: Header=BB542_7 Depth=1
	s_and_not1_b32 vcc_lo, exec_lo, s17
	s_cbranch_vccnz .LBB542_24
; %bb.23:                               ;   in Loop: Header=BB542_7 Depth=1
	flat_store_b128 v[32:33], v[2:5]
.LBB542_24:                             ;   in Loop: Header=BB542_7 Depth=1
	s_wait_xcnt 0x0
	s_or_b32 exec_lo, exec_lo, s16
	s_and_saveexec_b32 s16, s33
	s_cbranch_execz .LBB542_29
; %bb.25:                               ;   in Loop: Header=BB542_7 Depth=1
	v_mul_f64_e32 v[2:3], s[42:43], v[40:41]
	v_mul_f64_e32 v[4:5], s[40:41], v[40:41]
	v_lshl_add_u64 v[30:31], v[20:21], 4, v[30:31]
	s_and_not1_b32 vcc_lo, exec_lo, s28
	s_mov_b32 s17, -1
	s_delay_alu instid0(VALU_DEP_3) | instskip(NEXT) | instid1(VALU_DEP_3)
	v_fma_f64 v[2:3], s[40:41], v[38:39], -v[2:3]
	v_fmac_f64_e32 v[4:5], s[42:43], v[38:39]
	s_cbranch_vccnz .LBB542_27
; %bb.26:                               ;   in Loop: Header=BB542_7 Depth=1
	flat_load_b128 v[38:41], v[30:31]
	s_mov_b32 s17, 0
	s_wait_loadcnt_dscnt 0x0
	v_mul_f64_e32 v[32:33], s[38:39], v[40:41]
	v_mul_f64_e32 v[40:41], s[36:37], v[40:41]
	s_delay_alu instid0(VALU_DEP_2) | instskip(NEXT) | instid1(VALU_DEP_2)
	v_fma_f64 v[32:33], s[36:37], v[38:39], -v[32:33]
	v_fmac_f64_e32 v[40:41], s[38:39], v[38:39]
	s_delay_alu instid0(VALU_DEP_2) | instskip(NEXT) | instid1(VALU_DEP_2)
	v_add_f64_e32 v[38:39], v[2:3], v[32:33]
	v_add_f64_e32 v[40:41], v[4:5], v[40:41]
	flat_store_b128 v[30:31], v[38:41]
.LBB542_27:                             ;   in Loop: Header=BB542_7 Depth=1
	s_and_not1_b32 vcc_lo, exec_lo, s17
	s_cbranch_vccnz .LBB542_29
; %bb.28:                               ;   in Loop: Header=BB542_7 Depth=1
	flat_store_b128 v[30:31], v[2:5]
.LBB542_29:                             ;   in Loop: Header=BB542_7 Depth=1
	s_wait_xcnt 0x0
	s_or_b32 exec_lo, exec_lo, s16
	v_lshl_add_u64 v[24:25], v[16:17], 4, v[24:25]
	s_and_saveexec_b32 s16, s34
	s_cbranch_execz .LBB542_34
; %bb.30:                               ;   in Loop: Header=BB542_7 Depth=1
	v_mul_f64_e32 v[2:3], s[42:43], v[36:37]
	v_mul_f64_e32 v[4:5], s[40:41], v[36:37]
	v_lshl_add_u64 v[30:31], v[18:19], 4, v[24:25]
	s_and_not1_b32 vcc_lo, exec_lo, s28
	s_mov_b32 s17, -1
	s_delay_alu instid0(VALU_DEP_3) | instskip(NEXT) | instid1(VALU_DEP_3)
	v_fma_f64 v[2:3], s[40:41], v[34:35], -v[2:3]
	v_fmac_f64_e32 v[4:5], s[42:43], v[34:35]
	s_cbranch_vccnz .LBB542_32
; %bb.31:                               ;   in Loop: Header=BB542_7 Depth=1
	flat_load_b128 v[32:35], v[30:31]
	s_mov_b32 s17, 0
	s_wait_loadcnt_dscnt 0x0
	v_mul_f64_e32 v[36:37], s[38:39], v[34:35]
	v_mul_f64_e32 v[34:35], s[36:37], v[34:35]
	s_delay_alu instid0(VALU_DEP_2) | instskip(NEXT) | instid1(VALU_DEP_2)
	v_fma_f64 v[36:37], s[36:37], v[32:33], -v[36:37]
	v_fmac_f64_e32 v[34:35], s[38:39], v[32:33]
	s_delay_alu instid0(VALU_DEP_2) | instskip(NEXT) | instid1(VALU_DEP_2)
	v_add_f64_e32 v[32:33], v[2:3], v[36:37]
	v_add_f64_e32 v[34:35], v[4:5], v[34:35]
	flat_store_b128 v[30:31], v[32:35]
.LBB542_32:                             ;   in Loop: Header=BB542_7 Depth=1
	s_and_not1_b32 vcc_lo, exec_lo, s17
	s_cbranch_vccnz .LBB542_34
; %bb.33:                               ;   in Loop: Header=BB542_7 Depth=1
	flat_store_b128 v[30:31], v[2:5]
.LBB542_34:                             ;   in Loop: Header=BB542_7 Depth=1
	s_wait_xcnt 0x0
	s_or_b32 exec_lo, exec_lo, s16
	s_and_saveexec_b32 s16, s35
	s_cbranch_execz .LBB542_6
; %bb.35:                               ;   in Loop: Header=BB542_7 Depth=1
	s_delay_alu instid0(VALU_DEP_4) | instskip(SKIP_4) | instid1(VALU_DEP_3)
	v_mul_f64_e32 v[2:3], s[42:43], v[26:27]
	v_mul_f64_e32 v[4:5], s[40:41], v[26:27]
	v_lshl_add_u64 v[24:25], v[20:21], 4, v[24:25]
	s_and_not1_b32 vcc_lo, exec_lo, s28
	s_mov_b32 s17, -1
	v_fma_f64 v[2:3], s[40:41], v[28:29], -v[2:3]
	s_delay_alu instid0(VALU_DEP_3)
	v_fmac_f64_e32 v[4:5], s[42:43], v[28:29]
	s_cbranch_vccnz .LBB542_37
; %bb.36:                               ;   in Loop: Header=BB542_7 Depth=1
	flat_load_b128 v[26:29], v[24:25]
	s_mov_b32 s17, 0
	s_wait_loadcnt_dscnt 0x0
	v_mul_f64_e32 v[30:31], s[38:39], v[28:29]
	v_mul_f64_e32 v[28:29], s[36:37], v[28:29]
	s_delay_alu instid0(VALU_DEP_2) | instskip(NEXT) | instid1(VALU_DEP_2)
	v_fma_f64 v[30:31], s[36:37], v[26:27], -v[30:31]
	v_fmac_f64_e32 v[28:29], s[38:39], v[26:27]
	s_delay_alu instid0(VALU_DEP_2) | instskip(NEXT) | instid1(VALU_DEP_2)
	v_add_f64_e32 v[26:27], v[2:3], v[30:31]
	v_add_f64_e32 v[28:29], v[4:5], v[28:29]
	flat_store_b128 v[24:25], v[26:29]
.LBB542_37:                             ;   in Loop: Header=BB542_7 Depth=1
	s_and_not1_b32 vcc_lo, exec_lo, s17
	s_cbranch_vccnz .LBB542_6
; %bb.38:                               ;   in Loop: Header=BB542_7 Depth=1
	flat_store_b128 v[24:25], v[2:5]
	s_branch .LBB542_6
.LBB542_39:
.LBB542_40:
	s_sendmsg sendmsg(MSG_DEALLOC_VGPRS)
	s_endpgm
	.section	.rodata,"a",@progbits
	.p2align	6, 0x0
	.amdhsa_kernel _ZL29rocblas_internal_gemmt_kernelIlLi16ELi32ELi8ELc78ELc67ELc85ELb0ELb1E19rocblas_complex_numIdEPKS1_PKS3_PKPS1_EviT_T9_T10_S9_lSB_S9_lSA_T11_S9_li
		.amdhsa_group_segment_fixed_size 8192
		.amdhsa_private_segment_fixed_size 0
		.amdhsa_kernarg_size 108
		.amdhsa_user_sgpr_count 2
		.amdhsa_user_sgpr_dispatch_ptr 0
		.amdhsa_user_sgpr_queue_ptr 0
		.amdhsa_user_sgpr_kernarg_segment_ptr 1
		.amdhsa_user_sgpr_dispatch_id 0
		.amdhsa_user_sgpr_kernarg_preload_length 0
		.amdhsa_user_sgpr_kernarg_preload_offset 0
		.amdhsa_user_sgpr_private_segment_size 0
		.amdhsa_wavefront_size32 1
		.amdhsa_uses_dynamic_stack 0
		.amdhsa_enable_private_segment 0
		.amdhsa_system_sgpr_workgroup_id_x 1
		.amdhsa_system_sgpr_workgroup_id_y 1
		.amdhsa_system_sgpr_workgroup_id_z 1
		.amdhsa_system_sgpr_workgroup_info 0
		.amdhsa_system_vgpr_workitem_id 1
		.amdhsa_next_free_vgpr 134
		.amdhsa_next_free_sgpr 45
		.amdhsa_named_barrier_count 0
		.amdhsa_reserve_vcc 1
		.amdhsa_float_round_mode_32 0
		.amdhsa_float_round_mode_16_64 0
		.amdhsa_float_denorm_mode_32 3
		.amdhsa_float_denorm_mode_16_64 3
		.amdhsa_fp16_overflow 0
		.amdhsa_memory_ordered 1
		.amdhsa_forward_progress 1
		.amdhsa_inst_pref_size 24
		.amdhsa_round_robin_scheduling 0
		.amdhsa_exception_fp_ieee_invalid_op 0
		.amdhsa_exception_fp_denorm_src 0
		.amdhsa_exception_fp_ieee_div_zero 0
		.amdhsa_exception_fp_ieee_overflow 0
		.amdhsa_exception_fp_ieee_underflow 0
		.amdhsa_exception_fp_ieee_inexact 0
		.amdhsa_exception_int_div_zero 0
	.end_amdhsa_kernel
	.section	.text._ZL29rocblas_internal_gemmt_kernelIlLi16ELi32ELi8ELc78ELc67ELc85ELb0ELb1E19rocblas_complex_numIdEPKS1_PKS3_PKPS1_EviT_T9_T10_S9_lSB_S9_lSA_T11_S9_li,"axG",@progbits,_ZL29rocblas_internal_gemmt_kernelIlLi16ELi32ELi8ELc78ELc67ELc85ELb0ELb1E19rocblas_complex_numIdEPKS1_PKS3_PKPS1_EviT_T9_T10_S9_lSB_S9_lSA_T11_S9_li,comdat
.Lfunc_end542:
	.size	_ZL29rocblas_internal_gemmt_kernelIlLi16ELi32ELi8ELc78ELc67ELc85ELb0ELb1E19rocblas_complex_numIdEPKS1_PKS3_PKPS1_EviT_T9_T10_S9_lSB_S9_lSA_T11_S9_li, .Lfunc_end542-_ZL29rocblas_internal_gemmt_kernelIlLi16ELi32ELi8ELc78ELc67ELc85ELb0ELb1E19rocblas_complex_numIdEPKS1_PKS3_PKPS1_EviT_T9_T10_S9_lSB_S9_lSA_T11_S9_li
                                        ; -- End function
	.set _ZL29rocblas_internal_gemmt_kernelIlLi16ELi32ELi8ELc78ELc67ELc85ELb0ELb1E19rocblas_complex_numIdEPKS1_PKS3_PKPS1_EviT_T9_T10_S9_lSB_S9_lSA_T11_S9_li.num_vgpr, 134
	.set _ZL29rocblas_internal_gemmt_kernelIlLi16ELi32ELi8ELc78ELc67ELc85ELb0ELb1E19rocblas_complex_numIdEPKS1_PKS3_PKPS1_EviT_T9_T10_S9_lSB_S9_lSA_T11_S9_li.num_agpr, 0
	.set _ZL29rocblas_internal_gemmt_kernelIlLi16ELi32ELi8ELc78ELc67ELc85ELb0ELb1E19rocblas_complex_numIdEPKS1_PKS3_PKPS1_EviT_T9_T10_S9_lSB_S9_lSA_T11_S9_li.numbered_sgpr, 45
	.set _ZL29rocblas_internal_gemmt_kernelIlLi16ELi32ELi8ELc78ELc67ELc85ELb0ELb1E19rocblas_complex_numIdEPKS1_PKS3_PKPS1_EviT_T9_T10_S9_lSB_S9_lSA_T11_S9_li.num_named_barrier, 0
	.set _ZL29rocblas_internal_gemmt_kernelIlLi16ELi32ELi8ELc78ELc67ELc85ELb0ELb1E19rocblas_complex_numIdEPKS1_PKS3_PKPS1_EviT_T9_T10_S9_lSB_S9_lSA_T11_S9_li.private_seg_size, 0
	.set _ZL29rocblas_internal_gemmt_kernelIlLi16ELi32ELi8ELc78ELc67ELc85ELb0ELb1E19rocblas_complex_numIdEPKS1_PKS3_PKPS1_EviT_T9_T10_S9_lSB_S9_lSA_T11_S9_li.uses_vcc, 1
	.set _ZL29rocblas_internal_gemmt_kernelIlLi16ELi32ELi8ELc78ELc67ELc85ELb0ELb1E19rocblas_complex_numIdEPKS1_PKS3_PKPS1_EviT_T9_T10_S9_lSB_S9_lSA_T11_S9_li.uses_flat_scratch, 0
	.set _ZL29rocblas_internal_gemmt_kernelIlLi16ELi32ELi8ELc78ELc67ELc85ELb0ELb1E19rocblas_complex_numIdEPKS1_PKS3_PKPS1_EviT_T9_T10_S9_lSB_S9_lSA_T11_S9_li.has_dyn_sized_stack, 0
	.set _ZL29rocblas_internal_gemmt_kernelIlLi16ELi32ELi8ELc78ELc67ELc85ELb0ELb1E19rocblas_complex_numIdEPKS1_PKS3_PKPS1_EviT_T9_T10_S9_lSB_S9_lSA_T11_S9_li.has_recursion, 0
	.set _ZL29rocblas_internal_gemmt_kernelIlLi16ELi32ELi8ELc78ELc67ELc85ELb0ELb1E19rocblas_complex_numIdEPKS1_PKS3_PKPS1_EviT_T9_T10_S9_lSB_S9_lSA_T11_S9_li.has_indirect_call, 0
	.section	.AMDGPU.csdata,"",@progbits
; Kernel info:
; codeLenInByte = 3016
; TotalNumSgprs: 47
; NumVgprs: 134
; ScratchSize: 0
; MemoryBound: 1
; FloatMode: 240
; IeeeMode: 1
; LDSByteSize: 8192 bytes/workgroup (compile time only)
; SGPRBlocks: 0
; VGPRBlocks: 8
; NumSGPRsForWavesPerEU: 47
; NumVGPRsForWavesPerEU: 134
; NamedBarCnt: 0
; Occupancy: 7
; WaveLimiterHint : 1
; COMPUTE_PGM_RSRC2:SCRATCH_EN: 0
; COMPUTE_PGM_RSRC2:USER_SGPR: 2
; COMPUTE_PGM_RSRC2:TRAP_HANDLER: 0
; COMPUTE_PGM_RSRC2:TGID_X_EN: 1
; COMPUTE_PGM_RSRC2:TGID_Y_EN: 1
; COMPUTE_PGM_RSRC2:TGID_Z_EN: 1
; COMPUTE_PGM_RSRC2:TIDIG_COMP_CNT: 1
	.section	.text._ZL29rocblas_internal_gemmt_kernelIlLi16ELi32ELi8ELc84ELc78ELc85ELb0ELb0E19rocblas_complex_numIdEPKS1_PKS3_PKPS1_EviT_T9_T10_S9_lSB_S9_lSA_T11_S9_li,"axG",@progbits,_ZL29rocblas_internal_gemmt_kernelIlLi16ELi32ELi8ELc84ELc78ELc85ELb0ELb0E19rocblas_complex_numIdEPKS1_PKS3_PKPS1_EviT_T9_T10_S9_lSB_S9_lSA_T11_S9_li,comdat
	.globl	_ZL29rocblas_internal_gemmt_kernelIlLi16ELi32ELi8ELc84ELc78ELc85ELb0ELb0E19rocblas_complex_numIdEPKS1_PKS3_PKPS1_EviT_T9_T10_S9_lSB_S9_lSA_T11_S9_li ; -- Begin function _ZL29rocblas_internal_gemmt_kernelIlLi16ELi32ELi8ELc84ELc78ELc85ELb0ELb0E19rocblas_complex_numIdEPKS1_PKS3_PKPS1_EviT_T9_T10_S9_lSB_S9_lSA_T11_S9_li
	.p2align	8
	.type	_ZL29rocblas_internal_gemmt_kernelIlLi16ELi32ELi8ELc84ELc78ELc85ELb0ELb0E19rocblas_complex_numIdEPKS1_PKS3_PKPS1_EviT_T9_T10_S9_lSB_S9_lSA_T11_S9_li,@function
_ZL29rocblas_internal_gemmt_kernelIlLi16ELi32ELi8ELc84ELc78ELc85ELb0ELb0E19rocblas_complex_numIdEPKS1_PKS3_PKPS1_EviT_T9_T10_S9_lSB_S9_lSA_T11_S9_li: ; @_ZL29rocblas_internal_gemmt_kernelIlLi16ELi32ELi8ELc84ELc78ELc85ELb0ELb0E19rocblas_complex_numIdEPKS1_PKS3_PKPS1_EviT_T9_T10_S9_lSB_S9_lSA_T11_S9_li
; %bb.0:
	s_clause 0x1
	s_load_b256 s[24:31], s[0:1], 0x48
	s_load_b512 s[8:23], s[0:1], 0x8
	s_wait_kmcnt 0x0
	s_load_b128 s[36:39], s[24:25], 0x0
	s_load_b128 s[40:43], s[10:11], 0x0
	s_wait_kmcnt 0x0
	v_cmp_eq_f64_e64 s2, s[36:37], 1.0
	v_cmp_eq_f64_e64 s3, s[38:39], 0
	s_and_b32 s2, s2, s3
	s_delay_alu instid0(SALU_CYCLE_1)
	s_and_not1_b32 vcc_lo, exec_lo, s2
	s_mov_b32 s2, -1
	s_cbranch_vccnz .LBB543_3
; %bb.1:
	s_cmp_lg_u64 s[8:9], 0
	s_cbranch_scc0 .LBB543_41
; %bb.2:
	v_cmp_neq_f64_e64 s2, s[40:41], 0
	v_cmp_neq_f64_e64 s4, s[42:43], 0
	s_or_b32 s2, s2, s4
.LBB543_3:
	s_delay_alu instid0(SALU_CYCLE_1)
	s_and_b32 vcc_lo, exec_lo, s2
	s_cbranch_vccz .LBB543_42
; %bb.4:
	s_load_b32 s24, s[0:1], 0x68
	s_bfe_u32 s2, ttmp6, 0x40014
	s_lshr_b32 s4, ttmp7, 16
	s_add_co_i32 s2, s2, 1
	s_bfe_u32 s6, ttmp6, 0x40008
	s_mul_i32 s5, s4, s2
	s_getreg_b32 s2, hwreg(HW_REG_IB_STS2, 6, 4)
	s_add_co_i32 s6, s6, s5
	s_cmp_eq_u32 s2, 0
	s_mov_b32 s7, 0
	s_cselect_b32 s6, s4, s6
	s_wait_kmcnt 0x0
	s_cmp_ge_u32 s6, s24
	s_cbranch_scc1 .LBB543_42
; %bb.5:
	v_and_b32_e32 v19, 0x3ff, v0
	v_bfe_u32 v21, v0, 10, 10
	s_load_b32 s10, s[0:1], 0x0
	s_wait_xcnt 0x0
	s_bfe_u32 s1, ttmp6, 0x4000c
	s_bfe_u32 s25, ttmp6, 0x40010
	s_and_b32 s11, ttmp7, 0xffff
	s_add_co_i32 s1, s1, 1
	s_add_co_i32 s25, s25, 1
	v_lshl_add_u32 v1, v21, 4, v19
	s_and_b32 s0, ttmp6, 15
	s_bfe_u32 s33, ttmp6, 0x40004
	s_mul_i32 s1, ttmp9, s1
	s_mul_i32 s25, s11, s25
	s_add_co_i32 s0, s0, s1
	s_add_co_i32 s33, s33, s25
	s_cmp_eq_u32 s2, 0
	v_dual_lshrrev_b32 v8, 5, v1 :: v_dual_bitop2_b32 v3, 31, v1 bitop3:0x40
	s_cselect_b32 s1, s11, s33
	s_cselect_b32 s0, ttmp9, s0
	v_dual_lshrrev_b32 v7, 3, v1 :: v_dual_bitop2_b32 v6, 7, v0 bitop3:0x40
	s_lshl_b32 s2, s0, 5
	s_lshl_b32 s0, s1, 5
	s_delay_alu instid0(SALU_CYCLE_1) | instskip(NEXT) | instid1(VALU_DEP_2)
	v_dual_add_nc_u32 v2, s0, v21 :: v_dual_bitop2_b32 v0, s2, v3 bitop3:0x54
	v_add_nc_u32_e32 v4, s0, v7
	v_cmp_neq_f64_e64 s4, s[40:41], 0
	v_cmp_neq_f64_e64 s5, s[42:43], 0
	v_cmp_neq_f64_e64 s25, s[36:37], 0
	v_dual_add_nc_u32 v22, 16, v2 :: v_dual_lshlrev_b32 v9, 4, v3
	v_ashrrev_i32_e32 v1, 31, v0
	v_dual_ashrrev_i32 v5, 31, v4 :: v_dual_ashrrev_i32 v3, 31, v2
	s_delay_alu instid0(VALU_DEP_3) | instskip(SKIP_1) | instid1(VALU_DEP_4)
	v_ashrrev_i32_e32 v23, 31, v22
	v_dual_lshlrev_b32 v18, 4, v6 :: v_dual_lshlrev_b32 v44, 4, v19
	v_mul_u64_e32 v[10:11], s[14:15], v[0:1]
	s_delay_alu instid0(VALU_DEP_4) | instskip(SKIP_1) | instid1(VALU_DEP_4)
	v_mul_u64_e32 v[12:13], s[20:21], v[4:5]
	v_mul_u64_e32 v[14:15], s[28:29], v[2:3]
	v_lshl_or_b32 v1, v7, 7, v18
	v_add_nc_u32_e32 v18, s2, v19
	v_mul_u64_e32 v[16:17], s[28:29], v[22:23]
	s_wait_kmcnt 0x0
	v_cmp_gt_i32_e64 s1, s10, v2
	v_cmp_gt_i64_e64 s11, s[8:9], 0
	s_xor_b32 s3, s3, -1
	v_cmp_le_i32_e64 s2, v18, v2
	v_dual_add_nc_u32 v20, 16, v18 :: v_dual_ashrrev_i32 v19, 31, v18
	v_cmp_gt_i32_e32 vcc_lo, s10, v4
	v_cmp_gt_i32_e64 s0, s10, v0
	v_cmp_le_i32_e64 s20, s10, v0
	v_lshl_or_b32 v7, v8, 9, v9
	v_add_nc_u32_e32 v9, 0x1000, v1
	v_lshl_add_u32 v45, v21, 7, 0x1000
	v_dual_ashrrev_i32 v21, 31, v20 :: v_dual_mov_b32 v1, 0
	s_or_b32 s33, s4, s5
	s_or_b32 s21, s25, s3
	s_and_b32 s25, s1, s2
	v_cmp_le_i32_e64 s2, v20, v2
	v_cmp_gt_i32_e64 s3, s10, v22
	v_cmp_le_i32_e64 s4, v18, v22
	v_cmp_le_i32_e64 s5, v20, v22
	s_and_b32 s33, s33, s11
	s_and_b32 s1, s1, s2
	s_lshl_b64 s[10:11], s[30:31], 4
	s_and_b32 s28, s3, s4
	s_and_b32 s29, s3, s5
	s_lshl_b64 s[2:3], s[22:23], 4
	s_lshl_b64 s[4:5], s[16:17], 4
	s_xor_b32 s16, vcc_lo, -1
                                        ; implicit-def: $vgpr22_vgpr23
	s_branch .LBB543_7
.LBB543_6:                              ;   in Loop: Header=BB543_7 Depth=1
	s_wait_xcnt 0x0
	s_or_b32 exec_lo, exec_lo, s14
	s_add_co_i32 s6, s6, 0x10000
	s_delay_alu instid0(SALU_CYCLE_1)
	s_cmp_lt_u32 s6, s24
	s_cbranch_scc0 .LBB543_42
.LBB543_7:                              ; =>This Loop Header: Depth=1
                                        ;     Child Loop BB543_10 Depth 2
	v_mov_b32_e32 v0, s6
	v_mov_b64_e32 v[40:41], 0
	s_and_not1_b32 vcc_lo, exec_lo, s33
	global_load_b64 v[4:5], v0, s[26:27] scale_offset
	s_cbranch_vccnz .LBB543_20
; %bb.8:                                ;   in Loop: Header=BB543_7 Depth=1
	s_lshl_b64 s[14:15], s[6:7], 3
	v_mov_b64_e32 v[24:25], 0
	s_add_nc_u64 s[22:23], s[12:13], s[14:15]
	s_add_nc_u64 s[14:15], s[18:19], s[14:15]
	s_clause 0x1
	global_load_b64 v[2:3], v1, s[22:23]
	global_load_b64 v[28:29], v1, s[14:15]
	v_mov_b64_e32 v[26:27], 0
	v_mov_b64_e32 v[34:35], 0
	;; [unrolled: 1-line block ×7, first 2 shown]
	s_wait_xcnt 0x0
	s_mov_b64 s[14:15], 0
	s_wait_loadcnt 0x1
	v_add_nc_u64_e32 v[2:3], s[4:5], v[2:3]
	s_wait_loadcnt 0x0
	v_add_nc_u64_e32 v[30:31], s[2:3], v[28:29]
	s_delay_alu instid0(VALU_DEP_2) | instskip(NEXT) | instid1(VALU_DEP_2)
	v_lshl_add_u64 v[28:29], v[10:11], 4, v[2:3]
	v_lshl_add_u64 v[30:31], v[12:13], 4, v[30:31]
	s_branch .LBB543_10
.LBB543_9:                              ;   in Loop: Header=BB543_10 Depth=2
	s_wait_xcnt 0x0
	s_or_b32 exec_lo, exec_lo, s17
	s_wait_dscnt 0x0
	s_barrier_signal -1
	s_barrier_wait -1
	ds_load_b128 v[46:49], v45
	ds_load_b128 v[50:53], v44
	ds_load_b128 v[54:57], v44 offset:256
	ds_load_b128 v[58:61], v45 offset:2048
	;; [unrolled: 1-line block ×10, first 2 shown]
	s_add_nc_u64 s[14:15], s[14:15], 8
	s_delay_alu instid0(SALU_CYCLE_1)
	v_cmp_gt_i64_e64 s17, s[8:9], s[14:15]
	s_and_b32 vcc_lo, exec_lo, s17
	s_wait_dscnt 0xa
	v_mul_f64_e32 v[2:3], v[48:49], v[52:53]
	v_mul_f64_e32 v[94:95], v[46:47], v[52:53]
	s_wait_dscnt 0x9
	v_mul_f64_e32 v[96:97], v[48:49], v[56:57]
	v_mul_f64_e32 v[98:99], v[46:47], v[56:57]
	s_wait_dscnt 0x8
	v_mul_f64_e32 v[100:101], v[60:61], v[52:53]
	v_mul_f64_e32 v[102:103], v[58:59], v[52:53]
	v_mul_f64_e32 v[52:53], v[60:61], v[56:57]
	v_mul_f64_e32 v[104:105], v[58:59], v[56:57]
	s_wait_dscnt 0x6
	v_mul_f64_e32 v[106:107], v[64:65], v[68:69]
	v_mul_f64_e32 v[108:109], v[62:63], v[68:69]
	s_wait_dscnt 0x5
	v_mul_f64_e32 v[110:111], v[64:65], v[72:73]
	v_mul_f64_e32 v[112:113], v[62:63], v[72:73]
	s_wait_dscnt 0x4
	v_mul_f64_e32 v[114:115], v[76:77], v[68:69]
	v_mul_f64_e32 v[68:69], v[74:75], v[68:69]
	v_mul_f64_e32 v[116:117], v[76:77], v[72:73]
	v_mul_f64_e32 v[72:73], v[74:75], v[72:73]
	;; [unrolled: 11-line block ×3, first 2 shown]
	v_fma_f64 v[2:3], v[46:47], v[50:51], -v[2:3]
	v_fmac_f64_e32 v[94:95], v[48:49], v[50:51]
	v_fma_f64 v[96:97], v[46:47], v[54:55], -v[96:97]
	v_fmac_f64_e32 v[98:99], v[48:49], v[54:55]
	;; [unrolled: 2-line block ×8, first 2 shown]
	ds_load_b128 v[46:49], v45 offset:48
	ds_load_b128 v[50:53], v45 offset:2096
	;; [unrolled: 1-line block ×4, first 2 shown]
	v_fma_f64 v[120:121], v[78:79], v[82:83], -v[120:121]
	v_fmac_f64_e32 v[122:123], v[80:81], v[82:83]
	v_fma_f64 v[78:79], v[78:79], v[86:87], -v[124:125]
	v_fmac_f64_e32 v[126:127], v[80:81], v[86:87]
	;; [unrolled: 2-line block ×4, first 2 shown]
	v_add_f64_e32 v[2:3], v[40:41], v[2:3]
	v_add_f64_e32 v[70:71], v[94:95], v[42:43]
	;; [unrolled: 1-line block ×8, first 2 shown]
	s_wait_dscnt 0x1
	v_mul_f64_e32 v[102:103], v[48:49], v[56:57]
	v_mul_f64_e32 v[104:105], v[46:47], v[56:57]
	s_wait_dscnt 0x0
	v_mul_f64_e32 v[110:111], v[48:49], v[60:61]
	v_mul_f64_e32 v[114:115], v[46:47], v[60:61]
	;; [unrolled: 1-line block ×6, first 2 shown]
	ds_load_b128 v[24:27], v45 offset:64
	ds_load_b128 v[32:35], v44 offset:2048
	;; [unrolled: 1-line block ×4, first 2 shown]
	v_add_f64_e32 v[2:3], v[2:3], v[106:107]
	v_add_f64_e32 v[86:87], v[108:109], v[70:71]
	;; [unrolled: 1-line block ×8, first 2 shown]
	s_wait_dscnt 0x2
	v_mul_f64_e32 v[100:101], v[26:27], v[34:35]
	v_mul_f64_e32 v[106:107], v[24:25], v[34:35]
	s_wait_dscnt 0x1
	v_mul_f64_e32 v[108:109], v[26:27], v[38:39]
	v_mul_f64_e32 v[112:113], v[24:25], v[38:39]
	;; [unrolled: 3-line block ×3, first 2 shown]
	v_mul_f64_e32 v[34:35], v[42:43], v[38:39]
	v_mul_f64_e32 v[130:131], v[40:41], v[38:39]
	v_fma_f64 v[38:39], v[46:47], v[54:55], -v[102:103]
	v_fmac_f64_e32 v[104:105], v[48:49], v[54:55]
	v_fma_f64 v[102:103], v[46:47], v[58:59], -v[110:111]
	v_fmac_f64_e32 v[114:115], v[48:49], v[58:59]
	;; [unrolled: 2-line block ×4, first 2 shown]
	ds_load_b128 v[60:63], v45 offset:80
	ds_load_b128 v[64:67], v45 offset:2128
	;; [unrolled: 1-line block ×4, first 2 shown]
	v_add_f64_e32 v[2:3], v[2:3], v[120:121]
	v_add_f64_e32 v[58:59], v[122:123], v[86:87]
	v_add_f64_e32 v[86:87], v[90:91], v[78:79]
	v_add_f64_e32 v[90:91], v[126:127], v[76:77]
	v_add_f64_e32 v[80:81], v[92:93], v[80:81]
	v_add_f64_e32 v[84:85], v[84:85], v[94:95]
	v_add_f64_e32 v[82:83], v[96:97], v[82:83]
	v_add_f64_e32 v[88:89], v[88:89], v[98:99]
	v_fma_f64 v[100:101], v[24:25], v[32:33], -v[100:101]
	v_fmac_f64_e32 v[106:107], v[26:27], v[32:33]
	v_fma_f64 v[108:109], v[24:25], v[36:37], -v[108:109]
	s_wait_dscnt 0x1
	v_mul_f64_e32 v[92:93], v[62:63], v[70:71]
	v_mul_f64_e32 v[94:95], v[60:61], v[70:71]
	s_wait_dscnt 0x0
	v_mul_f64_e32 v[96:97], v[62:63], v[74:75]
	v_mul_f64_e32 v[98:99], v[60:61], v[74:75]
	;; [unrolled: 1-line block ×6, first 2 shown]
	v_fmac_f64_e32 v[112:113], v[26:27], v[36:37]
	v_fma_f64 v[124:125], v[40:41], v[32:33], -v[124:125]
	v_fmac_f64_e32 v[128:129], v[42:43], v[32:33]
	v_fma_f64 v[126:127], v[40:41], v[36:37], -v[34:35]
	v_fmac_f64_e32 v[130:131], v[42:43], v[36:37]
	ds_load_b128 v[46:49], v45 offset:96
	ds_load_b128 v[50:53], v44 offset:3072
	;; [unrolled: 1-line block ×4, first 2 shown]
	v_add_f64_e32 v[2:3], v[2:3], v[38:39]
	v_add_f64_e32 v[58:59], v[104:105], v[58:59]
	;; [unrolled: 1-line block ×8, first 2 shown]
	ds_load_b128 v[24:27], v45 offset:112
	ds_load_b128 v[32:35], v45 offset:2160
	;; [unrolled: 1-line block ×4, first 2 shown]
	s_wait_dscnt 0x0
	v_mul_f64_e32 v[102:103], v[48:49], v[52:53]
	v_mul_f64_e32 v[104:105], v[46:47], v[52:53]
	;; [unrolled: 1-line block ×8, first 2 shown]
	v_fma_f64 v[92:93], v[60:61], v[68:69], -v[92:93]
	v_fmac_f64_e32 v[94:95], v[62:63], v[68:69]
	v_fma_f64 v[60:61], v[60:61], v[72:73], -v[96:97]
	v_fmac_f64_e32 v[98:99], v[62:63], v[72:73]
	;; [unrolled: 2-line block ×4, first 2 shown]
	s_barrier_signal -1
	s_barrier_wait -1
	v_mul_f64_e32 v[96:97], v[24:25], v[42:43]
	v_add_f64_e32 v[2:3], v[2:3], v[100:101]
	v_add_f64_e32 v[58:59], v[106:107], v[58:59]
	;; [unrolled: 1-line block ×8, first 2 shown]
	v_mul_f64_e32 v[86:87], v[26:27], v[38:39]
	v_mul_f64_e32 v[88:89], v[24:25], v[38:39]
	;; [unrolled: 1-line block ×7, first 2 shown]
	v_fma_f64 v[42:43], v[46:47], v[50:51], -v[102:103]
	v_fmac_f64_e32 v[104:105], v[48:49], v[50:51]
	v_fma_f64 v[46:47], v[46:47], v[54:55], -v[110:111]
	v_fmac_f64_e32 v[114:115], v[48:49], v[54:55]
	v_fma_f64 v[48:49], v[76:77], v[50:51], -v[116:117]
	v_fmac_f64_e32 v[52:53], v[78:79], v[50:51]
	v_fma_f64 v[50:51], v[76:77], v[54:55], -v[118:119]
	v_fmac_f64_e32 v[56:57], v[78:79], v[54:55]
	v_fmac_f64_e32 v[96:97], v[26:27], v[40:41]
	v_add_f64_e32 v[2:3], v[2:3], v[92:93]
	v_add_f64_e32 v[54:55], v[94:95], v[58:59]
	v_add_f64_e32 v[58:59], v[66:67], v[60:61]
	v_add_f64_e32 v[60:61], v[98:99], v[68:69]
	v_add_f64_e32 v[62:63], v[72:73], v[62:63]
	v_add_f64_e32 v[66:67], v[70:71], v[80:81]
	v_add_f64_e32 v[64:65], v[82:83], v[64:65]
	v_add_f64_e32 v[68:69], v[74:75], v[84:85]
	v_fma_f64 v[70:71], v[24:25], v[36:37], -v[86:87]
	v_fmac_f64_e32 v[88:89], v[26:27], v[36:37]
	v_fma_f64 v[24:25], v[24:25], v[40:41], -v[90:91]
	v_fma_f64 v[26:27], v[32:33], v[36:37], -v[100:101]
	v_fmac_f64_e32 v[106:107], v[34:35], v[36:37]
	v_fma_f64 v[72:73], v[32:33], v[40:41], -v[38:39]
	v_fmac_f64_e32 v[108:109], v[34:35], v[40:41]
	v_add_f64_e32 v[2:3], v[2:3], v[42:43]
	v_add_f64_e32 v[32:33], v[104:105], v[54:55]
	v_add_f64_e32 v[34:35], v[58:59], v[46:47]
	v_add_f64_e32 v[38:39], v[114:115], v[60:61]
	v_add_f64_e32 v[46:47], v[62:63], v[48:49]
	v_add_f64_e32 v[48:49], v[52:53], v[66:67]
	v_add_f64_e32 v[50:51], v[64:65], v[50:51]
	v_add_f64_e32 v[52:53], v[56:57], v[68:69]
	v_add_f64_e32 v[40:41], v[2:3], v[70:71]
	v_add_f64_e32 v[42:43], v[88:89], v[32:33]
	v_add_f64_e32 v[36:37], v[34:35], v[24:25]
	v_add_f64_e32 v[38:39], v[96:97], v[38:39]
	v_add_f64_e32 v[32:33], v[46:47], v[26:27]
	v_add_f64_e32 v[34:35], v[106:107], v[48:49]
	v_add_f64_e32 v[26:27], v[50:51], v[72:73]
	v_add_f64_e32 v[24:25], v[108:109], v[52:53]
	s_cbranch_vccz .LBB543_21
.LBB543_10:                             ;   Parent Loop BB543_7 Depth=1
                                        ; =>  This Inner Loop Header: Depth=2
	s_mov_b32 s17, 0
	s_mov_b32 s23, s20
	s_and_saveexec_b32 s22, s0
	s_cbranch_execnz .LBB543_18
; %bb.11:                               ;   in Loop: Header=BB543_10 Depth=2
	s_or_b32 exec_lo, exec_lo, s22
	s_and_saveexec_b32 s22, s23
	s_delay_alu instid0(SALU_CYCLE_1)
	s_xor_b32 s22, exec_lo, s22
	s_cbranch_execnz .LBB543_19
.LBB543_12:                             ;   in Loop: Header=BB543_10 Depth=2
	s_or_b32 exec_lo, exec_lo, s22
	s_and_saveexec_b32 s22, s17
	s_cbranch_execz .LBB543_14
.LBB543_13:                             ;   in Loop: Header=BB543_10 Depth=2
	v_lshl_add_u64 v[2:3], v[22:23], 4, v[28:29]
	flat_load_b128 v[46:49], v[2:3]
	s_wait_loadcnt_dscnt 0x0
	ds_store_2addr_b64 v7, v[46:47], v[48:49] offset1:1
.LBB543_14:                             ;   in Loop: Header=BB543_10 Depth=2
	s_wait_xcnt 0x0
	s_or_b32 exec_lo, exec_lo, s22
	v_add_nc_u32_e32 v0, s14, v6
	s_delay_alu instid0(VALU_DEP_1) | instskip(SKIP_1) | instid1(SALU_CYCLE_1)
	v_cmp_le_u64_e32 vcc_lo, s[8:9], v[0:1]
	s_or_b32 s17, vcc_lo, s16
	s_and_saveexec_b32 s22, s17
	s_delay_alu instid0(SALU_CYCLE_1)
	s_xor_b32 s17, exec_lo, s22
; %bb.15:                               ;   in Loop: Header=BB543_10 Depth=2
	v_dual_mov_b32 v0, v1 :: v_dual_mov_b32 v2, v1
	v_mov_b32_e32 v3, v1
	ds_store_b128 v9, v[0:3]
; %bb.16:                               ;   in Loop: Header=BB543_10 Depth=2
	s_and_not1_saveexec_b32 s17, s17
	s_cbranch_execz .LBB543_9
; %bb.17:                               ;   in Loop: Header=BB543_10 Depth=2
	v_lshl_add_u64 v[2:3], v[0:1], 4, v[30:31]
	flat_load_b128 v[46:49], v[2:3]
	s_wait_loadcnt_dscnt 0x0
	ds_store_2addr_b64 v9, v[46:47], v[48:49] offset1:1
	s_branch .LBB543_9
.LBB543_18:                             ;   in Loop: Header=BB543_10 Depth=2
	v_add_nc_u32_e32 v0, s14, v8
	s_and_not1_b32 s23, s20, exec_lo
	s_mov_b32 s17, exec_lo
	s_delay_alu instid0(VALU_DEP_1) | instskip(SKIP_2) | instid1(SALU_CYCLE_1)
	v_cmp_le_u64_e32 vcc_lo, s[8:9], v[0:1]
	v_mov_b64_e32 v[22:23], v[0:1]
	s_and_b32 s30, vcc_lo, exec_lo
	s_or_b32 s23, s23, s30
	s_or_b32 exec_lo, exec_lo, s22
	s_and_saveexec_b32 s22, s23
	s_delay_alu instid0(SALU_CYCLE_1)
	s_xor_b32 s22, exec_lo, s22
	s_cbranch_execz .LBB543_12
.LBB543_19:                             ;   in Loop: Header=BB543_10 Depth=2
	v_dual_mov_b32 v0, v1 :: v_dual_mov_b32 v2, v1
	v_mov_b32_e32 v3, v1
	s_and_not1_b32 s17, s17, exec_lo
	ds_store_b128 v7, v[0:3]
	s_or_b32 exec_lo, exec_lo, s22
	s_and_saveexec_b32 s22, s17
	s_cbranch_execnz .LBB543_13
	s_branch .LBB543_14
.LBB543_20:                             ;   in Loop: Header=BB543_7 Depth=1
	v_mov_b64_e32 v[42:43], 0
	v_mov_b64_e32 v[36:37], 0
	;; [unrolled: 1-line block ×7, first 2 shown]
.LBB543_21:                             ;   in Loop: Header=BB543_7 Depth=1
	s_wait_loadcnt 0x0
	v_add_nc_u64_e32 v[28:29], s[10:11], v[4:5]
	s_delay_alu instid0(VALU_DEP_1)
	v_lshl_add_u64 v[30:31], v[14:15], 4, v[28:29]
	s_wait_xcnt 0x0
	s_and_saveexec_b32 s14, s25
	s_cbranch_execz .LBB543_26
; %bb.22:                               ;   in Loop: Header=BB543_7 Depth=1
	v_mul_f64_e32 v[2:3], s[42:43], v[42:43]
	v_mul_f64_e32 v[4:5], s[40:41], v[42:43]
	s_and_b32 vcc_lo, exec_lo, s21
	s_mov_b32 s15, -1
	s_delay_alu instid0(VALU_DEP_2) | instskip(NEXT) | instid1(VALU_DEP_2)
	v_fma_f64 v[2:3], s[40:41], v[40:41], -v[2:3]
	v_fmac_f64_e32 v[4:5], s[42:43], v[40:41]
	v_lshl_add_u64 v[40:41], v[18:19], 4, v[30:31]
	s_cbranch_vccz .LBB543_24
; %bb.23:                               ;   in Loop: Header=BB543_7 Depth=1
	flat_load_b128 v[46:49], v[40:41]
	s_mov_b32 s15, 0
	s_wait_loadcnt_dscnt 0x0
	v_mul_f64_e32 v[42:43], s[38:39], v[48:49]
	v_mul_f64_e32 v[48:49], s[36:37], v[48:49]
	s_delay_alu instid0(VALU_DEP_2) | instskip(NEXT) | instid1(VALU_DEP_2)
	v_fma_f64 v[42:43], s[36:37], v[46:47], -v[42:43]
	v_fmac_f64_e32 v[48:49], s[38:39], v[46:47]
	s_delay_alu instid0(VALU_DEP_2) | instskip(NEXT) | instid1(VALU_DEP_2)
	v_add_f64_e32 v[46:47], v[2:3], v[42:43]
	v_add_f64_e32 v[48:49], v[4:5], v[48:49]
	flat_store_b128 v[40:41], v[46:49]
.LBB543_24:                             ;   in Loop: Header=BB543_7 Depth=1
	s_and_not1_b32 vcc_lo, exec_lo, s15
	s_cbranch_vccnz .LBB543_26
; %bb.25:                               ;   in Loop: Header=BB543_7 Depth=1
	flat_store_b128 v[40:41], v[2:5]
.LBB543_26:                             ;   in Loop: Header=BB543_7 Depth=1
	s_wait_xcnt 0x0
	s_or_b32 exec_lo, exec_lo, s14
	s_and_saveexec_b32 s14, s1
	s_cbranch_execz .LBB543_31
; %bb.27:                               ;   in Loop: Header=BB543_7 Depth=1
	v_mul_f64_e32 v[2:3], s[42:43], v[38:39]
	v_mul_f64_e32 v[4:5], s[40:41], v[38:39]
	v_lshl_add_u64 v[30:31], v[20:21], 4, v[30:31]
	s_and_not1_b32 vcc_lo, exec_lo, s21
	s_mov_b32 s15, -1
	s_delay_alu instid0(VALU_DEP_3) | instskip(NEXT) | instid1(VALU_DEP_3)
	v_fma_f64 v[2:3], s[40:41], v[36:37], -v[2:3]
	v_fmac_f64_e32 v[4:5], s[42:43], v[36:37]
	s_cbranch_vccnz .LBB543_29
; %bb.28:                               ;   in Loop: Header=BB543_7 Depth=1
	flat_load_b128 v[36:39], v[30:31]
	s_mov_b32 s15, 0
	s_wait_loadcnt_dscnt 0x0
	v_mul_f64_e32 v[40:41], s[38:39], v[38:39]
	v_mul_f64_e32 v[38:39], s[36:37], v[38:39]
	s_delay_alu instid0(VALU_DEP_2) | instskip(NEXT) | instid1(VALU_DEP_2)
	v_fma_f64 v[40:41], s[36:37], v[36:37], -v[40:41]
	v_fmac_f64_e32 v[38:39], s[38:39], v[36:37]
	s_delay_alu instid0(VALU_DEP_2) | instskip(NEXT) | instid1(VALU_DEP_2)
	v_add_f64_e32 v[36:37], v[2:3], v[40:41]
	v_add_f64_e32 v[38:39], v[4:5], v[38:39]
	flat_store_b128 v[30:31], v[36:39]
.LBB543_29:                             ;   in Loop: Header=BB543_7 Depth=1
	s_and_not1_b32 vcc_lo, exec_lo, s15
	s_cbranch_vccnz .LBB543_31
; %bb.30:                               ;   in Loop: Header=BB543_7 Depth=1
	flat_store_b128 v[30:31], v[2:5]
.LBB543_31:                             ;   in Loop: Header=BB543_7 Depth=1
	s_wait_xcnt 0x0
	s_or_b32 exec_lo, exec_lo, s14
	v_lshl_add_u64 v[28:29], v[16:17], 4, v[28:29]
	s_and_saveexec_b32 s14, s28
	s_cbranch_execz .LBB543_36
; %bb.32:                               ;   in Loop: Header=BB543_7 Depth=1
	v_mul_f64_e32 v[2:3], s[42:43], v[34:35]
	v_mul_f64_e32 v[4:5], s[40:41], v[34:35]
	v_lshl_add_u64 v[30:31], v[18:19], 4, v[28:29]
	s_and_not1_b32 vcc_lo, exec_lo, s21
	s_mov_b32 s15, -1
	s_delay_alu instid0(VALU_DEP_3) | instskip(NEXT) | instid1(VALU_DEP_3)
	v_fma_f64 v[2:3], s[40:41], v[32:33], -v[2:3]
	v_fmac_f64_e32 v[4:5], s[42:43], v[32:33]
	s_cbranch_vccnz .LBB543_34
; %bb.33:                               ;   in Loop: Header=BB543_7 Depth=1
	flat_load_b128 v[32:35], v[30:31]
	s_mov_b32 s15, 0
	s_wait_loadcnt_dscnt 0x0
	v_mul_f64_e32 v[36:37], s[38:39], v[34:35]
	v_mul_f64_e32 v[34:35], s[36:37], v[34:35]
	s_delay_alu instid0(VALU_DEP_2) | instskip(NEXT) | instid1(VALU_DEP_2)
	v_fma_f64 v[36:37], s[36:37], v[32:33], -v[36:37]
	v_fmac_f64_e32 v[34:35], s[38:39], v[32:33]
	s_delay_alu instid0(VALU_DEP_2) | instskip(NEXT) | instid1(VALU_DEP_2)
	v_add_f64_e32 v[32:33], v[2:3], v[36:37]
	v_add_f64_e32 v[34:35], v[4:5], v[34:35]
	flat_store_b128 v[30:31], v[32:35]
.LBB543_34:                             ;   in Loop: Header=BB543_7 Depth=1
	s_and_not1_b32 vcc_lo, exec_lo, s15
	s_cbranch_vccnz .LBB543_36
; %bb.35:                               ;   in Loop: Header=BB543_7 Depth=1
	flat_store_b128 v[30:31], v[2:5]
.LBB543_36:                             ;   in Loop: Header=BB543_7 Depth=1
	s_wait_xcnt 0x0
	s_or_b32 exec_lo, exec_lo, s14
	s_and_saveexec_b32 s14, s29
	s_cbranch_execz .LBB543_6
; %bb.37:                               ;   in Loop: Header=BB543_7 Depth=1
	s_delay_alu instid0(VALU_DEP_4) | instskip(SKIP_4) | instid1(VALU_DEP_3)
	v_mul_f64_e32 v[2:3], s[42:43], v[24:25]
	v_mul_f64_e32 v[4:5], s[40:41], v[24:25]
	v_lshl_add_u64 v[24:25], v[20:21], 4, v[28:29]
	s_and_not1_b32 vcc_lo, exec_lo, s21
	s_mov_b32 s15, -1
	v_fma_f64 v[2:3], s[40:41], v[26:27], -v[2:3]
	s_delay_alu instid0(VALU_DEP_3)
	v_fmac_f64_e32 v[4:5], s[42:43], v[26:27]
	s_cbranch_vccnz .LBB543_39
; %bb.38:                               ;   in Loop: Header=BB543_7 Depth=1
	flat_load_b128 v[26:29], v[24:25]
	s_mov_b32 s15, 0
	s_wait_loadcnt_dscnt 0x0
	v_mul_f64_e32 v[30:31], s[38:39], v[28:29]
	v_mul_f64_e32 v[28:29], s[36:37], v[28:29]
	s_delay_alu instid0(VALU_DEP_2) | instskip(NEXT) | instid1(VALU_DEP_2)
	v_fma_f64 v[30:31], s[36:37], v[26:27], -v[30:31]
	v_fmac_f64_e32 v[28:29], s[38:39], v[26:27]
	s_delay_alu instid0(VALU_DEP_2) | instskip(NEXT) | instid1(VALU_DEP_2)
	v_add_f64_e32 v[26:27], v[2:3], v[30:31]
	v_add_f64_e32 v[28:29], v[4:5], v[28:29]
	flat_store_b128 v[24:25], v[26:29]
.LBB543_39:                             ;   in Loop: Header=BB543_7 Depth=1
	s_and_not1_b32 vcc_lo, exec_lo, s15
	s_cbranch_vccnz .LBB543_6
; %bb.40:                               ;   in Loop: Header=BB543_7 Depth=1
	flat_store_b128 v[24:25], v[2:5]
	s_branch .LBB543_6
.LBB543_41:
.LBB543_42:
	s_sendmsg sendmsg(MSG_DEALLOC_VGPRS)
	s_endpgm
	.section	.rodata,"a",@progbits
	.p2align	6, 0x0
	.amdhsa_kernel _ZL29rocblas_internal_gemmt_kernelIlLi16ELi32ELi8ELc84ELc78ELc85ELb0ELb0E19rocblas_complex_numIdEPKS1_PKS3_PKPS1_EviT_T9_T10_S9_lSB_S9_lSA_T11_S9_li
		.amdhsa_group_segment_fixed_size 8192
		.amdhsa_private_segment_fixed_size 0
		.amdhsa_kernarg_size 108
		.amdhsa_user_sgpr_count 2
		.amdhsa_user_sgpr_dispatch_ptr 0
		.amdhsa_user_sgpr_queue_ptr 0
		.amdhsa_user_sgpr_kernarg_segment_ptr 1
		.amdhsa_user_sgpr_dispatch_id 0
		.amdhsa_user_sgpr_kernarg_preload_length 0
		.amdhsa_user_sgpr_kernarg_preload_offset 0
		.amdhsa_user_sgpr_private_segment_size 0
		.amdhsa_wavefront_size32 1
		.amdhsa_uses_dynamic_stack 0
		.amdhsa_enable_private_segment 0
		.amdhsa_system_sgpr_workgroup_id_x 1
		.amdhsa_system_sgpr_workgroup_id_y 1
		.amdhsa_system_sgpr_workgroup_id_z 1
		.amdhsa_system_sgpr_workgroup_info 0
		.amdhsa_system_vgpr_workitem_id 1
		.amdhsa_next_free_vgpr 134
		.amdhsa_next_free_sgpr 44
		.amdhsa_named_barrier_count 0
		.amdhsa_reserve_vcc 1
		.amdhsa_float_round_mode_32 0
		.amdhsa_float_round_mode_16_64 0
		.amdhsa_float_denorm_mode_32 3
		.amdhsa_float_denorm_mode_16_64 3
		.amdhsa_fp16_overflow 0
		.amdhsa_memory_ordered 1
		.amdhsa_forward_progress 1
		.amdhsa_inst_pref_size 24
		.amdhsa_round_robin_scheduling 0
		.amdhsa_exception_fp_ieee_invalid_op 0
		.amdhsa_exception_fp_denorm_src 0
		.amdhsa_exception_fp_ieee_div_zero 0
		.amdhsa_exception_fp_ieee_overflow 0
		.amdhsa_exception_fp_ieee_underflow 0
		.amdhsa_exception_fp_ieee_inexact 0
		.amdhsa_exception_int_div_zero 0
	.end_amdhsa_kernel
	.section	.text._ZL29rocblas_internal_gemmt_kernelIlLi16ELi32ELi8ELc84ELc78ELc85ELb0ELb0E19rocblas_complex_numIdEPKS1_PKS3_PKPS1_EviT_T9_T10_S9_lSB_S9_lSA_T11_S9_li,"axG",@progbits,_ZL29rocblas_internal_gemmt_kernelIlLi16ELi32ELi8ELc84ELc78ELc85ELb0ELb0E19rocblas_complex_numIdEPKS1_PKS3_PKPS1_EviT_T9_T10_S9_lSB_S9_lSA_T11_S9_li,comdat
.Lfunc_end543:
	.size	_ZL29rocblas_internal_gemmt_kernelIlLi16ELi32ELi8ELc84ELc78ELc85ELb0ELb0E19rocblas_complex_numIdEPKS1_PKS3_PKPS1_EviT_T9_T10_S9_lSB_S9_lSA_T11_S9_li, .Lfunc_end543-_ZL29rocblas_internal_gemmt_kernelIlLi16ELi32ELi8ELc84ELc78ELc85ELb0ELb0E19rocblas_complex_numIdEPKS1_PKS3_PKPS1_EviT_T9_T10_S9_lSB_S9_lSA_T11_S9_li
                                        ; -- End function
	.set _ZL29rocblas_internal_gemmt_kernelIlLi16ELi32ELi8ELc84ELc78ELc85ELb0ELb0E19rocblas_complex_numIdEPKS1_PKS3_PKPS1_EviT_T9_T10_S9_lSB_S9_lSA_T11_S9_li.num_vgpr, 134
	.set _ZL29rocblas_internal_gemmt_kernelIlLi16ELi32ELi8ELc84ELc78ELc85ELb0ELb0E19rocblas_complex_numIdEPKS1_PKS3_PKPS1_EviT_T9_T10_S9_lSB_S9_lSA_T11_S9_li.num_agpr, 0
	.set _ZL29rocblas_internal_gemmt_kernelIlLi16ELi32ELi8ELc84ELc78ELc85ELb0ELb0E19rocblas_complex_numIdEPKS1_PKS3_PKPS1_EviT_T9_T10_S9_lSB_S9_lSA_T11_S9_li.numbered_sgpr, 44
	.set _ZL29rocblas_internal_gemmt_kernelIlLi16ELi32ELi8ELc84ELc78ELc85ELb0ELb0E19rocblas_complex_numIdEPKS1_PKS3_PKPS1_EviT_T9_T10_S9_lSB_S9_lSA_T11_S9_li.num_named_barrier, 0
	.set _ZL29rocblas_internal_gemmt_kernelIlLi16ELi32ELi8ELc84ELc78ELc85ELb0ELb0E19rocblas_complex_numIdEPKS1_PKS3_PKPS1_EviT_T9_T10_S9_lSB_S9_lSA_T11_S9_li.private_seg_size, 0
	.set _ZL29rocblas_internal_gemmt_kernelIlLi16ELi32ELi8ELc84ELc78ELc85ELb0ELb0E19rocblas_complex_numIdEPKS1_PKS3_PKPS1_EviT_T9_T10_S9_lSB_S9_lSA_T11_S9_li.uses_vcc, 1
	.set _ZL29rocblas_internal_gemmt_kernelIlLi16ELi32ELi8ELc84ELc78ELc85ELb0ELb0E19rocblas_complex_numIdEPKS1_PKS3_PKPS1_EviT_T9_T10_S9_lSB_S9_lSA_T11_S9_li.uses_flat_scratch, 0
	.set _ZL29rocblas_internal_gemmt_kernelIlLi16ELi32ELi8ELc84ELc78ELc85ELb0ELb0E19rocblas_complex_numIdEPKS1_PKS3_PKPS1_EviT_T9_T10_S9_lSB_S9_lSA_T11_S9_li.has_dyn_sized_stack, 0
	.set _ZL29rocblas_internal_gemmt_kernelIlLi16ELi32ELi8ELc84ELc78ELc85ELb0ELb0E19rocblas_complex_numIdEPKS1_PKS3_PKPS1_EviT_T9_T10_S9_lSB_S9_lSA_T11_S9_li.has_recursion, 0
	.set _ZL29rocblas_internal_gemmt_kernelIlLi16ELi32ELi8ELc84ELc78ELc85ELb0ELb0E19rocblas_complex_numIdEPKS1_PKS3_PKPS1_EviT_T9_T10_S9_lSB_S9_lSA_T11_S9_li.has_indirect_call, 0
	.section	.AMDGPU.csdata,"",@progbits
; Kernel info:
; codeLenInByte = 3024
; TotalNumSgprs: 46
; NumVgprs: 134
; ScratchSize: 0
; MemoryBound: 0
; FloatMode: 240
; IeeeMode: 1
; LDSByteSize: 8192 bytes/workgroup (compile time only)
; SGPRBlocks: 0
; VGPRBlocks: 8
; NumSGPRsForWavesPerEU: 46
; NumVGPRsForWavesPerEU: 134
; NamedBarCnt: 0
; Occupancy: 7
; WaveLimiterHint : 1
; COMPUTE_PGM_RSRC2:SCRATCH_EN: 0
; COMPUTE_PGM_RSRC2:USER_SGPR: 2
; COMPUTE_PGM_RSRC2:TRAP_HANDLER: 0
; COMPUTE_PGM_RSRC2:TGID_X_EN: 1
; COMPUTE_PGM_RSRC2:TGID_Y_EN: 1
; COMPUTE_PGM_RSRC2:TGID_Z_EN: 1
; COMPUTE_PGM_RSRC2:TIDIG_COMP_CNT: 1
	.section	.text._ZL29rocblas_internal_gemmt_kernelIlLi16ELi32ELi8ELc84ELc84ELc85ELb0ELb0E19rocblas_complex_numIdEPKS1_PKS3_PKPS1_EviT_T9_T10_S9_lSB_S9_lSA_T11_S9_li,"axG",@progbits,_ZL29rocblas_internal_gemmt_kernelIlLi16ELi32ELi8ELc84ELc84ELc85ELb0ELb0E19rocblas_complex_numIdEPKS1_PKS3_PKPS1_EviT_T9_T10_S9_lSB_S9_lSA_T11_S9_li,comdat
	.globl	_ZL29rocblas_internal_gemmt_kernelIlLi16ELi32ELi8ELc84ELc84ELc85ELb0ELb0E19rocblas_complex_numIdEPKS1_PKS3_PKPS1_EviT_T9_T10_S9_lSB_S9_lSA_T11_S9_li ; -- Begin function _ZL29rocblas_internal_gemmt_kernelIlLi16ELi32ELi8ELc84ELc84ELc85ELb0ELb0E19rocblas_complex_numIdEPKS1_PKS3_PKPS1_EviT_T9_T10_S9_lSB_S9_lSA_T11_S9_li
	.p2align	8
	.type	_ZL29rocblas_internal_gemmt_kernelIlLi16ELi32ELi8ELc84ELc84ELc85ELb0ELb0E19rocblas_complex_numIdEPKS1_PKS3_PKPS1_EviT_T9_T10_S9_lSB_S9_lSA_T11_S9_li,@function
_ZL29rocblas_internal_gemmt_kernelIlLi16ELi32ELi8ELc84ELc84ELc85ELb0ELb0E19rocblas_complex_numIdEPKS1_PKS3_PKPS1_EviT_T9_T10_S9_lSB_S9_lSA_T11_S9_li: ; @_ZL29rocblas_internal_gemmt_kernelIlLi16ELi32ELi8ELc84ELc84ELc85ELb0ELb0E19rocblas_complex_numIdEPKS1_PKS3_PKPS1_EviT_T9_T10_S9_lSB_S9_lSA_T11_S9_li
; %bb.0:
	s_clause 0x1
	s_load_b256 s[24:31], s[0:1], 0x48
	s_load_b512 s[8:23], s[0:1], 0x8
	s_wait_kmcnt 0x0
	s_load_b128 s[36:39], s[24:25], 0x0
	s_load_b128 s[40:43], s[10:11], 0x0
	s_wait_kmcnt 0x0
	v_cmp_eq_f64_e64 s2, s[36:37], 1.0
	v_cmp_eq_f64_e64 s3, s[38:39], 0
	s_and_b32 s2, s2, s3
	s_delay_alu instid0(SALU_CYCLE_1)
	s_and_not1_b32 vcc_lo, exec_lo, s2
	s_mov_b32 s2, -1
	s_cbranch_vccnz .LBB544_3
; %bb.1:
	s_cmp_lg_u64 s[8:9], 0
	s_cbranch_scc0 .LBB544_41
; %bb.2:
	v_cmp_neq_f64_e64 s2, s[40:41], 0
	v_cmp_neq_f64_e64 s4, s[42:43], 0
	s_or_b32 s2, s2, s4
.LBB544_3:
	s_delay_alu instid0(SALU_CYCLE_1)
	s_and_b32 vcc_lo, exec_lo, s2
	s_cbranch_vccz .LBB544_42
; %bb.4:
	s_load_b32 s24, s[0:1], 0x68
	s_bfe_u32 s2, ttmp6, 0x40014
	s_lshr_b32 s4, ttmp7, 16
	s_add_co_i32 s2, s2, 1
	s_bfe_u32 s6, ttmp6, 0x40008
	s_mul_i32 s5, s4, s2
	s_getreg_b32 s2, hwreg(HW_REG_IB_STS2, 6, 4)
	s_add_co_i32 s6, s6, s5
	s_cmp_eq_u32 s2, 0
	s_mov_b32 s7, 0
	s_cselect_b32 s6, s4, s6
	s_wait_kmcnt 0x0
	s_cmp_ge_u32 s6, s24
	s_cbranch_scc1 .LBB544_42
; %bb.5:
	s_load_b32 s10, s[0:1], 0x0
	s_wait_xcnt 0x0
	s_bfe_u32 s1, ttmp6, 0x4000c
	s_bfe_u32 s25, ttmp6, 0x40010
	s_and_b32 s11, ttmp7, 0xffff
	s_add_co_i32 s1, s1, 1
	s_add_co_i32 s25, s25, 1
	v_and_b32_e32 v19, 0x3ff, v0
	v_bfe_u32 v21, v0, 10, 10
	s_and_b32 s0, ttmp6, 15
	s_bfe_u32 s33, ttmp6, 0x40004
	s_mul_i32 s1, ttmp9, s1
	s_mul_i32 s25, s11, s25
	s_add_co_i32 s0, s0, s1
	s_add_co_i32 s33, s33, s25
	s_cmp_eq_u32 s2, 0
	v_lshl_add_u32 v1, v21, 4, v19
	s_cselect_b32 s1, s11, s33
	s_cselect_b32 s0, ttmp9, s0
	s_lshl_b32 s1, s1, 5
	s_delay_alu instid0(VALU_DEP_1)
	v_dual_lshrrev_b32 v7, 3, v1 :: v_dual_bitop2_b32 v6, 7, v0 bitop3:0x40
	v_dual_lshrrev_b32 v8, 5, v1 :: v_dual_bitop2_b32 v9, 31, v1 bitop3:0x40
	v_add_nc_u32_e32 v0, s1, v21
	s_lshl_b32 s2, s0, 5
	s_delay_alu instid0(VALU_DEP_2) | instid1(SALU_CYCLE_1)
	v_dual_add_nc_u32 v10, s1, v7 :: v_dual_bitop2_b32 v2, s2, v9 bitop3:0x54
	v_cmp_neq_f64_e64 s4, s[40:41], 0
	s_delay_alu instid0(VALU_DEP_3) | instskip(SKIP_3) | instid1(VALU_DEP_4)
	v_add_nc_u32_e32 v4, 16, v0
	v_cmp_neq_f64_e64 s5, s[42:43], 0
	v_cmp_neq_f64_e64 s34, s[36:37], 0
	v_dual_ashrrev_i32 v3, 31, v2 :: v_dual_ashrrev_i32 v1, 31, v0
	v_dual_lshlrev_b32 v11, 4, v6 :: v_dual_ashrrev_i32 v5, 31, v4
	v_dual_lshlrev_b32 v9, 4, v9 :: v_dual_add_nc_u32 v18, s2, v19
	s_delay_alu instid0(VALU_DEP_3) | instskip(NEXT) | instid1(VALU_DEP_4)
	v_mul_u64_e32 v[12:13], s[14:15], v[2:3]
	v_mul_u64_e32 v[14:15], s[28:29], v[0:1]
	s_delay_alu instid0(VALU_DEP_4)
	v_mul_u64_e32 v[16:17], s[28:29], v[4:5]
	s_wait_kmcnt 0x0
	v_cmp_gt_i32_e64 s1, s10, v0
	v_cmp_le_i32_e64 s2, v18, v0
	v_add_nc_u32_e32 v20, 16, v18
	v_lshl_or_b32 v3, v7, 7, v11
	v_cmp_gt_i64_e64 s11, s[8:9], 0
	s_xor_b32 s3, s3, -1
	v_cmp_gt_i32_e32 vcc_lo, s10, v10
	v_dual_ashrrev_i32 v11, 31, v10 :: v_dual_lshlrev_b32 v44, 4, v19
	s_and_b32 s29, s1, s2
	v_ashrrev_i32_e32 v19, 31, v18
	v_cmp_le_i32_e64 s2, v20, v0
	v_cmp_gt_i32_e64 s0, s10, v2
	v_cmp_le_i32_e64 s25, s10, v2
	v_lshl_or_b32 v7, v8, 9, v9
	v_add_nc_u32_e32 v9, 0x1000, v3
	v_lshl_add_u32 v45, v21, 7, 0x1000
	v_dual_ashrrev_i32 v21, 31, v20 :: v_dual_mov_b32 v1, 0
	s_and_b32 s1, s1, s2
                                        ; implicit-def: $vgpr22_vgpr23
	s_or_b32 s35, s4, s5
	s_or_b32 s28, s34, s3
	v_cmp_gt_i32_e64 s3, s10, v4
	v_cmp_le_i32_e64 s4, v18, v4
	v_cmp_le_i32_e64 s5, v20, v4
	s_and_b32 s35, s35, s11
	s_lshl_b64 s[10:11], s[30:31], 4
	s_and_b32 s33, s3, s4
	s_and_b32 s34, s3, s5
	s_lshl_b64 s[2:3], s[22:23], 4
	s_lshl_b64 s[4:5], s[16:17], 4
	s_xor_b32 s16, vcc_lo, -1
	s_branch .LBB544_7
.LBB544_6:                              ;   in Loop: Header=BB544_7 Depth=1
	s_wait_xcnt 0x0
	s_or_b32 exec_lo, exec_lo, s14
	s_add_co_i32 s6, s6, 0x10000
	s_delay_alu instid0(SALU_CYCLE_1)
	s_cmp_lt_u32 s6, s24
	s_cbranch_scc0 .LBB544_42
.LBB544_7:                              ; =>This Loop Header: Depth=1
                                        ;     Child Loop BB544_10 Depth 2
	v_mov_b32_e32 v0, s6
	v_mov_b64_e32 v[40:41], 0
	s_and_not1_b32 vcc_lo, exec_lo, s35
	global_load_b64 v[4:5], v0, s[26:27] scale_offset
	s_cbranch_vccnz .LBB544_20
; %bb.8:                                ;   in Loop: Header=BB544_7 Depth=1
	s_lshl_b64 s[14:15], s[6:7], 3
	v_mov_b64_e32 v[24:25], 0
	s_add_nc_u64 s[22:23], s[12:13], s[14:15]
	s_add_nc_u64 s[14:15], s[18:19], s[14:15]
	s_clause 0x1
	global_load_b64 v[2:3], v1, s[22:23]
	global_load_b64 v[28:29], v1, s[14:15]
	v_mov_b64_e32 v[26:27], 0
	v_mov_b64_e32 v[34:35], 0
	;; [unrolled: 1-line block ×7, first 2 shown]
	s_wait_xcnt 0x0
	s_mov_b64 s[14:15], 0
	s_wait_loadcnt 0x1
	v_add_nc_u64_e32 v[2:3], s[4:5], v[2:3]
	s_wait_loadcnt 0x0
	v_add_nc_u64_e32 v[30:31], s[2:3], v[28:29]
	s_delay_alu instid0(VALU_DEP_2) | instskip(NEXT) | instid1(VALU_DEP_2)
	v_lshl_add_u64 v[28:29], v[12:13], 4, v[2:3]
	v_lshl_add_u64 v[30:31], v[10:11], 4, v[30:31]
	s_branch .LBB544_10
.LBB544_9:                              ;   in Loop: Header=BB544_10 Depth=2
	s_wait_xcnt 0x0
	s_or_b32 exec_lo, exec_lo, s17
	s_wait_dscnt 0x0
	s_barrier_signal -1
	s_barrier_wait -1
	ds_load_b128 v[46:49], v45
	ds_load_b128 v[50:53], v44
	ds_load_b128 v[54:57], v44 offset:256
	ds_load_b128 v[58:61], v45 offset:2048
	;; [unrolled: 1-line block ×10, first 2 shown]
	s_add_nc_u64 s[14:15], s[14:15], 8
	s_delay_alu instid0(SALU_CYCLE_1)
	v_cmp_gt_i64_e64 s17, s[8:9], s[14:15]
	s_and_b32 vcc_lo, exec_lo, s17
	s_wait_dscnt 0xa
	v_mul_f64_e32 v[2:3], v[48:49], v[52:53]
	v_mul_f64_e32 v[94:95], v[46:47], v[52:53]
	s_wait_dscnt 0x9
	v_mul_f64_e32 v[96:97], v[48:49], v[56:57]
	v_mul_f64_e32 v[98:99], v[46:47], v[56:57]
	s_wait_dscnt 0x8
	v_mul_f64_e32 v[100:101], v[60:61], v[52:53]
	v_mul_f64_e32 v[102:103], v[58:59], v[52:53]
	v_mul_f64_e32 v[52:53], v[60:61], v[56:57]
	v_mul_f64_e32 v[104:105], v[58:59], v[56:57]
	s_wait_dscnt 0x6
	v_mul_f64_e32 v[106:107], v[64:65], v[68:69]
	v_mul_f64_e32 v[108:109], v[62:63], v[68:69]
	s_wait_dscnt 0x5
	v_mul_f64_e32 v[110:111], v[64:65], v[72:73]
	v_mul_f64_e32 v[112:113], v[62:63], v[72:73]
	s_wait_dscnt 0x4
	v_mul_f64_e32 v[114:115], v[76:77], v[68:69]
	v_mul_f64_e32 v[68:69], v[74:75], v[68:69]
	v_mul_f64_e32 v[116:117], v[76:77], v[72:73]
	v_mul_f64_e32 v[72:73], v[74:75], v[72:73]
	;; [unrolled: 11-line block ×3, first 2 shown]
	v_fma_f64 v[2:3], v[46:47], v[50:51], -v[2:3]
	v_fmac_f64_e32 v[94:95], v[48:49], v[50:51]
	v_fma_f64 v[96:97], v[46:47], v[54:55], -v[96:97]
	v_fmac_f64_e32 v[98:99], v[48:49], v[54:55]
	;; [unrolled: 2-line block ×8, first 2 shown]
	ds_load_b128 v[46:49], v45 offset:48
	ds_load_b128 v[50:53], v45 offset:2096
	;; [unrolled: 1-line block ×4, first 2 shown]
	v_fma_f64 v[120:121], v[78:79], v[82:83], -v[120:121]
	v_fmac_f64_e32 v[122:123], v[80:81], v[82:83]
	v_fma_f64 v[78:79], v[78:79], v[86:87], -v[124:125]
	v_fmac_f64_e32 v[126:127], v[80:81], v[86:87]
	;; [unrolled: 2-line block ×4, first 2 shown]
	v_add_f64_e32 v[2:3], v[40:41], v[2:3]
	v_add_f64_e32 v[70:71], v[94:95], v[42:43]
	;; [unrolled: 1-line block ×8, first 2 shown]
	s_wait_dscnt 0x1
	v_mul_f64_e32 v[102:103], v[48:49], v[56:57]
	v_mul_f64_e32 v[104:105], v[46:47], v[56:57]
	s_wait_dscnt 0x0
	v_mul_f64_e32 v[110:111], v[48:49], v[60:61]
	v_mul_f64_e32 v[114:115], v[46:47], v[60:61]
	v_mul_f64_e32 v[116:117], v[52:53], v[56:57]
	v_mul_f64_e32 v[118:119], v[50:51], v[56:57]
	v_mul_f64_e32 v[56:57], v[52:53], v[60:61]
	v_mul_f64_e32 v[132:133], v[50:51], v[60:61]
	ds_load_b128 v[24:27], v45 offset:64
	ds_load_b128 v[32:35], v44 offset:2048
	;; [unrolled: 1-line block ×4, first 2 shown]
	v_add_f64_e32 v[2:3], v[2:3], v[106:107]
	v_add_f64_e32 v[86:87], v[108:109], v[70:71]
	;; [unrolled: 1-line block ×8, first 2 shown]
	s_wait_dscnt 0x2
	v_mul_f64_e32 v[100:101], v[26:27], v[34:35]
	v_mul_f64_e32 v[106:107], v[24:25], v[34:35]
	s_wait_dscnt 0x1
	v_mul_f64_e32 v[108:109], v[26:27], v[38:39]
	v_mul_f64_e32 v[112:113], v[24:25], v[38:39]
	s_wait_dscnt 0x0
	v_mul_f64_e32 v[124:125], v[42:43], v[34:35]
	v_mul_f64_e32 v[128:129], v[40:41], v[34:35]
	v_mul_f64_e32 v[34:35], v[42:43], v[38:39]
	v_mul_f64_e32 v[130:131], v[40:41], v[38:39]
	v_fma_f64 v[38:39], v[46:47], v[54:55], -v[102:103]
	v_fmac_f64_e32 v[104:105], v[48:49], v[54:55]
	v_fma_f64 v[102:103], v[46:47], v[58:59], -v[110:111]
	v_fmac_f64_e32 v[114:115], v[48:49], v[58:59]
	;; [unrolled: 2-line block ×4, first 2 shown]
	ds_load_b128 v[60:63], v45 offset:80
	ds_load_b128 v[64:67], v45 offset:2128
	ds_load_b128 v[68:71], v44 offset:2560
	ds_load_b128 v[72:75], v44 offset:2816
	v_add_f64_e32 v[2:3], v[2:3], v[120:121]
	v_add_f64_e32 v[58:59], v[122:123], v[86:87]
	;; [unrolled: 1-line block ×8, first 2 shown]
	v_fma_f64 v[100:101], v[24:25], v[32:33], -v[100:101]
	v_fmac_f64_e32 v[106:107], v[26:27], v[32:33]
	v_fma_f64 v[108:109], v[24:25], v[36:37], -v[108:109]
	s_wait_dscnt 0x1
	v_mul_f64_e32 v[92:93], v[62:63], v[70:71]
	v_mul_f64_e32 v[94:95], v[60:61], v[70:71]
	s_wait_dscnt 0x0
	v_mul_f64_e32 v[96:97], v[62:63], v[74:75]
	v_mul_f64_e32 v[98:99], v[60:61], v[74:75]
	;; [unrolled: 1-line block ×6, first 2 shown]
	v_fmac_f64_e32 v[112:113], v[26:27], v[36:37]
	v_fma_f64 v[124:125], v[40:41], v[32:33], -v[124:125]
	v_fmac_f64_e32 v[128:129], v[42:43], v[32:33]
	v_fma_f64 v[126:127], v[40:41], v[36:37], -v[34:35]
	v_fmac_f64_e32 v[130:131], v[42:43], v[36:37]
	ds_load_b128 v[46:49], v45 offset:96
	ds_load_b128 v[50:53], v44 offset:3072
	;; [unrolled: 1-line block ×4, first 2 shown]
	v_add_f64_e32 v[2:3], v[2:3], v[38:39]
	v_add_f64_e32 v[58:59], v[104:105], v[58:59]
	;; [unrolled: 1-line block ×8, first 2 shown]
	ds_load_b128 v[24:27], v45 offset:112
	ds_load_b128 v[32:35], v45 offset:2160
	;; [unrolled: 1-line block ×4, first 2 shown]
	s_wait_dscnt 0x0
	v_mul_f64_e32 v[102:103], v[48:49], v[52:53]
	v_mul_f64_e32 v[104:105], v[46:47], v[52:53]
	;; [unrolled: 1-line block ×8, first 2 shown]
	v_fma_f64 v[92:93], v[60:61], v[68:69], -v[92:93]
	v_fmac_f64_e32 v[94:95], v[62:63], v[68:69]
	v_fma_f64 v[60:61], v[60:61], v[72:73], -v[96:97]
	v_fmac_f64_e32 v[98:99], v[62:63], v[72:73]
	;; [unrolled: 2-line block ×4, first 2 shown]
	s_barrier_signal -1
	s_barrier_wait -1
	v_mul_f64_e32 v[96:97], v[24:25], v[42:43]
	v_add_f64_e32 v[2:3], v[2:3], v[100:101]
	v_add_f64_e32 v[58:59], v[106:107], v[58:59]
	;; [unrolled: 1-line block ×8, first 2 shown]
	v_mul_f64_e32 v[86:87], v[26:27], v[38:39]
	v_mul_f64_e32 v[88:89], v[24:25], v[38:39]
	v_mul_f64_e32 v[90:91], v[26:27], v[42:43]
	v_mul_f64_e32 v[100:101], v[34:35], v[38:39]
	v_mul_f64_e32 v[106:107], v[32:33], v[38:39]
	v_mul_f64_e32 v[38:39], v[34:35], v[42:43]
	v_mul_f64_e32 v[108:109], v[32:33], v[42:43]
	v_fma_f64 v[42:43], v[46:47], v[50:51], -v[102:103]
	v_fmac_f64_e32 v[104:105], v[48:49], v[50:51]
	v_fma_f64 v[46:47], v[46:47], v[54:55], -v[110:111]
	v_fmac_f64_e32 v[114:115], v[48:49], v[54:55]
	;; [unrolled: 2-line block ×4, first 2 shown]
	v_fmac_f64_e32 v[96:97], v[26:27], v[40:41]
	v_add_f64_e32 v[2:3], v[2:3], v[92:93]
	v_add_f64_e32 v[54:55], v[94:95], v[58:59]
	;; [unrolled: 1-line block ×8, first 2 shown]
	v_fma_f64 v[70:71], v[24:25], v[36:37], -v[86:87]
	v_fmac_f64_e32 v[88:89], v[26:27], v[36:37]
	v_fma_f64 v[24:25], v[24:25], v[40:41], -v[90:91]
	v_fma_f64 v[26:27], v[32:33], v[36:37], -v[100:101]
	v_fmac_f64_e32 v[106:107], v[34:35], v[36:37]
	v_fma_f64 v[72:73], v[32:33], v[40:41], -v[38:39]
	v_fmac_f64_e32 v[108:109], v[34:35], v[40:41]
	v_add_f64_e32 v[2:3], v[2:3], v[42:43]
	v_add_f64_e32 v[32:33], v[104:105], v[54:55]
	;; [unrolled: 1-line block ×16, first 2 shown]
	s_cbranch_vccz .LBB544_21
.LBB544_10:                             ;   Parent Loop BB544_7 Depth=1
                                        ; =>  This Inner Loop Header: Depth=2
	s_mov_b32 s17, 0
	s_mov_b32 s23, s25
	s_and_saveexec_b32 s22, s0
	s_cbranch_execnz .LBB544_18
; %bb.11:                               ;   in Loop: Header=BB544_10 Depth=2
	s_or_b32 exec_lo, exec_lo, s22
	s_and_saveexec_b32 s22, s23
	s_delay_alu instid0(SALU_CYCLE_1)
	s_xor_b32 s22, exec_lo, s22
	s_cbranch_execnz .LBB544_19
.LBB544_12:                             ;   in Loop: Header=BB544_10 Depth=2
	s_or_b32 exec_lo, exec_lo, s22
	s_and_saveexec_b32 s22, s17
	s_cbranch_execz .LBB544_14
.LBB544_13:                             ;   in Loop: Header=BB544_10 Depth=2
	v_lshl_add_u64 v[2:3], v[22:23], 4, v[28:29]
	flat_load_b128 v[46:49], v[2:3]
	s_wait_loadcnt_dscnt 0x0
	ds_store_2addr_b64 v7, v[46:47], v[48:49] offset1:1
.LBB544_14:                             ;   in Loop: Header=BB544_10 Depth=2
	s_wait_xcnt 0x0
	s_or_b32 exec_lo, exec_lo, s22
	v_add_nc_u32_e32 v0, s14, v6
	s_delay_alu instid0(VALU_DEP_1) | instskip(SKIP_1) | instid1(SALU_CYCLE_1)
	v_cmp_le_u64_e32 vcc_lo, s[8:9], v[0:1]
	s_or_b32 s17, vcc_lo, s16
	s_and_saveexec_b32 s22, s17
	s_delay_alu instid0(SALU_CYCLE_1)
	s_xor_b32 s17, exec_lo, s22
; %bb.15:                               ;   in Loop: Header=BB544_10 Depth=2
	v_dual_mov_b32 v0, v1 :: v_dual_mov_b32 v2, v1
	v_mov_b32_e32 v3, v1
	ds_store_b128 v9, v[0:3]
; %bb.16:                               ;   in Loop: Header=BB544_10 Depth=2
	s_and_not1_saveexec_b32 s17, s17
	s_cbranch_execz .LBB544_9
; %bb.17:                               ;   in Loop: Header=BB544_10 Depth=2
	v_mul_u64_e32 v[2:3], s[20:21], v[0:1]
	s_delay_alu instid0(VALU_DEP_1)
	v_lshl_add_u64 v[2:3], v[2:3], 4, v[30:31]
	flat_load_b128 v[46:49], v[2:3]
	s_wait_loadcnt_dscnt 0x0
	ds_store_2addr_b64 v9, v[46:47], v[48:49] offset1:1
	s_branch .LBB544_9
.LBB544_18:                             ;   in Loop: Header=BB544_10 Depth=2
	v_add_nc_u32_e32 v0, s14, v8
	s_and_not1_b32 s23, s25, exec_lo
	s_mov_b32 s17, exec_lo
	s_delay_alu instid0(VALU_DEP_1) | instskip(SKIP_2) | instid1(SALU_CYCLE_1)
	v_cmp_le_u64_e32 vcc_lo, s[8:9], v[0:1]
	v_mov_b64_e32 v[22:23], v[0:1]
	s_and_b32 s30, vcc_lo, exec_lo
	s_or_b32 s23, s23, s30
	s_or_b32 exec_lo, exec_lo, s22
	s_and_saveexec_b32 s22, s23
	s_delay_alu instid0(SALU_CYCLE_1)
	s_xor_b32 s22, exec_lo, s22
	s_cbranch_execz .LBB544_12
.LBB544_19:                             ;   in Loop: Header=BB544_10 Depth=2
	v_dual_mov_b32 v0, v1 :: v_dual_mov_b32 v2, v1
	v_mov_b32_e32 v3, v1
	s_and_not1_b32 s17, s17, exec_lo
	ds_store_b128 v7, v[0:3]
	s_or_b32 exec_lo, exec_lo, s22
	s_and_saveexec_b32 s22, s17
	s_cbranch_execnz .LBB544_13
	s_branch .LBB544_14
.LBB544_20:                             ;   in Loop: Header=BB544_7 Depth=1
	v_mov_b64_e32 v[42:43], 0
	v_mov_b64_e32 v[36:37], 0
	v_mov_b64_e32 v[38:39], 0
	v_mov_b64_e32 v[32:33], 0
	v_mov_b64_e32 v[34:35], 0
	v_mov_b64_e32 v[26:27], 0
	v_mov_b64_e32 v[24:25], 0
.LBB544_21:                             ;   in Loop: Header=BB544_7 Depth=1
	s_wait_loadcnt 0x0
	v_add_nc_u64_e32 v[28:29], s[10:11], v[4:5]
	s_delay_alu instid0(VALU_DEP_1)
	v_lshl_add_u64 v[30:31], v[14:15], 4, v[28:29]
	s_wait_xcnt 0x0
	s_and_saveexec_b32 s14, s29
	s_cbranch_execz .LBB544_26
; %bb.22:                               ;   in Loop: Header=BB544_7 Depth=1
	v_mul_f64_e32 v[2:3], s[42:43], v[42:43]
	v_mul_f64_e32 v[4:5], s[40:41], v[42:43]
	s_and_b32 vcc_lo, exec_lo, s28
	s_mov_b32 s15, -1
	s_delay_alu instid0(VALU_DEP_2) | instskip(NEXT) | instid1(VALU_DEP_2)
	v_fma_f64 v[2:3], s[40:41], v[40:41], -v[2:3]
	v_fmac_f64_e32 v[4:5], s[42:43], v[40:41]
	v_lshl_add_u64 v[40:41], v[18:19], 4, v[30:31]
	s_cbranch_vccz .LBB544_24
; %bb.23:                               ;   in Loop: Header=BB544_7 Depth=1
	flat_load_b128 v[46:49], v[40:41]
	s_mov_b32 s15, 0
	s_wait_loadcnt_dscnt 0x0
	v_mul_f64_e32 v[42:43], s[38:39], v[48:49]
	v_mul_f64_e32 v[48:49], s[36:37], v[48:49]
	s_delay_alu instid0(VALU_DEP_2) | instskip(NEXT) | instid1(VALU_DEP_2)
	v_fma_f64 v[42:43], s[36:37], v[46:47], -v[42:43]
	v_fmac_f64_e32 v[48:49], s[38:39], v[46:47]
	s_delay_alu instid0(VALU_DEP_2) | instskip(NEXT) | instid1(VALU_DEP_2)
	v_add_f64_e32 v[46:47], v[2:3], v[42:43]
	v_add_f64_e32 v[48:49], v[4:5], v[48:49]
	flat_store_b128 v[40:41], v[46:49]
.LBB544_24:                             ;   in Loop: Header=BB544_7 Depth=1
	s_and_not1_b32 vcc_lo, exec_lo, s15
	s_cbranch_vccnz .LBB544_26
; %bb.25:                               ;   in Loop: Header=BB544_7 Depth=1
	flat_store_b128 v[40:41], v[2:5]
.LBB544_26:                             ;   in Loop: Header=BB544_7 Depth=1
	s_wait_xcnt 0x0
	s_or_b32 exec_lo, exec_lo, s14
	s_and_saveexec_b32 s14, s1
	s_cbranch_execz .LBB544_31
; %bb.27:                               ;   in Loop: Header=BB544_7 Depth=1
	v_mul_f64_e32 v[2:3], s[42:43], v[38:39]
	v_mul_f64_e32 v[4:5], s[40:41], v[38:39]
	v_lshl_add_u64 v[30:31], v[20:21], 4, v[30:31]
	s_and_not1_b32 vcc_lo, exec_lo, s28
	s_mov_b32 s15, -1
	s_delay_alu instid0(VALU_DEP_3) | instskip(NEXT) | instid1(VALU_DEP_3)
	v_fma_f64 v[2:3], s[40:41], v[36:37], -v[2:3]
	v_fmac_f64_e32 v[4:5], s[42:43], v[36:37]
	s_cbranch_vccnz .LBB544_29
; %bb.28:                               ;   in Loop: Header=BB544_7 Depth=1
	flat_load_b128 v[36:39], v[30:31]
	s_mov_b32 s15, 0
	s_wait_loadcnt_dscnt 0x0
	v_mul_f64_e32 v[40:41], s[38:39], v[38:39]
	v_mul_f64_e32 v[38:39], s[36:37], v[38:39]
	s_delay_alu instid0(VALU_DEP_2) | instskip(NEXT) | instid1(VALU_DEP_2)
	v_fma_f64 v[40:41], s[36:37], v[36:37], -v[40:41]
	v_fmac_f64_e32 v[38:39], s[38:39], v[36:37]
	s_delay_alu instid0(VALU_DEP_2) | instskip(NEXT) | instid1(VALU_DEP_2)
	v_add_f64_e32 v[36:37], v[2:3], v[40:41]
	v_add_f64_e32 v[38:39], v[4:5], v[38:39]
	flat_store_b128 v[30:31], v[36:39]
.LBB544_29:                             ;   in Loop: Header=BB544_7 Depth=1
	s_and_not1_b32 vcc_lo, exec_lo, s15
	s_cbranch_vccnz .LBB544_31
; %bb.30:                               ;   in Loop: Header=BB544_7 Depth=1
	flat_store_b128 v[30:31], v[2:5]
.LBB544_31:                             ;   in Loop: Header=BB544_7 Depth=1
	s_wait_xcnt 0x0
	s_or_b32 exec_lo, exec_lo, s14
	v_lshl_add_u64 v[28:29], v[16:17], 4, v[28:29]
	s_and_saveexec_b32 s14, s33
	s_cbranch_execz .LBB544_36
; %bb.32:                               ;   in Loop: Header=BB544_7 Depth=1
	v_mul_f64_e32 v[2:3], s[42:43], v[34:35]
	v_mul_f64_e32 v[4:5], s[40:41], v[34:35]
	v_lshl_add_u64 v[30:31], v[18:19], 4, v[28:29]
	s_and_not1_b32 vcc_lo, exec_lo, s28
	s_mov_b32 s15, -1
	s_delay_alu instid0(VALU_DEP_3) | instskip(NEXT) | instid1(VALU_DEP_3)
	v_fma_f64 v[2:3], s[40:41], v[32:33], -v[2:3]
	v_fmac_f64_e32 v[4:5], s[42:43], v[32:33]
	s_cbranch_vccnz .LBB544_34
; %bb.33:                               ;   in Loop: Header=BB544_7 Depth=1
	flat_load_b128 v[32:35], v[30:31]
	s_mov_b32 s15, 0
	s_wait_loadcnt_dscnt 0x0
	v_mul_f64_e32 v[36:37], s[38:39], v[34:35]
	v_mul_f64_e32 v[34:35], s[36:37], v[34:35]
	s_delay_alu instid0(VALU_DEP_2) | instskip(NEXT) | instid1(VALU_DEP_2)
	v_fma_f64 v[36:37], s[36:37], v[32:33], -v[36:37]
	v_fmac_f64_e32 v[34:35], s[38:39], v[32:33]
	s_delay_alu instid0(VALU_DEP_2) | instskip(NEXT) | instid1(VALU_DEP_2)
	v_add_f64_e32 v[32:33], v[2:3], v[36:37]
	v_add_f64_e32 v[34:35], v[4:5], v[34:35]
	flat_store_b128 v[30:31], v[32:35]
.LBB544_34:                             ;   in Loop: Header=BB544_7 Depth=1
	s_and_not1_b32 vcc_lo, exec_lo, s15
	s_cbranch_vccnz .LBB544_36
; %bb.35:                               ;   in Loop: Header=BB544_7 Depth=1
	flat_store_b128 v[30:31], v[2:5]
.LBB544_36:                             ;   in Loop: Header=BB544_7 Depth=1
	s_wait_xcnt 0x0
	s_or_b32 exec_lo, exec_lo, s14
	s_and_saveexec_b32 s14, s34
	s_cbranch_execz .LBB544_6
; %bb.37:                               ;   in Loop: Header=BB544_7 Depth=1
	s_delay_alu instid0(VALU_DEP_4) | instskip(SKIP_4) | instid1(VALU_DEP_3)
	v_mul_f64_e32 v[2:3], s[42:43], v[24:25]
	v_mul_f64_e32 v[4:5], s[40:41], v[24:25]
	v_lshl_add_u64 v[24:25], v[20:21], 4, v[28:29]
	s_and_not1_b32 vcc_lo, exec_lo, s28
	s_mov_b32 s15, -1
	v_fma_f64 v[2:3], s[40:41], v[26:27], -v[2:3]
	s_delay_alu instid0(VALU_DEP_3)
	v_fmac_f64_e32 v[4:5], s[42:43], v[26:27]
	s_cbranch_vccnz .LBB544_39
; %bb.38:                               ;   in Loop: Header=BB544_7 Depth=1
	flat_load_b128 v[26:29], v[24:25]
	s_mov_b32 s15, 0
	s_wait_loadcnt_dscnt 0x0
	v_mul_f64_e32 v[30:31], s[38:39], v[28:29]
	v_mul_f64_e32 v[28:29], s[36:37], v[28:29]
	s_delay_alu instid0(VALU_DEP_2) | instskip(NEXT) | instid1(VALU_DEP_2)
	v_fma_f64 v[30:31], s[36:37], v[26:27], -v[30:31]
	v_fmac_f64_e32 v[28:29], s[38:39], v[26:27]
	s_delay_alu instid0(VALU_DEP_2) | instskip(NEXT) | instid1(VALU_DEP_2)
	v_add_f64_e32 v[26:27], v[2:3], v[30:31]
	v_add_f64_e32 v[28:29], v[4:5], v[28:29]
	flat_store_b128 v[24:25], v[26:29]
.LBB544_39:                             ;   in Loop: Header=BB544_7 Depth=1
	s_and_not1_b32 vcc_lo, exec_lo, s15
	s_cbranch_vccnz .LBB544_6
; %bb.40:                               ;   in Loop: Header=BB544_7 Depth=1
	flat_store_b128 v[24:25], v[2:5]
	s_branch .LBB544_6
.LBB544_41:
.LBB544_42:
	s_sendmsg sendmsg(MSG_DEALLOC_VGPRS)
	s_endpgm
	.section	.rodata,"a",@progbits
	.p2align	6, 0x0
	.amdhsa_kernel _ZL29rocblas_internal_gemmt_kernelIlLi16ELi32ELi8ELc84ELc84ELc85ELb0ELb0E19rocblas_complex_numIdEPKS1_PKS3_PKPS1_EviT_T9_T10_S9_lSB_S9_lSA_T11_S9_li
		.amdhsa_group_segment_fixed_size 8192
		.amdhsa_private_segment_fixed_size 0
		.amdhsa_kernarg_size 108
		.amdhsa_user_sgpr_count 2
		.amdhsa_user_sgpr_dispatch_ptr 0
		.amdhsa_user_sgpr_queue_ptr 0
		.amdhsa_user_sgpr_kernarg_segment_ptr 1
		.amdhsa_user_sgpr_dispatch_id 0
		.amdhsa_user_sgpr_kernarg_preload_length 0
		.amdhsa_user_sgpr_kernarg_preload_offset 0
		.amdhsa_user_sgpr_private_segment_size 0
		.amdhsa_wavefront_size32 1
		.amdhsa_uses_dynamic_stack 0
		.amdhsa_enable_private_segment 0
		.amdhsa_system_sgpr_workgroup_id_x 1
		.amdhsa_system_sgpr_workgroup_id_y 1
		.amdhsa_system_sgpr_workgroup_id_z 1
		.amdhsa_system_sgpr_workgroup_info 0
		.amdhsa_system_vgpr_workitem_id 1
		.amdhsa_next_free_vgpr 134
		.amdhsa_next_free_sgpr 44
		.amdhsa_named_barrier_count 0
		.amdhsa_reserve_vcc 1
		.amdhsa_float_round_mode_32 0
		.amdhsa_float_round_mode_16_64 0
		.amdhsa_float_denorm_mode_32 3
		.amdhsa_float_denorm_mode_16_64 3
		.amdhsa_fp16_overflow 0
		.amdhsa_memory_ordered 1
		.amdhsa_forward_progress 1
		.amdhsa_inst_pref_size 24
		.amdhsa_round_robin_scheduling 0
		.amdhsa_exception_fp_ieee_invalid_op 0
		.amdhsa_exception_fp_denorm_src 0
		.amdhsa_exception_fp_ieee_div_zero 0
		.amdhsa_exception_fp_ieee_overflow 0
		.amdhsa_exception_fp_ieee_underflow 0
		.amdhsa_exception_fp_ieee_inexact 0
		.amdhsa_exception_int_div_zero 0
	.end_amdhsa_kernel
	.section	.text._ZL29rocblas_internal_gemmt_kernelIlLi16ELi32ELi8ELc84ELc84ELc85ELb0ELb0E19rocblas_complex_numIdEPKS1_PKS3_PKPS1_EviT_T9_T10_S9_lSB_S9_lSA_T11_S9_li,"axG",@progbits,_ZL29rocblas_internal_gemmt_kernelIlLi16ELi32ELi8ELc84ELc84ELc85ELb0ELb0E19rocblas_complex_numIdEPKS1_PKS3_PKPS1_EviT_T9_T10_S9_lSB_S9_lSA_T11_S9_li,comdat
.Lfunc_end544:
	.size	_ZL29rocblas_internal_gemmt_kernelIlLi16ELi32ELi8ELc84ELc84ELc85ELb0ELb0E19rocblas_complex_numIdEPKS1_PKS3_PKPS1_EviT_T9_T10_S9_lSB_S9_lSA_T11_S9_li, .Lfunc_end544-_ZL29rocblas_internal_gemmt_kernelIlLi16ELi32ELi8ELc84ELc84ELc85ELb0ELb0E19rocblas_complex_numIdEPKS1_PKS3_PKPS1_EviT_T9_T10_S9_lSB_S9_lSA_T11_S9_li
                                        ; -- End function
	.set _ZL29rocblas_internal_gemmt_kernelIlLi16ELi32ELi8ELc84ELc84ELc85ELb0ELb0E19rocblas_complex_numIdEPKS1_PKS3_PKPS1_EviT_T9_T10_S9_lSB_S9_lSA_T11_S9_li.num_vgpr, 134
	.set _ZL29rocblas_internal_gemmt_kernelIlLi16ELi32ELi8ELc84ELc84ELc85ELb0ELb0E19rocblas_complex_numIdEPKS1_PKS3_PKPS1_EviT_T9_T10_S9_lSB_S9_lSA_T11_S9_li.num_agpr, 0
	.set _ZL29rocblas_internal_gemmt_kernelIlLi16ELi32ELi8ELc84ELc84ELc85ELb0ELb0E19rocblas_complex_numIdEPKS1_PKS3_PKPS1_EviT_T9_T10_S9_lSB_S9_lSA_T11_S9_li.numbered_sgpr, 44
	.set _ZL29rocblas_internal_gemmt_kernelIlLi16ELi32ELi8ELc84ELc84ELc85ELb0ELb0E19rocblas_complex_numIdEPKS1_PKS3_PKPS1_EviT_T9_T10_S9_lSB_S9_lSA_T11_S9_li.num_named_barrier, 0
	.set _ZL29rocblas_internal_gemmt_kernelIlLi16ELi32ELi8ELc84ELc84ELc85ELb0ELb0E19rocblas_complex_numIdEPKS1_PKS3_PKPS1_EviT_T9_T10_S9_lSB_S9_lSA_T11_S9_li.private_seg_size, 0
	.set _ZL29rocblas_internal_gemmt_kernelIlLi16ELi32ELi8ELc84ELc84ELc85ELb0ELb0E19rocblas_complex_numIdEPKS1_PKS3_PKPS1_EviT_T9_T10_S9_lSB_S9_lSA_T11_S9_li.uses_vcc, 1
	.set _ZL29rocblas_internal_gemmt_kernelIlLi16ELi32ELi8ELc84ELc84ELc85ELb0ELb0E19rocblas_complex_numIdEPKS1_PKS3_PKPS1_EviT_T9_T10_S9_lSB_S9_lSA_T11_S9_li.uses_flat_scratch, 0
	.set _ZL29rocblas_internal_gemmt_kernelIlLi16ELi32ELi8ELc84ELc84ELc85ELb0ELb0E19rocblas_complex_numIdEPKS1_PKS3_PKPS1_EviT_T9_T10_S9_lSB_S9_lSA_T11_S9_li.has_dyn_sized_stack, 0
	.set _ZL29rocblas_internal_gemmt_kernelIlLi16ELi32ELi8ELc84ELc84ELc85ELb0ELb0E19rocblas_complex_numIdEPKS1_PKS3_PKPS1_EviT_T9_T10_S9_lSB_S9_lSA_T11_S9_li.has_recursion, 0
	.set _ZL29rocblas_internal_gemmt_kernelIlLi16ELi32ELi8ELc84ELc84ELc85ELb0ELb0E19rocblas_complex_numIdEPKS1_PKS3_PKPS1_EviT_T9_T10_S9_lSB_S9_lSA_T11_S9_li.has_indirect_call, 0
	.section	.AMDGPU.csdata,"",@progbits
; Kernel info:
; codeLenInByte = 3036
; TotalNumSgprs: 46
; NumVgprs: 134
; ScratchSize: 0
; MemoryBound: 0
; FloatMode: 240
; IeeeMode: 1
; LDSByteSize: 8192 bytes/workgroup (compile time only)
; SGPRBlocks: 0
; VGPRBlocks: 8
; NumSGPRsForWavesPerEU: 46
; NumVGPRsForWavesPerEU: 134
; NamedBarCnt: 0
; Occupancy: 7
; WaveLimiterHint : 1
; COMPUTE_PGM_RSRC2:SCRATCH_EN: 0
; COMPUTE_PGM_RSRC2:USER_SGPR: 2
; COMPUTE_PGM_RSRC2:TRAP_HANDLER: 0
; COMPUTE_PGM_RSRC2:TGID_X_EN: 1
; COMPUTE_PGM_RSRC2:TGID_Y_EN: 1
; COMPUTE_PGM_RSRC2:TGID_Z_EN: 1
; COMPUTE_PGM_RSRC2:TIDIG_COMP_CNT: 1
	.section	.text._ZL29rocblas_internal_gemmt_kernelIlLi16ELi32ELi8ELc84ELc67ELc85ELb0ELb1E19rocblas_complex_numIdEPKS1_PKS3_PKPS1_EviT_T9_T10_S9_lSB_S9_lSA_T11_S9_li,"axG",@progbits,_ZL29rocblas_internal_gemmt_kernelIlLi16ELi32ELi8ELc84ELc67ELc85ELb0ELb1E19rocblas_complex_numIdEPKS1_PKS3_PKPS1_EviT_T9_T10_S9_lSB_S9_lSA_T11_S9_li,comdat
	.globl	_ZL29rocblas_internal_gemmt_kernelIlLi16ELi32ELi8ELc84ELc67ELc85ELb0ELb1E19rocblas_complex_numIdEPKS1_PKS3_PKPS1_EviT_T9_T10_S9_lSB_S9_lSA_T11_S9_li ; -- Begin function _ZL29rocblas_internal_gemmt_kernelIlLi16ELi32ELi8ELc84ELc67ELc85ELb0ELb1E19rocblas_complex_numIdEPKS1_PKS3_PKPS1_EviT_T9_T10_S9_lSB_S9_lSA_T11_S9_li
	.p2align	8
	.type	_ZL29rocblas_internal_gemmt_kernelIlLi16ELi32ELi8ELc84ELc67ELc85ELb0ELb1E19rocblas_complex_numIdEPKS1_PKS3_PKPS1_EviT_T9_T10_S9_lSB_S9_lSA_T11_S9_li,@function
_ZL29rocblas_internal_gemmt_kernelIlLi16ELi32ELi8ELc84ELc67ELc85ELb0ELb1E19rocblas_complex_numIdEPKS1_PKS3_PKPS1_EviT_T9_T10_S9_lSB_S9_lSA_T11_S9_li: ; @_ZL29rocblas_internal_gemmt_kernelIlLi16ELi32ELi8ELc84ELc67ELc85ELb0ELb1E19rocblas_complex_numIdEPKS1_PKS3_PKPS1_EviT_T9_T10_S9_lSB_S9_lSA_T11_S9_li
; %bb.0:
	s_clause 0x1
	s_load_b256 s[24:31], s[0:1], 0x48
	s_load_b512 s[8:23], s[0:1], 0x8
	s_wait_kmcnt 0x0
	s_load_b128 s[36:39], s[24:25], 0x0
	s_load_b128 s[40:43], s[10:11], 0x0
	s_wait_kmcnt 0x0
	v_cmp_eq_f64_e64 s2, s[36:37], 1.0
	v_cmp_eq_f64_e64 s3, s[38:39], 0
	s_and_b32 s2, s2, s3
	s_delay_alu instid0(SALU_CYCLE_1)
	s_and_not1_b32 vcc_lo, exec_lo, s2
	s_mov_b32 s2, -1
	s_cbranch_vccnz .LBB545_3
; %bb.1:
	s_cmp_lg_u64 s[8:9], 0
	s_cbranch_scc0 .LBB545_39
; %bb.2:
	v_cmp_neq_f64_e64 s2, s[40:41], 0
	v_cmp_neq_f64_e64 s4, s[42:43], 0
	s_or_b32 s2, s2, s4
.LBB545_3:
	s_delay_alu instid0(SALU_CYCLE_1)
	s_and_b32 vcc_lo, exec_lo, s2
	s_cbranch_vccz .LBB545_40
; %bb.4:
	s_load_b32 s24, s[0:1], 0x68
	s_bfe_u32 s2, ttmp6, 0x40014
	s_lshr_b32 s4, ttmp7, 16
	s_add_co_i32 s2, s2, 1
	s_bfe_u32 s6, ttmp6, 0x40008
	s_mul_i32 s5, s4, s2
	s_getreg_b32 s2, hwreg(HW_REG_IB_STS2, 6, 4)
	s_add_co_i32 s6, s6, s5
	s_cmp_eq_u32 s2, 0
	s_mov_b32 s7, 0
	s_cselect_b32 s6, s4, s6
	s_wait_kmcnt 0x0
	s_cmp_ge_u32 s6, s24
	s_cbranch_scc1 .LBB545_40
; %bb.5:
	s_load_b32 s10, s[0:1], 0x0
	s_wait_xcnt 0x0
	s_bfe_u32 s1, ttmp6, 0x4000c
	s_bfe_u32 s25, ttmp6, 0x40010
	s_and_b32 s11, ttmp7, 0xffff
	s_add_co_i32 s1, s1, 1
	s_add_co_i32 s25, s25, 1
	v_and_b32_e32 v19, 0x3ff, v0
	v_bfe_u32 v21, v0, 10, 10
	s_and_b32 s0, ttmp6, 15
	s_bfe_u32 s33, ttmp6, 0x40004
	s_mul_i32 s1, ttmp9, s1
	s_mul_i32 s25, s11, s25
	s_add_co_i32 s0, s0, s1
	s_add_co_i32 s33, s33, s25
	s_cmp_eq_u32 s2, 0
	v_lshl_add_u32 v1, v21, 4, v19
	s_cselect_b32 s1, s11, s33
	s_cselect_b32 s0, ttmp9, s0
	s_lshl_b32 s1, s1, 5
	s_delay_alu instid0(VALU_DEP_1)
	v_dual_lshrrev_b32 v7, 3, v1 :: v_dual_bitop2_b32 v6, 7, v0 bitop3:0x40
	v_dual_lshrrev_b32 v8, 5, v1 :: v_dual_bitop2_b32 v9, 31, v1 bitop3:0x40
	v_add_nc_u32_e32 v0, s1, v21
	s_lshl_b32 s2, s0, 5
	s_delay_alu instid0(VALU_DEP_2) | instid1(SALU_CYCLE_1)
	v_dual_add_nc_u32 v10, s1, v7 :: v_dual_bitop2_b32 v2, s2, v9 bitop3:0x54
	v_cmp_neq_f64_e64 s4, s[40:41], 0
	s_delay_alu instid0(VALU_DEP_3) | instskip(SKIP_3) | instid1(VALU_DEP_4)
	v_add_nc_u32_e32 v4, 16, v0
	v_cmp_neq_f64_e64 s5, s[42:43], 0
	v_cmp_neq_f64_e64 s34, s[36:37], 0
	v_dual_ashrrev_i32 v3, 31, v2 :: v_dual_ashrrev_i32 v1, 31, v0
	v_dual_ashrrev_i32 v5, 31, v4 :: v_dual_lshlrev_b32 v11, 4, v6
	v_dual_lshlrev_b32 v9, 4, v9 :: v_dual_add_nc_u32 v18, s2, v19
	s_delay_alu instid0(VALU_DEP_3) | instskip(NEXT) | instid1(VALU_DEP_4)
	v_mul_u64_e32 v[12:13], s[14:15], v[2:3]
	v_mul_u64_e32 v[14:15], s[28:29], v[0:1]
	s_delay_alu instid0(VALU_DEP_4)
	v_mul_u64_e32 v[16:17], s[28:29], v[4:5]
	s_wait_kmcnt 0x0
	v_cmp_gt_i32_e32 vcc_lo, s10, v0
	v_cmp_le_i32_e64 s2, v18, v0
	v_add_nc_u32_e32 v20, 16, v18
	v_lshl_or_b32 v1, v7, 7, v11
	v_cmp_gt_i64_e64 s11, s[8:9], 0
	s_xor_b32 s3, s3, -1
	v_dual_ashrrev_i32 v11, 31, v10 :: v_dual_lshlrev_b32 v46, 4, v19
	s_and_b32 s29, vcc_lo, s2
	v_ashrrev_i32_e32 v19, 31, v18
	v_cmp_le_i32_e64 s2, v20, v0
	v_cmp_gt_i32_e64 s0, s10, v2
	v_cmp_le_i32_e64 s25, s10, v2
	v_lshl_or_b32 v7, v8, 9, v9
	v_cmp_gt_i32_e64 s1, s10, v10
	v_add_nc_u32_e32 v9, 0x1000, v1
	v_lshl_add_u32 v47, v21, 7, 0x1000
	v_dual_ashrrev_i32 v21, 31, v20 :: v_dual_mov_b32 v1, 0
	s_and_b32 s33, vcc_lo, s2
                                        ; implicit-def: $vgpr22_vgpr23
	s_or_b32 s44, s4, s5
	s_or_b32 s28, s34, s3
	v_cmp_gt_i32_e64 s3, s10, v4
	v_cmp_le_i32_e64 s4, v18, v4
	v_cmp_le_i32_e64 s5, v20, v4
	s_and_b32 s44, s44, s11
	s_lshl_b64 s[10:11], s[30:31], 4
	s_and_b32 s34, s3, s4
	s_and_b32 s35, s3, s5
	s_lshl_b64 s[2:3], s[22:23], 4
	s_lshl_b64 s[4:5], s[16:17], 4
	s_branch .LBB545_7
.LBB545_6:                              ;   in Loop: Header=BB545_7 Depth=1
	s_wait_xcnt 0x0
	s_or_b32 exec_lo, exec_lo, s14
	s_add_co_i32 s6, s6, 0x10000
	s_delay_alu instid0(SALU_CYCLE_1)
	s_cmp_lt_u32 s6, s24
	s_cbranch_scc0 .LBB545_40
.LBB545_7:                              ; =>This Loop Header: Depth=1
                                        ;     Child Loop BB545_10 Depth 2
	v_mov_b32_e32 v0, s6
	v_mov_b64_e32 v[42:43], 0
	s_and_not1_b32 vcc_lo, exec_lo, s44
	global_load_b64 v[24:25], v0, s[26:27] scale_offset
	s_cbranch_vccnz .LBB545_18
; %bb.8:                                ;   in Loop: Header=BB545_7 Depth=1
	s_lshl_b64 s[14:15], s[6:7], 3
	v_mov_b64_e32 v[26:27], 0
	s_add_nc_u64 s[16:17], s[12:13], s[14:15]
	s_add_nc_u64 s[14:15], s[18:19], s[14:15]
	s_clause 0x1
	global_load_b64 v[2:3], v1, s[16:17]
	global_load_b64 v[4:5], v1, s[14:15]
	v_mov_b64_e32 v[28:29], 0
	v_mov_b64_e32 v[36:37], 0
	;; [unrolled: 1-line block ×7, first 2 shown]
	s_wait_xcnt 0x0
	s_mov_b64 s[14:15], 0
	s_wait_loadcnt 0x1
	v_add_nc_u64_e32 v[2:3], s[4:5], v[2:3]
	s_wait_loadcnt 0x0
	v_add_nc_u64_e32 v[4:5], s[2:3], v[4:5]
	s_delay_alu instid0(VALU_DEP_2) | instskip(NEXT) | instid1(VALU_DEP_2)
	v_lshl_add_u64 v[30:31], v[12:13], 4, v[2:3]
	v_lshl_add_u64 v[32:33], v[10:11], 4, v[4:5]
	s_branch .LBB545_10
.LBB545_9:                              ;   in Loop: Header=BB545_10 Depth=2
	s_wait_xcnt 0x0
	s_or_b32 exec_lo, exec_lo, s16
	ds_store_b128 v9, v[2:5]
	s_wait_dscnt 0x0
	s_barrier_signal -1
	s_barrier_wait -1
	ds_load_b128 v[2:5], v47
	ds_load_b128 v[48:51], v46
	ds_load_b128 v[52:55], v46 offset:256
	ds_load_b128 v[56:59], v47 offset:2048
	;; [unrolled: 1-line block ×10, first 2 shown]
	s_add_nc_u64 s[14:15], s[14:15], 8
	s_delay_alu instid0(SALU_CYCLE_1)
	v_cmp_gt_i64_e64 s16, s[8:9], s[14:15]
	s_and_b32 vcc_lo, exec_lo, s16
	s_wait_dscnt 0xa
	v_mul_f64_e32 v[92:93], v[4:5], v[50:51]
	v_mul_f64_e32 v[94:95], v[2:3], v[50:51]
	s_wait_dscnt 0x9
	v_mul_f64_e32 v[96:97], v[4:5], v[54:55]
	v_mul_f64_e32 v[98:99], v[2:3], v[54:55]
	s_wait_dscnt 0x8
	v_mul_f64_e32 v[100:101], v[58:59], v[50:51]
	v_mul_f64_e32 v[102:103], v[56:57], v[50:51]
	v_mul_f64_e32 v[50:51], v[58:59], v[54:55]
	v_mul_f64_e32 v[104:105], v[56:57], v[54:55]
	s_wait_dscnt 0x6
	v_mul_f64_e32 v[106:107], v[62:63], v[66:67]
	v_mul_f64_e32 v[108:109], v[60:61], v[66:67]
	s_wait_dscnt 0x5
	v_mul_f64_e32 v[110:111], v[62:63], v[70:71]
	v_mul_f64_e32 v[112:113], v[60:61], v[70:71]
	s_wait_dscnt 0x4
	v_mul_f64_e32 v[114:115], v[74:75], v[66:67]
	v_mul_f64_e32 v[66:67], v[72:73], v[66:67]
	v_mul_f64_e32 v[116:117], v[74:75], v[70:71]
	v_mul_f64_e32 v[70:71], v[72:73], v[70:71]
	;; [unrolled: 11-line block ×3, first 2 shown]
	v_fma_f64 v[92:93], v[2:3], v[48:49], -v[92:93]
	v_fmac_f64_e32 v[94:95], v[4:5], v[48:49]
	v_fma_f64 v[96:97], v[2:3], v[52:53], -v[96:97]
	v_fmac_f64_e32 v[98:99], v[4:5], v[52:53]
	;; [unrolled: 2-line block ×8, first 2 shown]
	ds_load_b128 v[2:5], v47 offset:48
	ds_load_b128 v[48:51], v47 offset:2096
	;; [unrolled: 1-line block ×4, first 2 shown]
	v_fma_f64 v[120:121], v[76:77], v[80:81], -v[120:121]
	v_fmac_f64_e32 v[122:123], v[78:79], v[80:81]
	v_fma_f64 v[76:77], v[76:77], v[84:85], -v[124:125]
	v_fmac_f64_e32 v[126:127], v[78:79], v[84:85]
	;; [unrolled: 2-line block ×4, first 2 shown]
	v_add_f64_e32 v[68:69], v[42:43], v[92:93]
	v_add_f64_e32 v[72:73], v[94:95], v[44:45]
	;; [unrolled: 1-line block ×8, first 2 shown]
	s_wait_dscnt 0x1
	v_mul_f64_e32 v[102:103], v[4:5], v[54:55]
	v_mul_f64_e32 v[104:105], v[2:3], v[54:55]
	s_wait_dscnt 0x0
	v_mul_f64_e32 v[110:111], v[4:5], v[58:59]
	v_mul_f64_e32 v[114:115], v[2:3], v[58:59]
	;; [unrolled: 1-line block ×6, first 2 shown]
	ds_load_b128 v[26:29], v47 offset:64
	ds_load_b128 v[34:37], v46 offset:2048
	;; [unrolled: 1-line block ×4, first 2 shown]
	v_add_f64_e32 v[84:85], v[68:69], v[106:107]
	v_add_f64_e32 v[88:89], v[108:109], v[72:73]
	;; [unrolled: 1-line block ×8, first 2 shown]
	s_wait_dscnt 0x2
	v_mul_f64_e32 v[100:101], v[28:29], v[36:37]
	v_mul_f64_e32 v[106:107], v[26:27], v[36:37]
	s_wait_dscnt 0x1
	v_mul_f64_e32 v[108:109], v[28:29], v[40:41]
	v_mul_f64_e32 v[112:113], v[26:27], v[40:41]
	s_wait_dscnt 0x0
	v_mul_f64_e32 v[124:125], v[44:45], v[36:37]
	v_mul_f64_e32 v[128:129], v[42:43], v[36:37]
	v_mul_f64_e32 v[36:37], v[44:45], v[40:41]
	v_mul_f64_e32 v[130:131], v[42:43], v[40:41]
	v_fma_f64 v[40:41], v[2:3], v[52:53], -v[102:103]
	v_fmac_f64_e32 v[104:105], v[4:5], v[52:53]
	v_fma_f64 v[102:103], v[2:3], v[56:57], -v[110:111]
	v_fmac_f64_e32 v[114:115], v[4:5], v[56:57]
	;; [unrolled: 2-line block ×4, first 2 shown]
	ds_load_b128 v[58:61], v47 offset:80
	ds_load_b128 v[62:65], v47 offset:2128
	;; [unrolled: 1-line block ×4, first 2 shown]
	v_add_f64_e32 v[56:57], v[84:85], v[120:121]
	v_add_f64_e32 v[84:85], v[122:123], v[88:89]
	;; [unrolled: 1-line block ×8, first 2 shown]
	v_fma_f64 v[100:101], v[26:27], v[34:35], -v[100:101]
	v_fmac_f64_e32 v[106:107], v[28:29], v[34:35]
	v_fma_f64 v[108:109], v[26:27], v[38:39], -v[108:109]
	s_wait_dscnt 0x1
	v_mul_f64_e32 v[92:93], v[60:61], v[68:69]
	v_mul_f64_e32 v[94:95], v[58:59], v[68:69]
	s_wait_dscnt 0x0
	v_mul_f64_e32 v[96:97], v[60:61], v[72:73]
	v_mul_f64_e32 v[98:99], v[58:59], v[72:73]
	;; [unrolled: 1-line block ×6, first 2 shown]
	v_fmac_f64_e32 v[112:113], v[28:29], v[38:39]
	v_fma_f64 v[124:125], v[42:43], v[34:35], -v[124:125]
	v_fmac_f64_e32 v[128:129], v[44:45], v[34:35]
	v_fma_f64 v[126:127], v[42:43], v[38:39], -v[36:37]
	v_fmac_f64_e32 v[130:131], v[44:45], v[38:39]
	ds_load_b128 v[2:5], v47 offset:96
	ds_load_b128 v[48:51], v46 offset:3072
	;; [unrolled: 1-line block ×4, first 2 shown]
	v_add_f64_e32 v[56:57], v[56:57], v[40:41]
	v_add_f64_e32 v[84:85], v[104:105], v[84:85]
	;; [unrolled: 1-line block ×8, first 2 shown]
	ds_load_b128 v[26:29], v47 offset:112
	ds_load_b128 v[34:37], v47 offset:2160
	ds_load_b128 v[38:41], v46 offset:3584
	ds_load_b128 v[42:45], v46 offset:3840
	s_wait_dscnt 0x0
	v_mul_f64_e32 v[102:103], v[4:5], v[50:51]
	v_mul_f64_e32 v[104:105], v[2:3], v[50:51]
	v_mul_f64_e32 v[110:111], v[4:5], v[54:55]
	v_mul_f64_e32 v[114:115], v[2:3], v[54:55]
	v_mul_f64_e32 v[116:117], v[76:77], v[50:51]
	v_mul_f64_e32 v[50:51], v[74:75], v[50:51]
	v_mul_f64_e32 v[118:119], v[76:77], v[54:55]
	v_mul_f64_e32 v[54:55], v[74:75], v[54:55]
	v_fma_f64 v[92:93], v[58:59], v[66:67], -v[92:93]
	v_fmac_f64_e32 v[94:95], v[60:61], v[66:67]
	v_fma_f64 v[58:59], v[58:59], v[70:71], -v[96:97]
	v_fmac_f64_e32 v[98:99], v[60:61], v[70:71]
	;; [unrolled: 2-line block ×4, first 2 shown]
	s_barrier_signal -1
	s_barrier_wait -1
	v_mul_f64_e32 v[96:97], v[26:27], v[44:45]
	v_add_f64_e32 v[56:57], v[56:57], v[100:101]
	v_add_f64_e32 v[64:65], v[106:107], v[84:85]
	;; [unrolled: 1-line block ×8, first 2 shown]
	v_mul_f64_e32 v[86:87], v[28:29], v[40:41]
	v_mul_f64_e32 v[88:89], v[26:27], v[40:41]
	;; [unrolled: 1-line block ×7, first 2 shown]
	v_fma_f64 v[44:45], v[2:3], v[48:49], -v[102:103]
	v_fmac_f64_e32 v[104:105], v[4:5], v[48:49]
	v_fma_f64 v[2:3], v[2:3], v[52:53], -v[110:111]
	v_fmac_f64_e32 v[114:115], v[4:5], v[52:53]
	;; [unrolled: 2-line block ×4, first 2 shown]
	v_fmac_f64_e32 v[96:97], v[28:29], v[42:43]
	v_add_f64_e32 v[52:53], v[56:57], v[92:93]
	v_add_f64_e32 v[56:57], v[94:95], v[64:65]
	;; [unrolled: 1-line block ×8, first 2 shown]
	v_fma_f64 v[70:71], v[26:27], v[38:39], -v[86:87]
	v_fmac_f64_e32 v[88:89], v[28:29], v[38:39]
	v_fma_f64 v[26:27], v[26:27], v[42:43], -v[90:91]
	v_fma_f64 v[28:29], v[34:35], v[38:39], -v[100:101]
	v_fmac_f64_e32 v[106:107], v[36:37], v[38:39]
	v_fma_f64 v[72:73], v[34:35], v[42:43], -v[40:41]
	v_fmac_f64_e32 v[108:109], v[36:37], v[42:43]
	v_add_f64_e32 v[34:35], v[52:53], v[44:45]
	v_add_f64_e32 v[36:37], v[104:105], v[56:57]
	;; [unrolled: 1-line block ×16, first 2 shown]
	s_cbranch_vccz .LBB545_19
.LBB545_10:                             ;   Parent Loop BB545_7 Depth=1
                                        ; =>  This Inner Loop Header: Depth=2
	s_mov_b32 s16, 0
	s_mov_b32 s22, s25
	s_and_saveexec_b32 s17, s0
	s_cbranch_execnz .LBB545_16
; %bb.11:                               ;   in Loop: Header=BB545_10 Depth=2
	s_or_b32 exec_lo, exec_lo, s17
	s_and_saveexec_b32 s17, s22
	s_delay_alu instid0(SALU_CYCLE_1)
	s_xor_b32 s17, exec_lo, s17
	s_cbranch_execnz .LBB545_17
.LBB545_12:                             ;   in Loop: Header=BB545_10 Depth=2
	s_or_b32 exec_lo, exec_lo, s17
	s_and_saveexec_b32 s17, s16
	s_cbranch_execz .LBB545_14
.LBB545_13:                             ;   in Loop: Header=BB545_10 Depth=2
	v_lshl_add_u64 v[2:3], v[22:23], 4, v[30:31]
	flat_load_b128 v[2:5], v[2:3]
	s_wait_loadcnt_dscnt 0x0
	ds_store_2addr_b64 v7, v[2:3], v[4:5] offset1:1
.LBB545_14:                             ;   in Loop: Header=BB545_10 Depth=2
	s_wait_xcnt 0x0
	s_or_b32 exec_lo, exec_lo, s17
	v_add_nc_u32_e32 v0, s14, v6
	v_mov_b64_e32 v[2:3], 0
	v_mov_b64_e32 v[4:5], 0
	s_delay_alu instid0(VALU_DEP_3) | instskip(SKIP_1) | instid1(SALU_CYCLE_1)
	v_cmp_gt_u64_e32 vcc_lo, s[8:9], v[0:1]
	s_and_b32 s17, vcc_lo, s1
	s_and_saveexec_b32 s16, s17
	s_cbranch_execz .LBB545_9
; %bb.15:                               ;   in Loop: Header=BB545_10 Depth=2
	v_mul_u64_e32 v[2:3], s[20:21], v[0:1]
	s_delay_alu instid0(VALU_DEP_1)
	v_lshl_add_u64 v[2:3], v[2:3], 4, v[32:33]
	flat_load_b128 v[2:5], v[2:3]
	s_wait_loadcnt_dscnt 0x0
	v_xor_b32_e32 v5, 0x80000000, v5
	s_branch .LBB545_9
.LBB545_16:                             ;   in Loop: Header=BB545_10 Depth=2
	v_add_nc_u32_e32 v0, s14, v8
	s_and_not1_b32 s22, s25, exec_lo
	s_mov_b32 s16, exec_lo
	s_delay_alu instid0(VALU_DEP_1) | instskip(SKIP_2) | instid1(SALU_CYCLE_1)
	v_cmp_le_u64_e32 vcc_lo, s[8:9], v[0:1]
	v_mov_b64_e32 v[22:23], v[0:1]
	s_and_b32 s23, vcc_lo, exec_lo
	s_or_b32 s22, s22, s23
	s_or_b32 exec_lo, exec_lo, s17
	s_and_saveexec_b32 s17, s22
	s_delay_alu instid0(SALU_CYCLE_1)
	s_xor_b32 s17, exec_lo, s17
	s_cbranch_execz .LBB545_12
.LBB545_17:                             ;   in Loop: Header=BB545_10 Depth=2
	v_dual_mov_b32 v0, v1 :: v_dual_mov_b32 v2, v1
	v_mov_b32_e32 v3, v1
	s_and_not1_b32 s16, s16, exec_lo
	ds_store_b128 v7, v[0:3]
	s_or_b32 exec_lo, exec_lo, s17
	s_and_saveexec_b32 s17, s16
	s_cbranch_execnz .LBB545_13
	s_branch .LBB545_14
.LBB545_18:                             ;   in Loop: Header=BB545_7 Depth=1
	v_mov_b64_e32 v[44:45], 0
	v_mov_b64_e32 v[38:39], 0
	;; [unrolled: 1-line block ×7, first 2 shown]
.LBB545_19:                             ;   in Loop: Header=BB545_7 Depth=1
	s_wait_loadcnt 0x0
	v_add_nc_u64_e32 v[24:25], s[10:11], v[24:25]
	s_delay_alu instid0(VALU_DEP_1)
	v_lshl_add_u64 v[30:31], v[14:15], 4, v[24:25]
	s_wait_xcnt 0x0
	s_and_saveexec_b32 s14, s29
	s_cbranch_execz .LBB545_24
; %bb.20:                               ;   in Loop: Header=BB545_7 Depth=1
	v_mul_f64_e32 v[2:3], s[42:43], v[44:45]
	v_mul_f64_e32 v[4:5], s[40:41], v[44:45]
	v_lshl_add_u64 v[32:33], v[18:19], 4, v[30:31]
	s_and_b32 vcc_lo, exec_lo, s28
	s_mov_b32 s15, -1
	s_delay_alu instid0(VALU_DEP_3) | instskip(NEXT) | instid1(VALU_DEP_3)
	v_fma_f64 v[2:3], s[40:41], v[42:43], -v[2:3]
	v_fmac_f64_e32 v[4:5], s[42:43], v[42:43]
	s_cbranch_vccz .LBB545_22
; %bb.21:                               ;   in Loop: Header=BB545_7 Depth=1
	flat_load_b128 v[42:45], v[32:33]
	s_mov_b32 s15, 0
	s_wait_loadcnt_dscnt 0x0
	v_mul_f64_e32 v[48:49], s[38:39], v[44:45]
	v_mul_f64_e32 v[44:45], s[36:37], v[44:45]
	s_delay_alu instid0(VALU_DEP_2) | instskip(NEXT) | instid1(VALU_DEP_2)
	v_fma_f64 v[48:49], s[36:37], v[42:43], -v[48:49]
	v_fmac_f64_e32 v[44:45], s[38:39], v[42:43]
	s_delay_alu instid0(VALU_DEP_2) | instskip(NEXT) | instid1(VALU_DEP_2)
	v_add_f64_e32 v[42:43], v[2:3], v[48:49]
	v_add_f64_e32 v[44:45], v[4:5], v[44:45]
	flat_store_b128 v[32:33], v[42:45]
.LBB545_22:                             ;   in Loop: Header=BB545_7 Depth=1
	s_and_not1_b32 vcc_lo, exec_lo, s15
	s_cbranch_vccnz .LBB545_24
; %bb.23:                               ;   in Loop: Header=BB545_7 Depth=1
	flat_store_b128 v[32:33], v[2:5]
.LBB545_24:                             ;   in Loop: Header=BB545_7 Depth=1
	s_wait_xcnt 0x0
	s_or_b32 exec_lo, exec_lo, s14
	s_and_saveexec_b32 s14, s33
	s_cbranch_execz .LBB545_29
; %bb.25:                               ;   in Loop: Header=BB545_7 Depth=1
	v_mul_f64_e32 v[2:3], s[42:43], v[40:41]
	v_mul_f64_e32 v[4:5], s[40:41], v[40:41]
	v_lshl_add_u64 v[30:31], v[20:21], 4, v[30:31]
	s_and_not1_b32 vcc_lo, exec_lo, s28
	s_mov_b32 s15, -1
	s_delay_alu instid0(VALU_DEP_3) | instskip(NEXT) | instid1(VALU_DEP_3)
	v_fma_f64 v[2:3], s[40:41], v[38:39], -v[2:3]
	v_fmac_f64_e32 v[4:5], s[42:43], v[38:39]
	s_cbranch_vccnz .LBB545_27
; %bb.26:                               ;   in Loop: Header=BB545_7 Depth=1
	flat_load_b128 v[38:41], v[30:31]
	s_mov_b32 s15, 0
	s_wait_loadcnt_dscnt 0x0
	v_mul_f64_e32 v[32:33], s[38:39], v[40:41]
	v_mul_f64_e32 v[40:41], s[36:37], v[40:41]
	s_delay_alu instid0(VALU_DEP_2) | instskip(NEXT) | instid1(VALU_DEP_2)
	v_fma_f64 v[32:33], s[36:37], v[38:39], -v[32:33]
	v_fmac_f64_e32 v[40:41], s[38:39], v[38:39]
	s_delay_alu instid0(VALU_DEP_2) | instskip(NEXT) | instid1(VALU_DEP_2)
	v_add_f64_e32 v[38:39], v[2:3], v[32:33]
	v_add_f64_e32 v[40:41], v[4:5], v[40:41]
	flat_store_b128 v[30:31], v[38:41]
.LBB545_27:                             ;   in Loop: Header=BB545_7 Depth=1
	s_and_not1_b32 vcc_lo, exec_lo, s15
	s_cbranch_vccnz .LBB545_29
; %bb.28:                               ;   in Loop: Header=BB545_7 Depth=1
	flat_store_b128 v[30:31], v[2:5]
.LBB545_29:                             ;   in Loop: Header=BB545_7 Depth=1
	s_wait_xcnt 0x0
	s_or_b32 exec_lo, exec_lo, s14
	v_lshl_add_u64 v[24:25], v[16:17], 4, v[24:25]
	s_and_saveexec_b32 s14, s34
	s_cbranch_execz .LBB545_34
; %bb.30:                               ;   in Loop: Header=BB545_7 Depth=1
	v_mul_f64_e32 v[2:3], s[42:43], v[36:37]
	v_mul_f64_e32 v[4:5], s[40:41], v[36:37]
	v_lshl_add_u64 v[30:31], v[18:19], 4, v[24:25]
	s_and_not1_b32 vcc_lo, exec_lo, s28
	s_mov_b32 s15, -1
	s_delay_alu instid0(VALU_DEP_3) | instskip(NEXT) | instid1(VALU_DEP_3)
	v_fma_f64 v[2:3], s[40:41], v[34:35], -v[2:3]
	v_fmac_f64_e32 v[4:5], s[42:43], v[34:35]
	s_cbranch_vccnz .LBB545_32
; %bb.31:                               ;   in Loop: Header=BB545_7 Depth=1
	flat_load_b128 v[32:35], v[30:31]
	s_mov_b32 s15, 0
	s_wait_loadcnt_dscnt 0x0
	v_mul_f64_e32 v[36:37], s[38:39], v[34:35]
	v_mul_f64_e32 v[34:35], s[36:37], v[34:35]
	s_delay_alu instid0(VALU_DEP_2) | instskip(NEXT) | instid1(VALU_DEP_2)
	v_fma_f64 v[36:37], s[36:37], v[32:33], -v[36:37]
	v_fmac_f64_e32 v[34:35], s[38:39], v[32:33]
	s_delay_alu instid0(VALU_DEP_2) | instskip(NEXT) | instid1(VALU_DEP_2)
	v_add_f64_e32 v[32:33], v[2:3], v[36:37]
	v_add_f64_e32 v[34:35], v[4:5], v[34:35]
	flat_store_b128 v[30:31], v[32:35]
.LBB545_32:                             ;   in Loop: Header=BB545_7 Depth=1
	s_and_not1_b32 vcc_lo, exec_lo, s15
	s_cbranch_vccnz .LBB545_34
; %bb.33:                               ;   in Loop: Header=BB545_7 Depth=1
	flat_store_b128 v[30:31], v[2:5]
.LBB545_34:                             ;   in Loop: Header=BB545_7 Depth=1
	s_wait_xcnt 0x0
	s_or_b32 exec_lo, exec_lo, s14
	s_and_saveexec_b32 s14, s35
	s_cbranch_execz .LBB545_6
; %bb.35:                               ;   in Loop: Header=BB545_7 Depth=1
	s_delay_alu instid0(VALU_DEP_4) | instskip(SKIP_4) | instid1(VALU_DEP_3)
	v_mul_f64_e32 v[2:3], s[42:43], v[26:27]
	v_mul_f64_e32 v[4:5], s[40:41], v[26:27]
	v_lshl_add_u64 v[24:25], v[20:21], 4, v[24:25]
	s_and_not1_b32 vcc_lo, exec_lo, s28
	s_mov_b32 s15, -1
	v_fma_f64 v[2:3], s[40:41], v[28:29], -v[2:3]
	s_delay_alu instid0(VALU_DEP_3)
	v_fmac_f64_e32 v[4:5], s[42:43], v[28:29]
	s_cbranch_vccnz .LBB545_37
; %bb.36:                               ;   in Loop: Header=BB545_7 Depth=1
	flat_load_b128 v[26:29], v[24:25]
	s_mov_b32 s15, 0
	s_wait_loadcnt_dscnt 0x0
	v_mul_f64_e32 v[30:31], s[38:39], v[28:29]
	v_mul_f64_e32 v[28:29], s[36:37], v[28:29]
	s_delay_alu instid0(VALU_DEP_2) | instskip(NEXT) | instid1(VALU_DEP_2)
	v_fma_f64 v[30:31], s[36:37], v[26:27], -v[30:31]
	v_fmac_f64_e32 v[28:29], s[38:39], v[26:27]
	s_delay_alu instid0(VALU_DEP_2) | instskip(NEXT) | instid1(VALU_DEP_2)
	v_add_f64_e32 v[26:27], v[2:3], v[30:31]
	v_add_f64_e32 v[28:29], v[4:5], v[28:29]
	flat_store_b128 v[24:25], v[26:29]
.LBB545_37:                             ;   in Loop: Header=BB545_7 Depth=1
	s_and_not1_b32 vcc_lo, exec_lo, s15
	s_cbranch_vccnz .LBB545_6
; %bb.38:                               ;   in Loop: Header=BB545_7 Depth=1
	flat_store_b128 v[24:25], v[2:5]
	s_branch .LBB545_6
.LBB545_39:
.LBB545_40:
	s_sendmsg sendmsg(MSG_DEALLOC_VGPRS)
	s_endpgm
	.section	.rodata,"a",@progbits
	.p2align	6, 0x0
	.amdhsa_kernel _ZL29rocblas_internal_gemmt_kernelIlLi16ELi32ELi8ELc84ELc67ELc85ELb0ELb1E19rocblas_complex_numIdEPKS1_PKS3_PKPS1_EviT_T9_T10_S9_lSB_S9_lSA_T11_S9_li
		.amdhsa_group_segment_fixed_size 8192
		.amdhsa_private_segment_fixed_size 0
		.amdhsa_kernarg_size 108
		.amdhsa_user_sgpr_count 2
		.amdhsa_user_sgpr_dispatch_ptr 0
		.amdhsa_user_sgpr_queue_ptr 0
		.amdhsa_user_sgpr_kernarg_segment_ptr 1
		.amdhsa_user_sgpr_dispatch_id 0
		.amdhsa_user_sgpr_kernarg_preload_length 0
		.amdhsa_user_sgpr_kernarg_preload_offset 0
		.amdhsa_user_sgpr_private_segment_size 0
		.amdhsa_wavefront_size32 1
		.amdhsa_uses_dynamic_stack 0
		.amdhsa_enable_private_segment 0
		.amdhsa_system_sgpr_workgroup_id_x 1
		.amdhsa_system_sgpr_workgroup_id_y 1
		.amdhsa_system_sgpr_workgroup_id_z 1
		.amdhsa_system_sgpr_workgroup_info 0
		.amdhsa_system_vgpr_workitem_id 1
		.amdhsa_next_free_vgpr 134
		.amdhsa_next_free_sgpr 45
		.amdhsa_named_barrier_count 0
		.amdhsa_reserve_vcc 1
		.amdhsa_float_round_mode_32 0
		.amdhsa_float_round_mode_16_64 0
		.amdhsa_float_denorm_mode_32 3
		.amdhsa_float_denorm_mode_16_64 3
		.amdhsa_fp16_overflow 0
		.amdhsa_memory_ordered 1
		.amdhsa_forward_progress 1
		.amdhsa_inst_pref_size 24
		.amdhsa_round_robin_scheduling 0
		.amdhsa_exception_fp_ieee_invalid_op 0
		.amdhsa_exception_fp_denorm_src 0
		.amdhsa_exception_fp_ieee_div_zero 0
		.amdhsa_exception_fp_ieee_overflow 0
		.amdhsa_exception_fp_ieee_underflow 0
		.amdhsa_exception_fp_ieee_inexact 0
		.amdhsa_exception_int_div_zero 0
	.end_amdhsa_kernel
	.section	.text._ZL29rocblas_internal_gemmt_kernelIlLi16ELi32ELi8ELc84ELc67ELc85ELb0ELb1E19rocblas_complex_numIdEPKS1_PKS3_PKPS1_EviT_T9_T10_S9_lSB_S9_lSA_T11_S9_li,"axG",@progbits,_ZL29rocblas_internal_gemmt_kernelIlLi16ELi32ELi8ELc84ELc67ELc85ELb0ELb1E19rocblas_complex_numIdEPKS1_PKS3_PKPS1_EviT_T9_T10_S9_lSB_S9_lSA_T11_S9_li,comdat
.Lfunc_end545:
	.size	_ZL29rocblas_internal_gemmt_kernelIlLi16ELi32ELi8ELc84ELc67ELc85ELb0ELb1E19rocblas_complex_numIdEPKS1_PKS3_PKPS1_EviT_T9_T10_S9_lSB_S9_lSA_T11_S9_li, .Lfunc_end545-_ZL29rocblas_internal_gemmt_kernelIlLi16ELi32ELi8ELc84ELc67ELc85ELb0ELb1E19rocblas_complex_numIdEPKS1_PKS3_PKPS1_EviT_T9_T10_S9_lSB_S9_lSA_T11_S9_li
                                        ; -- End function
	.set _ZL29rocblas_internal_gemmt_kernelIlLi16ELi32ELi8ELc84ELc67ELc85ELb0ELb1E19rocblas_complex_numIdEPKS1_PKS3_PKPS1_EviT_T9_T10_S9_lSB_S9_lSA_T11_S9_li.num_vgpr, 134
	.set _ZL29rocblas_internal_gemmt_kernelIlLi16ELi32ELi8ELc84ELc67ELc85ELb0ELb1E19rocblas_complex_numIdEPKS1_PKS3_PKPS1_EviT_T9_T10_S9_lSB_S9_lSA_T11_S9_li.num_agpr, 0
	.set _ZL29rocblas_internal_gemmt_kernelIlLi16ELi32ELi8ELc84ELc67ELc85ELb0ELb1E19rocblas_complex_numIdEPKS1_PKS3_PKPS1_EviT_T9_T10_S9_lSB_S9_lSA_T11_S9_li.numbered_sgpr, 45
	.set _ZL29rocblas_internal_gemmt_kernelIlLi16ELi32ELi8ELc84ELc67ELc85ELb0ELb1E19rocblas_complex_numIdEPKS1_PKS3_PKPS1_EviT_T9_T10_S9_lSB_S9_lSA_T11_S9_li.num_named_barrier, 0
	.set _ZL29rocblas_internal_gemmt_kernelIlLi16ELi32ELi8ELc84ELc67ELc85ELb0ELb1E19rocblas_complex_numIdEPKS1_PKS3_PKPS1_EviT_T9_T10_S9_lSB_S9_lSA_T11_S9_li.private_seg_size, 0
	.set _ZL29rocblas_internal_gemmt_kernelIlLi16ELi32ELi8ELc84ELc67ELc85ELb0ELb1E19rocblas_complex_numIdEPKS1_PKS3_PKPS1_EviT_T9_T10_S9_lSB_S9_lSA_T11_S9_li.uses_vcc, 1
	.set _ZL29rocblas_internal_gemmt_kernelIlLi16ELi32ELi8ELc84ELc67ELc85ELb0ELb1E19rocblas_complex_numIdEPKS1_PKS3_PKPS1_EviT_T9_T10_S9_lSB_S9_lSA_T11_S9_li.uses_flat_scratch, 0
	.set _ZL29rocblas_internal_gemmt_kernelIlLi16ELi32ELi8ELc84ELc67ELc85ELb0ELb1E19rocblas_complex_numIdEPKS1_PKS3_PKPS1_EviT_T9_T10_S9_lSB_S9_lSA_T11_S9_li.has_dyn_sized_stack, 0
	.set _ZL29rocblas_internal_gemmt_kernelIlLi16ELi32ELi8ELc84ELc67ELc85ELb0ELb1E19rocblas_complex_numIdEPKS1_PKS3_PKPS1_EviT_T9_T10_S9_lSB_S9_lSA_T11_S9_li.has_recursion, 0
	.set _ZL29rocblas_internal_gemmt_kernelIlLi16ELi32ELi8ELc84ELc67ELc85ELb0ELb1E19rocblas_complex_numIdEPKS1_PKS3_PKPS1_EviT_T9_T10_S9_lSB_S9_lSA_T11_S9_li.has_indirect_call, 0
	.section	.AMDGPU.csdata,"",@progbits
; Kernel info:
; codeLenInByte = 3012
; TotalNumSgprs: 47
; NumVgprs: 134
; ScratchSize: 0
; MemoryBound: 1
; FloatMode: 240
; IeeeMode: 1
; LDSByteSize: 8192 bytes/workgroup (compile time only)
; SGPRBlocks: 0
; VGPRBlocks: 8
; NumSGPRsForWavesPerEU: 47
; NumVGPRsForWavesPerEU: 134
; NamedBarCnt: 0
; Occupancy: 7
; WaveLimiterHint : 1
; COMPUTE_PGM_RSRC2:SCRATCH_EN: 0
; COMPUTE_PGM_RSRC2:USER_SGPR: 2
; COMPUTE_PGM_RSRC2:TRAP_HANDLER: 0
; COMPUTE_PGM_RSRC2:TGID_X_EN: 1
; COMPUTE_PGM_RSRC2:TGID_Y_EN: 1
; COMPUTE_PGM_RSRC2:TGID_Z_EN: 1
; COMPUTE_PGM_RSRC2:TIDIG_COMP_CNT: 1
	.section	.text._ZL29rocblas_internal_gemmt_kernelIlLi16ELi32ELi8ELc67ELc78ELc85ELb1ELb0E19rocblas_complex_numIdEPKS1_PKS3_PKPS1_EviT_T9_T10_S9_lSB_S9_lSA_T11_S9_li,"axG",@progbits,_ZL29rocblas_internal_gemmt_kernelIlLi16ELi32ELi8ELc67ELc78ELc85ELb1ELb0E19rocblas_complex_numIdEPKS1_PKS3_PKPS1_EviT_T9_T10_S9_lSB_S9_lSA_T11_S9_li,comdat
	.globl	_ZL29rocblas_internal_gemmt_kernelIlLi16ELi32ELi8ELc67ELc78ELc85ELb1ELb0E19rocblas_complex_numIdEPKS1_PKS3_PKPS1_EviT_T9_T10_S9_lSB_S9_lSA_T11_S9_li ; -- Begin function _ZL29rocblas_internal_gemmt_kernelIlLi16ELi32ELi8ELc67ELc78ELc85ELb1ELb0E19rocblas_complex_numIdEPKS1_PKS3_PKPS1_EviT_T9_T10_S9_lSB_S9_lSA_T11_S9_li
	.p2align	8
	.type	_ZL29rocblas_internal_gemmt_kernelIlLi16ELi32ELi8ELc67ELc78ELc85ELb1ELb0E19rocblas_complex_numIdEPKS1_PKS3_PKPS1_EviT_T9_T10_S9_lSB_S9_lSA_T11_S9_li,@function
_ZL29rocblas_internal_gemmt_kernelIlLi16ELi32ELi8ELc67ELc78ELc85ELb1ELb0E19rocblas_complex_numIdEPKS1_PKS3_PKPS1_EviT_T9_T10_S9_lSB_S9_lSA_T11_S9_li: ; @_ZL29rocblas_internal_gemmt_kernelIlLi16ELi32ELi8ELc67ELc78ELc85ELb1ELb0E19rocblas_complex_numIdEPKS1_PKS3_PKPS1_EviT_T9_T10_S9_lSB_S9_lSA_T11_S9_li
; %bb.0:
	s_clause 0x1
	s_load_b256 s[24:31], s[0:1], 0x48
	s_load_b512 s[8:23], s[0:1], 0x8
	s_wait_kmcnt 0x0
	s_load_b128 s[36:39], s[24:25], 0x0
	s_load_b128 s[40:43], s[10:11], 0x0
	s_wait_kmcnt 0x0
	v_cmp_eq_f64_e64 s2, s[36:37], 1.0
	v_cmp_eq_f64_e64 s3, s[38:39], 0
	s_and_b32 s2, s2, s3
	s_delay_alu instid0(SALU_CYCLE_1)
	s_and_not1_b32 vcc_lo, exec_lo, s2
	s_mov_b32 s2, -1
	s_cbranch_vccnz .LBB546_3
; %bb.1:
	s_cmp_lg_u64 s[8:9], 0
	s_cbranch_scc0 .LBB546_38
; %bb.2:
	v_cmp_neq_f64_e64 s2, s[40:41], 0
	v_cmp_neq_f64_e64 s4, s[42:43], 0
	s_or_b32 s2, s2, s4
.LBB546_3:
	s_delay_alu instid0(SALU_CYCLE_1)
	s_and_b32 vcc_lo, exec_lo, s2
	s_cbranch_vccz .LBB546_39
; %bb.4:
	s_load_b32 s24, s[0:1], 0x68
	s_bfe_u32 s2, ttmp6, 0x40014
	s_lshr_b32 s4, ttmp7, 16
	s_add_co_i32 s2, s2, 1
	s_bfe_u32 s6, ttmp6, 0x40008
	s_mul_i32 s5, s4, s2
	s_getreg_b32 s2, hwreg(HW_REG_IB_STS2, 6, 4)
	s_add_co_i32 s6, s6, s5
	s_cmp_eq_u32 s2, 0
	s_mov_b32 s7, 0
	s_cselect_b32 s6, s4, s6
	s_wait_kmcnt 0x0
	s_cmp_ge_u32 s6, s24
	s_cbranch_scc1 .LBB546_39
; %bb.5:
	s_load_b32 s10, s[0:1], 0x0
	s_wait_xcnt 0x0
	s_bfe_u32 s1, ttmp6, 0x4000c
	s_bfe_u32 s25, ttmp6, 0x40010
	s_and_b32 s11, ttmp7, 0xffff
	s_add_co_i32 s1, s1, 1
	s_add_co_i32 s25, s25, 1
	v_and_b32_e32 v19, 0x3ff, v0
	v_bfe_u32 v21, v0, 10, 10
	s_and_b32 s0, ttmp6, 15
	s_bfe_u32 s33, ttmp6, 0x40004
	s_mul_i32 s1, ttmp9, s1
	s_mul_i32 s25, s11, s25
	s_add_co_i32 s0, s0, s1
	s_add_co_i32 s33, s33, s25
	s_cmp_eq_u32 s2, 0
	v_lshl_add_u32 v1, v21, 4, v19
	s_cselect_b32 s1, s11, s33
	s_cselect_b32 s0, ttmp9, s0
	s_lshl_b32 s1, s1, 5
	s_delay_alu instid0(VALU_DEP_1) | instskip(SKIP_4) | instid1(VALU_DEP_3)
	v_dual_lshrrev_b32 v7, 3, v1 :: v_dual_bitop2_b32 v6, 7, v0 bitop3:0x40
	v_dual_lshrrev_b32 v8, 5, v1 :: v_dual_bitop2_b32 v3, 31, v1 bitop3:0x40
	s_lshl_b32 s2, s0, 5
	v_add_nc_u32_e32 v0, s1, v21
	v_cmp_neq_f64_e64 s4, s[40:41], 0
	v_or_b32_e32 v2, s2, v3
	v_add_nc_u32_e32 v4, s1, v7
	v_cmp_neq_f64_e64 s5, s[42:43], 0
	v_add_nc_u32_e32 v22, 16, v0
	v_cmp_neq_f64_e64 s25, s[36:37], 0
	v_dual_lshlrev_b32 v9, 4, v3 :: v_dual_ashrrev_i32 v3, 31, v2
	s_delay_alu instid0(VALU_DEP_3) | instskip(SKIP_1) | instid1(VALU_DEP_3)
	v_dual_ashrrev_i32 v5, 31, v4 :: v_dual_ashrrev_i32 v23, 31, v22
	v_dual_ashrrev_i32 v1, 31, v0 :: v_dual_lshlrev_b32 v18, 4, v6
	v_mul_u64_e32 v[10:11], s[14:15], v[2:3]
	s_delay_alu instid0(VALU_DEP_3) | instskip(NEXT) | instid1(VALU_DEP_4)
	v_mul_u64_e32 v[12:13], s[20:21], v[4:5]
	v_mul_u64_e32 v[16:17], s[28:29], v[22:23]
	s_delay_alu instid0(VALU_DEP_4)
	v_mul_u64_e32 v[14:15], s[28:29], v[0:1]
	v_lshl_or_b32 v1, v7, 7, v18
	v_dual_add_nc_u32 v18, s2, v19 :: v_dual_lshlrev_b32 v44, 4, v19
	s_wait_kmcnt 0x0
	v_cmp_gt_i32_e64 s1, s10, v0
	v_cmp_gt_i64_e64 s34, s[8:9], 0
	s_xor_b32 s3, s3, -1
	v_cmp_le_i32_e64 s2, v18, v0
	v_dual_add_nc_u32 v20, 16, v18 :: v_dual_ashrrev_i32 v19, 31, v18
	v_cmp_gt_i32_e32 vcc_lo, s10, v4
	v_cmp_gt_i32_e64 s0, s10, v2
	s_and_b32 s21, s1, s2
	v_cmp_le_i32_e64 s2, v20, v0
	v_lshl_or_b32 v7, v8, 9, v9
	v_add_nc_u32_e32 v9, 0x1000, v1
	v_lshl_add_u32 v45, v21, 7, 0x1000
	v_dual_ashrrev_i32 v21, 31, v20 :: v_dual_mov_b32 v1, 0
	s_and_b32 s1, s1, s2
	s_or_b32 s11, s4, s5
	v_cmp_le_i32_e64 s4, v18, v22
	s_or_b32 s20, s25, s3
	v_cmp_gt_i32_e64 s3, s10, v22
	v_cmp_le_i32_e64 s5, v20, v22
	s_and_b32 s29, s11, s34
	s_lshl_b64 s[10:11], s[30:31], 4
	s_and_b32 s25, s3, s4
	s_and_b32 s28, s3, s5
	s_lshl_b64 s[2:3], s[22:23], 4
	s_lshl_b64 s[4:5], s[16:17], 4
	s_xor_b32 s16, vcc_lo, -1
	s_branch .LBB546_7
.LBB546_6:                              ;   in Loop: Header=BB546_7 Depth=1
	s_wait_xcnt 0x0
	s_or_b32 exec_lo, exec_lo, s14
	s_add_co_i32 s6, s6, 0x10000
	s_delay_alu instid0(SALU_CYCLE_1)
	s_cmp_lt_u32 s6, s24
	s_cbranch_scc0 .LBB546_39
.LBB546_7:                              ; =>This Loop Header: Depth=1
                                        ;     Child Loop BB546_10 Depth 2
	v_mov_b32_e32 v0, s6
	v_mov_b64_e32 v[40:41], 0
	v_mov_b64_e32 v[42:43], 0
	;; [unrolled: 1-line block ×4, first 2 shown]
	global_load_b64 v[22:23], v0, s[26:27] scale_offset
	v_mov_b64_e32 v[32:33], 0
	v_mov_b64_e32 v[34:35], 0
	v_mov_b64_e32 v[24:25], 0
	v_mov_b64_e32 v[26:27], 0
	s_and_not1_b32 vcc_lo, exec_lo, s29
	s_cbranch_vccnz .LBB546_18
; %bb.8:                                ;   in Loop: Header=BB546_7 Depth=1
	s_lshl_b64 s[14:15], s[6:7], 3
	v_mov_b64_e32 v[26:27], 0
	s_add_nc_u64 s[22:23], s[12:13], s[14:15]
	s_add_nc_u64 s[14:15], s[18:19], s[14:15]
	s_clause 0x1
	global_load_b64 v[2:3], v1, s[22:23]
	global_load_b64 v[4:5], v1, s[14:15]
	v_mov_b64_e32 v[24:25], 0
	v_mov_b64_e32 v[34:35], 0
	;; [unrolled: 1-line block ×7, first 2 shown]
	s_wait_xcnt 0x0
	s_mov_b64 s[14:15], 0
	s_wait_loadcnt 0x1
	v_add_nc_u64_e32 v[2:3], s[4:5], v[2:3]
	s_wait_loadcnt 0x0
	v_add_nc_u64_e32 v[4:5], s[2:3], v[4:5]
	s_delay_alu instid0(VALU_DEP_2) | instskip(NEXT) | instid1(VALU_DEP_2)
	v_lshl_add_u64 v[28:29], v[10:11], 4, v[2:3]
	v_lshl_add_u64 v[30:31], v[12:13], 4, v[4:5]
	s_branch .LBB546_10
.LBB546_9:                              ;   in Loop: Header=BB546_10 Depth=2
	s_wait_xcnt 0x0
	s_or_b32 exec_lo, exec_lo, s17
	s_wait_dscnt 0x0
	s_barrier_signal -1
	s_barrier_wait -1
	ds_load_b128 v[2:5], v45
	ds_load_b128 v[46:49], v44
	ds_load_b128 v[50:53], v44 offset:256
	ds_load_b128 v[54:57], v45 offset:2048
	;; [unrolled: 1-line block ×10, first 2 shown]
	s_add_nc_u64 s[14:15], s[14:15], 8
	s_delay_alu instid0(SALU_CYCLE_1)
	v_cmp_gt_i64_e64 s17, s[8:9], s[14:15]
	s_and_b32 vcc_lo, exec_lo, s17
	s_wait_dscnt 0xa
	v_mul_f64_e32 v[90:91], v[4:5], v[48:49]
	v_mul_f64_e32 v[92:93], v[2:3], v[48:49]
	s_wait_dscnt 0x9
	v_mul_f64_e32 v[94:95], v[4:5], v[52:53]
	v_mul_f64_e32 v[96:97], v[2:3], v[52:53]
	s_wait_dscnt 0x8
	v_mul_f64_e32 v[98:99], v[56:57], v[48:49]
	v_mul_f64_e32 v[100:101], v[54:55], v[48:49]
	v_mul_f64_e32 v[48:49], v[56:57], v[52:53]
	v_mul_f64_e32 v[102:103], v[54:55], v[52:53]
	s_wait_dscnt 0x6
	v_mul_f64_e32 v[104:105], v[60:61], v[64:65]
	v_mul_f64_e32 v[106:107], v[58:59], v[64:65]
	s_wait_dscnt 0x5
	v_mul_f64_e32 v[108:109], v[60:61], v[68:69]
	v_mul_f64_e32 v[110:111], v[58:59], v[68:69]
	s_wait_dscnt 0x4
	v_mul_f64_e32 v[112:113], v[72:73], v[64:65]
	v_mul_f64_e32 v[64:65], v[70:71], v[64:65]
	v_mul_f64_e32 v[114:115], v[72:73], v[68:69]
	v_mul_f64_e32 v[68:69], v[70:71], v[68:69]
	;; [unrolled: 11-line block ×3, first 2 shown]
	v_fma_f64 v[90:91], v[2:3], v[46:47], -v[90:91]
	v_fmac_f64_e32 v[92:93], v[4:5], v[46:47]
	v_fma_f64 v[94:95], v[2:3], v[50:51], -v[94:95]
	v_fmac_f64_e32 v[96:97], v[4:5], v[50:51]
	;; [unrolled: 2-line block ×8, first 2 shown]
	ds_load_b128 v[2:5], v45 offset:48
	ds_load_b128 v[46:49], v45 offset:2096
	ds_load_b128 v[50:53], v44 offset:1536
	ds_load_b128 v[54:57], v44 offset:1792
	v_fma_f64 v[118:119], v[74:75], v[78:79], -v[118:119]
	v_fmac_f64_e32 v[120:121], v[76:77], v[78:79]
	v_fma_f64 v[74:75], v[74:75], v[82:83], -v[122:123]
	v_fmac_f64_e32 v[124:125], v[76:77], v[82:83]
	;; [unrolled: 2-line block ×4, first 2 shown]
	v_add_f64_e32 v[66:67], v[40:41], v[90:91]
	v_add_f64_e32 v[70:71], v[92:93], v[42:43]
	;; [unrolled: 1-line block ×8, first 2 shown]
	s_wait_dscnt 0x1
	v_mul_f64_e32 v[100:101], v[4:5], v[52:53]
	v_mul_f64_e32 v[102:103], v[2:3], v[52:53]
	s_wait_dscnt 0x0
	v_mul_f64_e32 v[108:109], v[4:5], v[56:57]
	v_mul_f64_e32 v[112:113], v[2:3], v[56:57]
	v_mul_f64_e32 v[114:115], v[48:49], v[52:53]
	v_mul_f64_e32 v[116:117], v[46:47], v[52:53]
	v_mul_f64_e32 v[52:53], v[48:49], v[56:57]
	v_mul_f64_e32 v[130:131], v[46:47], v[56:57]
	ds_load_b128 v[24:27], v45 offset:64
	ds_load_b128 v[32:35], v44 offset:2048
	;; [unrolled: 1-line block ×4, first 2 shown]
	v_add_f64_e32 v[82:83], v[66:67], v[104:105]
	v_add_f64_e32 v[86:87], v[106:107], v[70:71]
	;; [unrolled: 1-line block ×8, first 2 shown]
	s_wait_dscnt 0x2
	v_mul_f64_e32 v[98:99], v[26:27], v[34:35]
	v_mul_f64_e32 v[104:105], v[24:25], v[34:35]
	s_wait_dscnt 0x1
	v_mul_f64_e32 v[106:107], v[26:27], v[38:39]
	v_mul_f64_e32 v[110:111], v[24:25], v[38:39]
	;; [unrolled: 3-line block ×3, first 2 shown]
	v_mul_f64_e32 v[34:35], v[42:43], v[38:39]
	v_mul_f64_e32 v[128:129], v[40:41], v[38:39]
	v_fma_f64 v[38:39], v[2:3], v[50:51], -v[100:101]
	v_fmac_f64_e32 v[102:103], v[4:5], v[50:51]
	v_fma_f64 v[100:101], v[2:3], v[54:55], -v[108:109]
	v_fmac_f64_e32 v[112:113], v[4:5], v[54:55]
	;; [unrolled: 2-line block ×4, first 2 shown]
	ds_load_b128 v[56:59], v45 offset:80
	ds_load_b128 v[60:63], v45 offset:2128
	;; [unrolled: 1-line block ×4, first 2 shown]
	v_add_f64_e32 v[54:55], v[82:83], v[118:119]
	v_add_f64_e32 v[82:83], v[120:121], v[86:87]
	;; [unrolled: 1-line block ×8, first 2 shown]
	v_fma_f64 v[98:99], v[24:25], v[32:33], -v[98:99]
	v_fmac_f64_e32 v[104:105], v[26:27], v[32:33]
	v_fma_f64 v[106:107], v[24:25], v[36:37], -v[106:107]
	s_wait_dscnt 0x1
	v_mul_f64_e32 v[90:91], v[58:59], v[66:67]
	v_mul_f64_e32 v[92:93], v[56:57], v[66:67]
	s_wait_dscnt 0x0
	v_mul_f64_e32 v[94:95], v[58:59], v[70:71]
	v_mul_f64_e32 v[96:97], v[56:57], v[70:71]
	;; [unrolled: 1-line block ×6, first 2 shown]
	v_fmac_f64_e32 v[110:111], v[26:27], v[36:37]
	v_fma_f64 v[122:123], v[40:41], v[32:33], -v[122:123]
	v_fmac_f64_e32 v[126:127], v[42:43], v[32:33]
	v_fma_f64 v[124:125], v[40:41], v[36:37], -v[34:35]
	v_fmac_f64_e32 v[128:129], v[42:43], v[36:37]
	ds_load_b128 v[2:5], v45 offset:96
	ds_load_b128 v[46:49], v44 offset:3072
	;; [unrolled: 1-line block ×4, first 2 shown]
	v_add_f64_e32 v[54:55], v[54:55], v[38:39]
	v_add_f64_e32 v[82:83], v[102:103], v[82:83]
	;; [unrolled: 1-line block ×8, first 2 shown]
	ds_load_b128 v[24:27], v45 offset:112
	ds_load_b128 v[32:35], v45 offset:2160
	;; [unrolled: 1-line block ×4, first 2 shown]
	s_wait_dscnt 0x0
	v_mul_f64_e32 v[100:101], v[4:5], v[48:49]
	v_mul_f64_e32 v[102:103], v[2:3], v[48:49]
	;; [unrolled: 1-line block ×8, first 2 shown]
	v_fma_f64 v[90:91], v[56:57], v[64:65], -v[90:91]
	v_fmac_f64_e32 v[92:93], v[58:59], v[64:65]
	v_fma_f64 v[56:57], v[56:57], v[68:69], -v[94:95]
	v_fmac_f64_e32 v[96:97], v[58:59], v[68:69]
	;; [unrolled: 2-line block ×4, first 2 shown]
	s_barrier_signal -1
	s_barrier_wait -1
	v_mul_f64_e32 v[94:95], v[24:25], v[42:43]
	v_add_f64_e32 v[54:55], v[54:55], v[98:99]
	v_add_f64_e32 v[62:63], v[104:105], v[82:83]
	;; [unrolled: 1-line block ×8, first 2 shown]
	v_mul_f64_e32 v[84:85], v[26:27], v[38:39]
	v_mul_f64_e32 v[86:87], v[24:25], v[38:39]
	;; [unrolled: 1-line block ×7, first 2 shown]
	v_fma_f64 v[42:43], v[2:3], v[46:47], -v[100:101]
	v_fmac_f64_e32 v[102:103], v[4:5], v[46:47]
	v_fma_f64 v[2:3], v[2:3], v[50:51], -v[108:109]
	v_fmac_f64_e32 v[112:113], v[4:5], v[50:51]
	;; [unrolled: 2-line block ×4, first 2 shown]
	v_fmac_f64_e32 v[94:95], v[26:27], v[40:41]
	v_add_f64_e32 v[50:51], v[54:55], v[90:91]
	v_add_f64_e32 v[54:55], v[92:93], v[62:63]
	;; [unrolled: 1-line block ×8, first 2 shown]
	v_fma_f64 v[68:69], v[24:25], v[36:37], -v[84:85]
	v_fmac_f64_e32 v[86:87], v[26:27], v[36:37]
	v_fma_f64 v[24:25], v[24:25], v[40:41], -v[88:89]
	v_fma_f64 v[26:27], v[32:33], v[36:37], -v[98:99]
	v_fmac_f64_e32 v[104:105], v[34:35], v[36:37]
	v_fma_f64 v[70:71], v[32:33], v[40:41], -v[38:39]
	v_fmac_f64_e32 v[106:107], v[34:35], v[40:41]
	v_add_f64_e32 v[32:33], v[50:51], v[42:43]
	v_add_f64_e32 v[34:35], v[102:103], v[54:55]
	;; [unrolled: 1-line block ×16, first 2 shown]
	s_cbranch_vccz .LBB546_18
.LBB546_10:                             ;   Parent Loop BB546_7 Depth=1
                                        ; =>  This Inner Loop Header: Depth=2
	v_mov_b64_e32 v[2:3], 0
	v_mov_b64_e32 v[4:5], 0
	s_and_saveexec_b32 s17, s0
	s_cbranch_execz .LBB546_14
; %bb.11:                               ;   in Loop: Header=BB546_10 Depth=2
	v_mov_b64_e32 v[4:5], 0
	v_mov_b64_e32 v[2:3], 0
	v_add_nc_u32_e32 v0, s14, v8
	s_mov_b32 s22, exec_lo
	s_delay_alu instid0(VALU_DEP_1)
	v_cmpx_gt_u64_e64 s[8:9], v[0:1]
	s_cbranch_execz .LBB546_13
; %bb.12:                               ;   in Loop: Header=BB546_10 Depth=2
	v_lshl_add_u64 v[2:3], v[0:1], 4, v[28:29]
	flat_load_b128 v[2:5], v[2:3]
	s_wait_loadcnt_dscnt 0x0
	v_xor_b32_e32 v5, 0x80000000, v5
.LBB546_13:                             ;   in Loop: Header=BB546_10 Depth=2
	s_wait_xcnt 0x0
	s_or_b32 exec_lo, exec_lo, s22
.LBB546_14:                             ;   in Loop: Header=BB546_10 Depth=2
	s_delay_alu instid0(SALU_CYCLE_1) | instskip(SKIP_4) | instid1(SALU_CYCLE_1)
	s_or_b32 exec_lo, exec_lo, s17
	v_add_nc_u32_e32 v0, s14, v6
	ds_store_b128 v7, v[2:5]
	v_cmp_le_u64_e32 vcc_lo, s[8:9], v[0:1]
	s_or_b32 s17, vcc_lo, s16
	s_and_saveexec_b32 s22, s17
	s_delay_alu instid0(SALU_CYCLE_1)
	s_xor_b32 s17, exec_lo, s22
; %bb.15:                               ;   in Loop: Header=BB546_10 Depth=2
	v_dual_mov_b32 v0, v1 :: v_dual_mov_b32 v2, v1
	v_mov_b32_e32 v3, v1
	ds_store_b128 v9, v[0:3]
; %bb.16:                               ;   in Loop: Header=BB546_10 Depth=2
	s_and_not1_saveexec_b32 s17, s17
	s_cbranch_execz .LBB546_9
; %bb.17:                               ;   in Loop: Header=BB546_10 Depth=2
	v_lshl_add_u64 v[2:3], v[0:1], 4, v[30:31]
	flat_load_b128 v[2:5], v[2:3]
	s_wait_loadcnt_dscnt 0x0
	ds_store_2addr_b64 v9, v[2:3], v[4:5] offset1:1
	s_branch .LBB546_9
.LBB546_18:                             ;   in Loop: Header=BB546_7 Depth=1
	s_wait_loadcnt 0x0
	v_add_nc_u64_e32 v[22:23], s[10:11], v[22:23]
	s_delay_alu instid0(VALU_DEP_1)
	v_lshl_add_u64 v[28:29], v[14:15], 4, v[22:23]
	s_wait_xcnt 0x0
	s_and_saveexec_b32 s14, s21
	s_cbranch_execz .LBB546_23
; %bb.19:                               ;   in Loop: Header=BB546_7 Depth=1
	v_mul_f64_e32 v[2:3], s[42:43], v[42:43]
	v_mul_f64_e32 v[4:5], s[40:41], v[42:43]
	v_lshl_add_u64 v[30:31], v[18:19], 4, v[28:29]
	s_and_b32 vcc_lo, exec_lo, s20
	s_mov_b32 s15, -1
	s_delay_alu instid0(VALU_DEP_3) | instskip(NEXT) | instid1(VALU_DEP_3)
	v_fma_f64 v[2:3], s[40:41], v[40:41], -v[2:3]
	v_fmac_f64_e32 v[4:5], s[42:43], v[40:41]
	s_cbranch_vccz .LBB546_21
; %bb.20:                               ;   in Loop: Header=BB546_7 Depth=1
	flat_load_b128 v[40:43], v[30:31]
	s_mov_b32 s15, 0
	s_wait_loadcnt_dscnt 0x0
	v_mul_f64_e32 v[46:47], s[38:39], v[42:43]
	v_mul_f64_e32 v[42:43], s[36:37], v[42:43]
	s_delay_alu instid0(VALU_DEP_2) | instskip(NEXT) | instid1(VALU_DEP_2)
	v_fma_f64 v[46:47], s[36:37], v[40:41], -v[46:47]
	v_fmac_f64_e32 v[42:43], s[38:39], v[40:41]
	s_delay_alu instid0(VALU_DEP_2) | instskip(NEXT) | instid1(VALU_DEP_2)
	v_add_f64_e32 v[40:41], v[2:3], v[46:47]
	v_add_f64_e32 v[42:43], v[4:5], v[42:43]
	flat_store_b128 v[30:31], v[40:43]
.LBB546_21:                             ;   in Loop: Header=BB546_7 Depth=1
	s_and_not1_b32 vcc_lo, exec_lo, s15
	s_cbranch_vccnz .LBB546_23
; %bb.22:                               ;   in Loop: Header=BB546_7 Depth=1
	flat_store_b128 v[30:31], v[2:5]
.LBB546_23:                             ;   in Loop: Header=BB546_7 Depth=1
	s_wait_xcnt 0x0
	s_or_b32 exec_lo, exec_lo, s14
	s_and_saveexec_b32 s14, s1
	s_cbranch_execz .LBB546_28
; %bb.24:                               ;   in Loop: Header=BB546_7 Depth=1
	v_mul_f64_e32 v[2:3], s[42:43], v[38:39]
	v_mul_f64_e32 v[4:5], s[40:41], v[38:39]
	v_lshl_add_u64 v[28:29], v[20:21], 4, v[28:29]
	s_and_not1_b32 vcc_lo, exec_lo, s20
	s_mov_b32 s15, -1
	s_delay_alu instid0(VALU_DEP_3) | instskip(NEXT) | instid1(VALU_DEP_3)
	v_fma_f64 v[2:3], s[40:41], v[36:37], -v[2:3]
	v_fmac_f64_e32 v[4:5], s[42:43], v[36:37]
	s_cbranch_vccnz .LBB546_26
; %bb.25:                               ;   in Loop: Header=BB546_7 Depth=1
	flat_load_b128 v[36:39], v[28:29]
	s_mov_b32 s15, 0
	s_wait_loadcnt_dscnt 0x0
	v_mul_f64_e32 v[30:31], s[38:39], v[38:39]
	v_mul_f64_e32 v[38:39], s[36:37], v[38:39]
	s_delay_alu instid0(VALU_DEP_2) | instskip(NEXT) | instid1(VALU_DEP_2)
	v_fma_f64 v[30:31], s[36:37], v[36:37], -v[30:31]
	v_fmac_f64_e32 v[38:39], s[38:39], v[36:37]
	s_delay_alu instid0(VALU_DEP_2) | instskip(NEXT) | instid1(VALU_DEP_2)
	v_add_f64_e32 v[36:37], v[2:3], v[30:31]
	v_add_f64_e32 v[38:39], v[4:5], v[38:39]
	flat_store_b128 v[28:29], v[36:39]
.LBB546_26:                             ;   in Loop: Header=BB546_7 Depth=1
	s_and_not1_b32 vcc_lo, exec_lo, s15
	s_cbranch_vccnz .LBB546_28
; %bb.27:                               ;   in Loop: Header=BB546_7 Depth=1
	flat_store_b128 v[28:29], v[2:5]
.LBB546_28:                             ;   in Loop: Header=BB546_7 Depth=1
	s_wait_xcnt 0x0
	s_or_b32 exec_lo, exec_lo, s14
	v_lshl_add_u64 v[22:23], v[16:17], 4, v[22:23]
	s_and_saveexec_b32 s14, s25
	s_cbranch_execz .LBB546_33
; %bb.29:                               ;   in Loop: Header=BB546_7 Depth=1
	v_mul_f64_e32 v[2:3], s[42:43], v[34:35]
	v_mul_f64_e32 v[4:5], s[40:41], v[34:35]
	v_lshl_add_u64 v[28:29], v[18:19], 4, v[22:23]
	s_and_not1_b32 vcc_lo, exec_lo, s20
	s_mov_b32 s15, -1
	s_delay_alu instid0(VALU_DEP_3) | instskip(NEXT) | instid1(VALU_DEP_3)
	v_fma_f64 v[2:3], s[40:41], v[32:33], -v[2:3]
	v_fmac_f64_e32 v[4:5], s[42:43], v[32:33]
	s_cbranch_vccnz .LBB546_31
; %bb.30:                               ;   in Loop: Header=BB546_7 Depth=1
	flat_load_b128 v[30:33], v[28:29]
	s_mov_b32 s15, 0
	s_wait_loadcnt_dscnt 0x0
	v_mul_f64_e32 v[34:35], s[38:39], v[32:33]
	v_mul_f64_e32 v[32:33], s[36:37], v[32:33]
	s_delay_alu instid0(VALU_DEP_2) | instskip(NEXT) | instid1(VALU_DEP_2)
	v_fma_f64 v[34:35], s[36:37], v[30:31], -v[34:35]
	v_fmac_f64_e32 v[32:33], s[38:39], v[30:31]
	s_delay_alu instid0(VALU_DEP_2) | instskip(NEXT) | instid1(VALU_DEP_2)
	v_add_f64_e32 v[30:31], v[2:3], v[34:35]
	v_add_f64_e32 v[32:33], v[4:5], v[32:33]
	flat_store_b128 v[28:29], v[30:33]
.LBB546_31:                             ;   in Loop: Header=BB546_7 Depth=1
	s_and_not1_b32 vcc_lo, exec_lo, s15
	s_cbranch_vccnz .LBB546_33
; %bb.32:                               ;   in Loop: Header=BB546_7 Depth=1
	flat_store_b128 v[28:29], v[2:5]
.LBB546_33:                             ;   in Loop: Header=BB546_7 Depth=1
	s_wait_xcnt 0x0
	s_or_b32 exec_lo, exec_lo, s14
	s_and_saveexec_b32 s14, s28
	s_cbranch_execz .LBB546_6
; %bb.34:                               ;   in Loop: Header=BB546_7 Depth=1
	s_delay_alu instid0(VALU_DEP_4) | instskip(SKIP_4) | instid1(VALU_DEP_3)
	v_mul_f64_e32 v[2:3], s[42:43], v[26:27]
	v_mul_f64_e32 v[4:5], s[40:41], v[26:27]
	v_lshl_add_u64 v[22:23], v[20:21], 4, v[22:23]
	s_and_not1_b32 vcc_lo, exec_lo, s20
	s_mov_b32 s15, -1
	v_fma_f64 v[2:3], s[40:41], v[24:25], -v[2:3]
	s_delay_alu instid0(VALU_DEP_3)
	v_fmac_f64_e32 v[4:5], s[42:43], v[24:25]
	s_cbranch_vccnz .LBB546_36
; %bb.35:                               ;   in Loop: Header=BB546_7 Depth=1
	flat_load_b128 v[24:27], v[22:23]
	s_mov_b32 s15, 0
	s_wait_loadcnt_dscnt 0x0
	v_mul_f64_e32 v[28:29], s[38:39], v[26:27]
	v_mul_f64_e32 v[26:27], s[36:37], v[26:27]
	s_delay_alu instid0(VALU_DEP_2) | instskip(NEXT) | instid1(VALU_DEP_2)
	v_fma_f64 v[28:29], s[36:37], v[24:25], -v[28:29]
	v_fmac_f64_e32 v[26:27], s[38:39], v[24:25]
	s_delay_alu instid0(VALU_DEP_2) | instskip(NEXT) | instid1(VALU_DEP_2)
	v_add_f64_e32 v[24:25], v[2:3], v[28:29]
	v_add_f64_e32 v[26:27], v[4:5], v[26:27]
	flat_store_b128 v[22:23], v[24:27]
.LBB546_36:                             ;   in Loop: Header=BB546_7 Depth=1
	s_and_not1_b32 vcc_lo, exec_lo, s15
	s_cbranch_vccnz .LBB546_6
; %bb.37:                               ;   in Loop: Header=BB546_7 Depth=1
	flat_store_b128 v[22:23], v[2:5]
	s_branch .LBB546_6
.LBB546_38:
.LBB546_39:
	s_sendmsg sendmsg(MSG_DEALLOC_VGPRS)
	s_endpgm
	.section	.rodata,"a",@progbits
	.p2align	6, 0x0
	.amdhsa_kernel _ZL29rocblas_internal_gemmt_kernelIlLi16ELi32ELi8ELc67ELc78ELc85ELb1ELb0E19rocblas_complex_numIdEPKS1_PKS3_PKPS1_EviT_T9_T10_S9_lSB_S9_lSA_T11_S9_li
		.amdhsa_group_segment_fixed_size 8192
		.amdhsa_private_segment_fixed_size 0
		.amdhsa_kernarg_size 108
		.amdhsa_user_sgpr_count 2
		.amdhsa_user_sgpr_dispatch_ptr 0
		.amdhsa_user_sgpr_queue_ptr 0
		.amdhsa_user_sgpr_kernarg_segment_ptr 1
		.amdhsa_user_sgpr_dispatch_id 0
		.amdhsa_user_sgpr_kernarg_preload_length 0
		.amdhsa_user_sgpr_kernarg_preload_offset 0
		.amdhsa_user_sgpr_private_segment_size 0
		.amdhsa_wavefront_size32 1
		.amdhsa_uses_dynamic_stack 0
		.amdhsa_enable_private_segment 0
		.amdhsa_system_sgpr_workgroup_id_x 1
		.amdhsa_system_sgpr_workgroup_id_y 1
		.amdhsa_system_sgpr_workgroup_id_z 1
		.amdhsa_system_sgpr_workgroup_info 0
		.amdhsa_system_vgpr_workitem_id 1
		.amdhsa_next_free_vgpr 132
		.amdhsa_next_free_sgpr 44
		.amdhsa_named_barrier_count 0
		.amdhsa_reserve_vcc 1
		.amdhsa_float_round_mode_32 0
		.amdhsa_float_round_mode_16_64 0
		.amdhsa_float_denorm_mode_32 3
		.amdhsa_float_denorm_mode_16_64 3
		.amdhsa_fp16_overflow 0
		.amdhsa_memory_ordered 1
		.amdhsa_forward_progress 1
		.amdhsa_inst_pref_size 23
		.amdhsa_round_robin_scheduling 0
		.amdhsa_exception_fp_ieee_invalid_op 0
		.amdhsa_exception_fp_denorm_src 0
		.amdhsa_exception_fp_ieee_div_zero 0
		.amdhsa_exception_fp_ieee_overflow 0
		.amdhsa_exception_fp_ieee_underflow 0
		.amdhsa_exception_fp_ieee_inexact 0
		.amdhsa_exception_int_div_zero 0
	.end_amdhsa_kernel
	.section	.text._ZL29rocblas_internal_gemmt_kernelIlLi16ELi32ELi8ELc67ELc78ELc85ELb1ELb0E19rocblas_complex_numIdEPKS1_PKS3_PKPS1_EviT_T9_T10_S9_lSB_S9_lSA_T11_S9_li,"axG",@progbits,_ZL29rocblas_internal_gemmt_kernelIlLi16ELi32ELi8ELc67ELc78ELc85ELb1ELb0E19rocblas_complex_numIdEPKS1_PKS3_PKPS1_EviT_T9_T10_S9_lSB_S9_lSA_T11_S9_li,comdat
.Lfunc_end546:
	.size	_ZL29rocblas_internal_gemmt_kernelIlLi16ELi32ELi8ELc67ELc78ELc85ELb1ELb0E19rocblas_complex_numIdEPKS1_PKS3_PKPS1_EviT_T9_T10_S9_lSB_S9_lSA_T11_S9_li, .Lfunc_end546-_ZL29rocblas_internal_gemmt_kernelIlLi16ELi32ELi8ELc67ELc78ELc85ELb1ELb0E19rocblas_complex_numIdEPKS1_PKS3_PKPS1_EviT_T9_T10_S9_lSB_S9_lSA_T11_S9_li
                                        ; -- End function
	.set _ZL29rocblas_internal_gemmt_kernelIlLi16ELi32ELi8ELc67ELc78ELc85ELb1ELb0E19rocblas_complex_numIdEPKS1_PKS3_PKPS1_EviT_T9_T10_S9_lSB_S9_lSA_T11_S9_li.num_vgpr, 132
	.set _ZL29rocblas_internal_gemmt_kernelIlLi16ELi32ELi8ELc67ELc78ELc85ELb1ELb0E19rocblas_complex_numIdEPKS1_PKS3_PKPS1_EviT_T9_T10_S9_lSB_S9_lSA_T11_S9_li.num_agpr, 0
	.set _ZL29rocblas_internal_gemmt_kernelIlLi16ELi32ELi8ELc67ELc78ELc85ELb1ELb0E19rocblas_complex_numIdEPKS1_PKS3_PKPS1_EviT_T9_T10_S9_lSB_S9_lSA_T11_S9_li.numbered_sgpr, 44
	.set _ZL29rocblas_internal_gemmt_kernelIlLi16ELi32ELi8ELc67ELc78ELc85ELb1ELb0E19rocblas_complex_numIdEPKS1_PKS3_PKPS1_EviT_T9_T10_S9_lSB_S9_lSA_T11_S9_li.num_named_barrier, 0
	.set _ZL29rocblas_internal_gemmt_kernelIlLi16ELi32ELi8ELc67ELc78ELc85ELb1ELb0E19rocblas_complex_numIdEPKS1_PKS3_PKPS1_EviT_T9_T10_S9_lSB_S9_lSA_T11_S9_li.private_seg_size, 0
	.set _ZL29rocblas_internal_gemmt_kernelIlLi16ELi32ELi8ELc67ELc78ELc85ELb1ELb0E19rocblas_complex_numIdEPKS1_PKS3_PKPS1_EviT_T9_T10_S9_lSB_S9_lSA_T11_S9_li.uses_vcc, 1
	.set _ZL29rocblas_internal_gemmt_kernelIlLi16ELi32ELi8ELc67ELc78ELc85ELb1ELb0E19rocblas_complex_numIdEPKS1_PKS3_PKPS1_EviT_T9_T10_S9_lSB_S9_lSA_T11_S9_li.uses_flat_scratch, 0
	.set _ZL29rocblas_internal_gemmt_kernelIlLi16ELi32ELi8ELc67ELc78ELc85ELb1ELb0E19rocblas_complex_numIdEPKS1_PKS3_PKPS1_EviT_T9_T10_S9_lSB_S9_lSA_T11_S9_li.has_dyn_sized_stack, 0
	.set _ZL29rocblas_internal_gemmt_kernelIlLi16ELi32ELi8ELc67ELc78ELc85ELb1ELb0E19rocblas_complex_numIdEPKS1_PKS3_PKPS1_EviT_T9_T10_S9_lSB_S9_lSA_T11_S9_li.has_recursion, 0
	.set _ZL29rocblas_internal_gemmt_kernelIlLi16ELi32ELi8ELc67ELc78ELc85ELb1ELb0E19rocblas_complex_numIdEPKS1_PKS3_PKPS1_EviT_T9_T10_S9_lSB_S9_lSA_T11_S9_li.has_indirect_call, 0
	.section	.AMDGPU.csdata,"",@progbits
; Kernel info:
; codeLenInByte = 2936
; TotalNumSgprs: 46
; NumVgprs: 132
; ScratchSize: 0
; MemoryBound: 1
; FloatMode: 240
; IeeeMode: 1
; LDSByteSize: 8192 bytes/workgroup (compile time only)
; SGPRBlocks: 0
; VGPRBlocks: 8
; NumSGPRsForWavesPerEU: 46
; NumVGPRsForWavesPerEU: 132
; NamedBarCnt: 0
; Occupancy: 7
; WaveLimiterHint : 1
; COMPUTE_PGM_RSRC2:SCRATCH_EN: 0
; COMPUTE_PGM_RSRC2:USER_SGPR: 2
; COMPUTE_PGM_RSRC2:TRAP_HANDLER: 0
; COMPUTE_PGM_RSRC2:TGID_X_EN: 1
; COMPUTE_PGM_RSRC2:TGID_Y_EN: 1
; COMPUTE_PGM_RSRC2:TGID_Z_EN: 1
; COMPUTE_PGM_RSRC2:TIDIG_COMP_CNT: 1
	.section	.text._ZL29rocblas_internal_gemmt_kernelIlLi16ELi32ELi8ELc67ELc84ELc85ELb1ELb0E19rocblas_complex_numIdEPKS1_PKS3_PKPS1_EviT_T9_T10_S9_lSB_S9_lSA_T11_S9_li,"axG",@progbits,_ZL29rocblas_internal_gemmt_kernelIlLi16ELi32ELi8ELc67ELc84ELc85ELb1ELb0E19rocblas_complex_numIdEPKS1_PKS3_PKPS1_EviT_T9_T10_S9_lSB_S9_lSA_T11_S9_li,comdat
	.globl	_ZL29rocblas_internal_gemmt_kernelIlLi16ELi32ELi8ELc67ELc84ELc85ELb1ELb0E19rocblas_complex_numIdEPKS1_PKS3_PKPS1_EviT_T9_T10_S9_lSB_S9_lSA_T11_S9_li ; -- Begin function _ZL29rocblas_internal_gemmt_kernelIlLi16ELi32ELi8ELc67ELc84ELc85ELb1ELb0E19rocblas_complex_numIdEPKS1_PKS3_PKPS1_EviT_T9_T10_S9_lSB_S9_lSA_T11_S9_li
	.p2align	8
	.type	_ZL29rocblas_internal_gemmt_kernelIlLi16ELi32ELi8ELc67ELc84ELc85ELb1ELb0E19rocblas_complex_numIdEPKS1_PKS3_PKPS1_EviT_T9_T10_S9_lSB_S9_lSA_T11_S9_li,@function
_ZL29rocblas_internal_gemmt_kernelIlLi16ELi32ELi8ELc67ELc84ELc85ELb1ELb0E19rocblas_complex_numIdEPKS1_PKS3_PKPS1_EviT_T9_T10_S9_lSB_S9_lSA_T11_S9_li: ; @_ZL29rocblas_internal_gemmt_kernelIlLi16ELi32ELi8ELc67ELc84ELc85ELb1ELb0E19rocblas_complex_numIdEPKS1_PKS3_PKPS1_EviT_T9_T10_S9_lSB_S9_lSA_T11_S9_li
; %bb.0:
	s_clause 0x1
	s_load_b256 s[24:31], s[0:1], 0x48
	s_load_b512 s[8:23], s[0:1], 0x8
	s_wait_kmcnt 0x0
	s_load_b128 s[36:39], s[24:25], 0x0
	s_load_b128 s[40:43], s[10:11], 0x0
	s_wait_kmcnt 0x0
	v_cmp_eq_f64_e64 s2, s[36:37], 1.0
	v_cmp_eq_f64_e64 s3, s[38:39], 0
	s_and_b32 s2, s2, s3
	s_delay_alu instid0(SALU_CYCLE_1)
	s_and_not1_b32 vcc_lo, exec_lo, s2
	s_mov_b32 s2, -1
	s_cbranch_vccnz .LBB547_3
; %bb.1:
	s_cmp_lg_u64 s[8:9], 0
	s_cbranch_scc0 .LBB547_38
; %bb.2:
	v_cmp_neq_f64_e64 s2, s[40:41], 0
	v_cmp_neq_f64_e64 s4, s[42:43], 0
	s_or_b32 s2, s2, s4
.LBB547_3:
	s_delay_alu instid0(SALU_CYCLE_1)
	s_and_b32 vcc_lo, exec_lo, s2
	s_cbranch_vccz .LBB547_39
; %bb.4:
	s_load_b32 s24, s[0:1], 0x68
	s_bfe_u32 s2, ttmp6, 0x40014
	s_lshr_b32 s4, ttmp7, 16
	s_add_co_i32 s2, s2, 1
	s_bfe_u32 s6, ttmp6, 0x40008
	s_mul_i32 s5, s4, s2
	s_getreg_b32 s2, hwreg(HW_REG_IB_STS2, 6, 4)
	s_add_co_i32 s6, s6, s5
	s_cmp_eq_u32 s2, 0
	s_mov_b32 s7, 0
	s_cselect_b32 s6, s4, s6
	s_wait_kmcnt 0x0
	s_cmp_ge_u32 s6, s24
	s_cbranch_scc1 .LBB547_39
; %bb.5:
	s_load_b32 s10, s[0:1], 0x0
	s_wait_xcnt 0x0
	s_bfe_u32 s1, ttmp6, 0x4000c
	s_bfe_u32 s25, ttmp6, 0x40010
	s_and_b32 s11, ttmp7, 0xffff
	s_add_co_i32 s1, s1, 1
	s_add_co_i32 s25, s25, 1
	v_and_b32_e32 v19, 0x3ff, v0
	v_bfe_u32 v21, v0, 10, 10
	s_and_b32 s0, ttmp6, 15
	s_bfe_u32 s33, ttmp6, 0x40004
	s_mul_i32 s1, ttmp9, s1
	s_mul_i32 s25, s11, s25
	s_add_co_i32 s0, s0, s1
	s_add_co_i32 s33, s33, s25
	s_cmp_eq_u32 s2, 0
	v_lshl_add_u32 v1, v21, 4, v19
	s_cselect_b32 s1, s11, s33
	s_cselect_b32 s0, ttmp9, s0
	s_lshl_b32 s1, s1, 5
	s_delay_alu instid0(VALU_DEP_1)
	v_dual_lshrrev_b32 v7, 3, v1 :: v_dual_bitop2_b32 v6, 7, v0 bitop3:0x40
	v_dual_lshrrev_b32 v8, 5, v1 :: v_dual_bitop2_b32 v9, 31, v1 bitop3:0x40
	v_add_nc_u32_e32 v0, s1, v21
	s_lshl_b32 s2, s0, 5
	s_delay_alu instid0(VALU_DEP_2) | instid1(SALU_CYCLE_1)
	v_dual_add_nc_u32 v10, s1, v7 :: v_dual_bitop2_b32 v2, s2, v9 bitop3:0x54
	v_cmp_neq_f64_e64 s4, s[40:41], 0
	s_delay_alu instid0(VALU_DEP_3) | instskip(SKIP_3) | instid1(VALU_DEP_4)
	v_add_nc_u32_e32 v4, 16, v0
	v_cmp_neq_f64_e64 s5, s[42:43], 0
	v_cmp_neq_f64_e64 s25, s[36:37], 0
	v_dual_ashrrev_i32 v3, 31, v2 :: v_dual_ashrrev_i32 v1, 31, v0
	v_dual_lshlrev_b32 v11, 4, v6 :: v_dual_ashrrev_i32 v5, 31, v4
	v_dual_lshlrev_b32 v9, 4, v9 :: v_dual_add_nc_u32 v18, s2, v19
	s_delay_alu instid0(VALU_DEP_3) | instskip(NEXT) | instid1(VALU_DEP_4)
	v_mul_u64_e32 v[12:13], s[14:15], v[2:3]
	v_mul_u64_e32 v[14:15], s[28:29], v[0:1]
	s_delay_alu instid0(VALU_DEP_4)
	v_mul_u64_e32 v[16:17], s[28:29], v[4:5]
	s_wait_kmcnt 0x0
	v_cmp_gt_i32_e64 s1, s10, v0
	v_cmp_le_i32_e64 s2, v18, v0
	v_add_nc_u32_e32 v20, 16, v18
	v_lshl_or_b32 v3, v7, 7, v11
	v_cmp_gt_i64_e64 s11, s[8:9], 0
	s_xor_b32 s3, s3, -1
	v_cmp_gt_i32_e32 vcc_lo, s10, v10
	v_dual_ashrrev_i32 v11, 31, v10 :: v_dual_lshlrev_b32 v44, 4, v19
	s_and_b32 s28, s1, s2
	v_ashrrev_i32_e32 v19, 31, v18
	v_cmp_le_i32_e64 s2, v20, v0
	v_cmp_gt_i32_e64 s0, s10, v2
	v_lshl_or_b32 v7, v8, 9, v9
	v_add_nc_u32_e32 v9, 0x1000, v3
	v_lshl_add_u32 v45, v21, 7, 0x1000
	v_dual_ashrrev_i32 v21, 31, v20 :: v_dual_mov_b32 v1, 0
	s_and_b32 s1, s1, s2
	s_or_b32 s34, s4, s5
	s_or_b32 s25, s25, s3
	v_cmp_gt_i32_e64 s3, s10, v4
	v_cmp_le_i32_e64 s4, v18, v4
	v_cmp_le_i32_e64 s5, v20, v4
	s_and_b32 s34, s34, s11
	s_lshl_b64 s[10:11], s[30:31], 4
	s_and_b32 s29, s3, s4
	s_and_b32 s33, s3, s5
	s_lshl_b64 s[2:3], s[22:23], 4
	s_lshl_b64 s[4:5], s[16:17], 4
	s_xor_b32 s16, vcc_lo, -1
	s_branch .LBB547_7
.LBB547_6:                              ;   in Loop: Header=BB547_7 Depth=1
	s_wait_xcnt 0x0
	s_or_b32 exec_lo, exec_lo, s14
	s_add_co_i32 s6, s6, 0x10000
	s_delay_alu instid0(SALU_CYCLE_1)
	s_cmp_lt_u32 s6, s24
	s_cbranch_scc0 .LBB547_39
.LBB547_7:                              ; =>This Loop Header: Depth=1
                                        ;     Child Loop BB547_10 Depth 2
	v_mov_b32_e32 v0, s6
	v_mov_b64_e32 v[40:41], 0
	v_mov_b64_e32 v[42:43], 0
	;; [unrolled: 1-line block ×4, first 2 shown]
	global_load_b64 v[22:23], v0, s[26:27] scale_offset
	v_mov_b64_e32 v[32:33], 0
	v_mov_b64_e32 v[34:35], 0
	;; [unrolled: 1-line block ×4, first 2 shown]
	s_and_not1_b32 vcc_lo, exec_lo, s34
	s_cbranch_vccnz .LBB547_18
; %bb.8:                                ;   in Loop: Header=BB547_7 Depth=1
	s_lshl_b64 s[14:15], s[6:7], 3
	v_mov_b64_e32 v[26:27], 0
	s_add_nc_u64 s[22:23], s[12:13], s[14:15]
	s_add_nc_u64 s[14:15], s[18:19], s[14:15]
	s_clause 0x1
	global_load_b64 v[2:3], v1, s[22:23]
	global_load_b64 v[4:5], v1, s[14:15]
	v_mov_b64_e32 v[24:25], 0
	v_mov_b64_e32 v[34:35], 0
	;; [unrolled: 1-line block ×7, first 2 shown]
	s_wait_xcnt 0x0
	s_mov_b64 s[14:15], 0
	s_wait_loadcnt 0x1
	v_add_nc_u64_e32 v[2:3], s[4:5], v[2:3]
	s_wait_loadcnt 0x0
	v_add_nc_u64_e32 v[4:5], s[2:3], v[4:5]
	s_delay_alu instid0(VALU_DEP_2) | instskip(NEXT) | instid1(VALU_DEP_2)
	v_lshl_add_u64 v[28:29], v[12:13], 4, v[2:3]
	v_lshl_add_u64 v[30:31], v[10:11], 4, v[4:5]
	s_branch .LBB547_10
.LBB547_9:                              ;   in Loop: Header=BB547_10 Depth=2
	s_wait_xcnt 0x0
	s_or_b32 exec_lo, exec_lo, s17
	s_wait_dscnt 0x0
	s_barrier_signal -1
	s_barrier_wait -1
	ds_load_b128 v[2:5], v45
	ds_load_b128 v[46:49], v44
	ds_load_b128 v[50:53], v44 offset:256
	ds_load_b128 v[54:57], v45 offset:2048
	ds_load_b128 v[58:61], v45 offset:16
	ds_load_b128 v[62:65], v44 offset:512
	ds_load_b128 v[66:69], v44 offset:768
	ds_load_b128 v[70:73], v45 offset:2064
	ds_load_b128 v[74:77], v45 offset:32
	ds_load_b128 v[78:81], v44 offset:1024
	ds_load_b128 v[82:85], v44 offset:1280
	ds_load_b128 v[86:89], v45 offset:2080
	s_add_nc_u64 s[14:15], s[14:15], 8
	s_delay_alu instid0(SALU_CYCLE_1)
	v_cmp_gt_i64_e64 s17, s[8:9], s[14:15]
	s_and_b32 vcc_lo, exec_lo, s17
	s_wait_dscnt 0xa
	v_mul_f64_e32 v[90:91], v[4:5], v[48:49]
	v_mul_f64_e32 v[92:93], v[2:3], v[48:49]
	s_wait_dscnt 0x9
	v_mul_f64_e32 v[94:95], v[4:5], v[52:53]
	v_mul_f64_e32 v[96:97], v[2:3], v[52:53]
	s_wait_dscnt 0x8
	v_mul_f64_e32 v[98:99], v[56:57], v[48:49]
	v_mul_f64_e32 v[100:101], v[54:55], v[48:49]
	v_mul_f64_e32 v[48:49], v[56:57], v[52:53]
	v_mul_f64_e32 v[102:103], v[54:55], v[52:53]
	s_wait_dscnt 0x6
	v_mul_f64_e32 v[104:105], v[60:61], v[64:65]
	v_mul_f64_e32 v[106:107], v[58:59], v[64:65]
	s_wait_dscnt 0x5
	v_mul_f64_e32 v[108:109], v[60:61], v[68:69]
	v_mul_f64_e32 v[110:111], v[58:59], v[68:69]
	s_wait_dscnt 0x4
	v_mul_f64_e32 v[112:113], v[72:73], v[64:65]
	v_mul_f64_e32 v[64:65], v[70:71], v[64:65]
	v_mul_f64_e32 v[114:115], v[72:73], v[68:69]
	v_mul_f64_e32 v[68:69], v[70:71], v[68:69]
	s_wait_dscnt 0x2
	v_mul_f64_e32 v[118:119], v[76:77], v[80:81]
	v_mul_f64_e32 v[120:121], v[74:75], v[80:81]
	s_wait_dscnt 0x1
	v_mul_f64_e32 v[122:123], v[76:77], v[84:85]
	v_mul_f64_e32 v[124:125], v[74:75], v[84:85]
	s_wait_dscnt 0x0
	v_mul_f64_e32 v[126:127], v[88:89], v[80:81]
	v_mul_f64_e32 v[80:81], v[86:87], v[80:81]
	v_mul_f64_e32 v[128:129], v[88:89], v[84:85]
	v_mul_f64_e32 v[84:85], v[86:87], v[84:85]
	v_fma_f64 v[90:91], v[2:3], v[46:47], -v[90:91]
	v_fmac_f64_e32 v[92:93], v[4:5], v[46:47]
	v_fma_f64 v[94:95], v[2:3], v[50:51], -v[94:95]
	v_fmac_f64_e32 v[96:97], v[4:5], v[50:51]
	;; [unrolled: 2-line block ×8, first 2 shown]
	ds_load_b128 v[2:5], v45 offset:48
	ds_load_b128 v[46:49], v45 offset:2096
	;; [unrolled: 1-line block ×4, first 2 shown]
	v_fma_f64 v[118:119], v[74:75], v[78:79], -v[118:119]
	v_fmac_f64_e32 v[120:121], v[76:77], v[78:79]
	v_fma_f64 v[74:75], v[74:75], v[82:83], -v[122:123]
	v_fmac_f64_e32 v[124:125], v[76:77], v[82:83]
	;; [unrolled: 2-line block ×4, first 2 shown]
	v_add_f64_e32 v[66:67], v[40:41], v[90:91]
	v_add_f64_e32 v[70:71], v[92:93], v[42:43]
	;; [unrolled: 1-line block ×8, first 2 shown]
	s_wait_dscnt 0x1
	v_mul_f64_e32 v[100:101], v[4:5], v[52:53]
	v_mul_f64_e32 v[102:103], v[2:3], v[52:53]
	s_wait_dscnt 0x0
	v_mul_f64_e32 v[108:109], v[4:5], v[56:57]
	v_mul_f64_e32 v[112:113], v[2:3], v[56:57]
	;; [unrolled: 1-line block ×6, first 2 shown]
	ds_load_b128 v[24:27], v45 offset:64
	ds_load_b128 v[32:35], v44 offset:2048
	;; [unrolled: 1-line block ×4, first 2 shown]
	v_add_f64_e32 v[82:83], v[66:67], v[104:105]
	v_add_f64_e32 v[86:87], v[106:107], v[70:71]
	;; [unrolled: 1-line block ×8, first 2 shown]
	s_wait_dscnt 0x2
	v_mul_f64_e32 v[98:99], v[26:27], v[34:35]
	v_mul_f64_e32 v[104:105], v[24:25], v[34:35]
	s_wait_dscnt 0x1
	v_mul_f64_e32 v[106:107], v[26:27], v[38:39]
	v_mul_f64_e32 v[110:111], v[24:25], v[38:39]
	s_wait_dscnt 0x0
	v_mul_f64_e32 v[122:123], v[42:43], v[34:35]
	v_mul_f64_e32 v[126:127], v[40:41], v[34:35]
	v_mul_f64_e32 v[34:35], v[42:43], v[38:39]
	v_mul_f64_e32 v[128:129], v[40:41], v[38:39]
	v_fma_f64 v[38:39], v[2:3], v[50:51], -v[100:101]
	v_fmac_f64_e32 v[102:103], v[4:5], v[50:51]
	v_fma_f64 v[100:101], v[2:3], v[54:55], -v[108:109]
	v_fmac_f64_e32 v[112:113], v[4:5], v[54:55]
	;; [unrolled: 2-line block ×4, first 2 shown]
	ds_load_b128 v[56:59], v45 offset:80
	ds_load_b128 v[60:63], v45 offset:2128
	;; [unrolled: 1-line block ×4, first 2 shown]
	v_add_f64_e32 v[54:55], v[82:83], v[118:119]
	v_add_f64_e32 v[82:83], v[120:121], v[86:87]
	;; [unrolled: 1-line block ×8, first 2 shown]
	v_fma_f64 v[98:99], v[24:25], v[32:33], -v[98:99]
	v_fmac_f64_e32 v[104:105], v[26:27], v[32:33]
	v_fma_f64 v[106:107], v[24:25], v[36:37], -v[106:107]
	s_wait_dscnt 0x1
	v_mul_f64_e32 v[90:91], v[58:59], v[66:67]
	v_mul_f64_e32 v[92:93], v[56:57], v[66:67]
	s_wait_dscnt 0x0
	v_mul_f64_e32 v[94:95], v[58:59], v[70:71]
	v_mul_f64_e32 v[96:97], v[56:57], v[70:71]
	;; [unrolled: 1-line block ×6, first 2 shown]
	v_fmac_f64_e32 v[110:111], v[26:27], v[36:37]
	v_fma_f64 v[122:123], v[40:41], v[32:33], -v[122:123]
	v_fmac_f64_e32 v[126:127], v[42:43], v[32:33]
	v_fma_f64 v[124:125], v[40:41], v[36:37], -v[34:35]
	v_fmac_f64_e32 v[128:129], v[42:43], v[36:37]
	ds_load_b128 v[2:5], v45 offset:96
	ds_load_b128 v[46:49], v44 offset:3072
	;; [unrolled: 1-line block ×4, first 2 shown]
	v_add_f64_e32 v[54:55], v[54:55], v[38:39]
	v_add_f64_e32 v[82:83], v[102:103], v[82:83]
	;; [unrolled: 1-line block ×8, first 2 shown]
	ds_load_b128 v[24:27], v45 offset:112
	ds_load_b128 v[32:35], v45 offset:2160
	;; [unrolled: 1-line block ×4, first 2 shown]
	s_wait_dscnt 0x0
	v_mul_f64_e32 v[100:101], v[4:5], v[48:49]
	v_mul_f64_e32 v[102:103], v[2:3], v[48:49]
	v_mul_f64_e32 v[108:109], v[4:5], v[52:53]
	v_mul_f64_e32 v[112:113], v[2:3], v[52:53]
	v_mul_f64_e32 v[114:115], v[74:75], v[48:49]
	v_mul_f64_e32 v[48:49], v[72:73], v[48:49]
	v_mul_f64_e32 v[116:117], v[74:75], v[52:53]
	v_mul_f64_e32 v[52:53], v[72:73], v[52:53]
	v_fma_f64 v[90:91], v[56:57], v[64:65], -v[90:91]
	v_fmac_f64_e32 v[92:93], v[58:59], v[64:65]
	v_fma_f64 v[56:57], v[56:57], v[68:69], -v[94:95]
	v_fmac_f64_e32 v[96:97], v[58:59], v[68:69]
	;; [unrolled: 2-line block ×4, first 2 shown]
	s_barrier_signal -1
	s_barrier_wait -1
	v_mul_f64_e32 v[94:95], v[24:25], v[42:43]
	v_add_f64_e32 v[54:55], v[54:55], v[98:99]
	v_add_f64_e32 v[62:63], v[104:105], v[82:83]
	;; [unrolled: 1-line block ×8, first 2 shown]
	v_mul_f64_e32 v[84:85], v[26:27], v[38:39]
	v_mul_f64_e32 v[86:87], v[24:25], v[38:39]
	;; [unrolled: 1-line block ×7, first 2 shown]
	v_fma_f64 v[42:43], v[2:3], v[46:47], -v[100:101]
	v_fmac_f64_e32 v[102:103], v[4:5], v[46:47]
	v_fma_f64 v[2:3], v[2:3], v[50:51], -v[108:109]
	v_fmac_f64_e32 v[112:113], v[4:5], v[50:51]
	;; [unrolled: 2-line block ×4, first 2 shown]
	v_fmac_f64_e32 v[94:95], v[26:27], v[40:41]
	v_add_f64_e32 v[50:51], v[54:55], v[90:91]
	v_add_f64_e32 v[54:55], v[92:93], v[62:63]
	;; [unrolled: 1-line block ×8, first 2 shown]
	v_fma_f64 v[68:69], v[24:25], v[36:37], -v[84:85]
	v_fmac_f64_e32 v[86:87], v[26:27], v[36:37]
	v_fma_f64 v[24:25], v[24:25], v[40:41], -v[88:89]
	v_fma_f64 v[26:27], v[32:33], v[36:37], -v[98:99]
	v_fmac_f64_e32 v[104:105], v[34:35], v[36:37]
	v_fma_f64 v[70:71], v[32:33], v[40:41], -v[38:39]
	v_fmac_f64_e32 v[106:107], v[34:35], v[40:41]
	v_add_f64_e32 v[32:33], v[50:51], v[42:43]
	v_add_f64_e32 v[34:35], v[102:103], v[54:55]
	;; [unrolled: 1-line block ×16, first 2 shown]
	s_cbranch_vccz .LBB547_18
.LBB547_10:                             ;   Parent Loop BB547_7 Depth=1
                                        ; =>  This Inner Loop Header: Depth=2
	v_mov_b64_e32 v[2:3], 0
	v_mov_b64_e32 v[4:5], 0
	s_and_saveexec_b32 s17, s0
	s_cbranch_execz .LBB547_14
; %bb.11:                               ;   in Loop: Header=BB547_10 Depth=2
	v_mov_b64_e32 v[4:5], 0
	v_mov_b64_e32 v[2:3], 0
	v_add_nc_u32_e32 v0, s14, v8
	s_mov_b32 s22, exec_lo
	s_delay_alu instid0(VALU_DEP_1)
	v_cmpx_gt_u64_e64 s[8:9], v[0:1]
	s_cbranch_execz .LBB547_13
; %bb.12:                               ;   in Loop: Header=BB547_10 Depth=2
	v_lshl_add_u64 v[2:3], v[0:1], 4, v[28:29]
	flat_load_b128 v[2:5], v[2:3]
	s_wait_loadcnt_dscnt 0x0
	v_xor_b32_e32 v5, 0x80000000, v5
.LBB547_13:                             ;   in Loop: Header=BB547_10 Depth=2
	s_wait_xcnt 0x0
	s_or_b32 exec_lo, exec_lo, s22
.LBB547_14:                             ;   in Loop: Header=BB547_10 Depth=2
	s_delay_alu instid0(SALU_CYCLE_1) | instskip(SKIP_4) | instid1(SALU_CYCLE_1)
	s_or_b32 exec_lo, exec_lo, s17
	v_add_nc_u32_e32 v0, s14, v6
	ds_store_b128 v7, v[2:5]
	v_cmp_le_u64_e32 vcc_lo, s[8:9], v[0:1]
	s_or_b32 s17, vcc_lo, s16
	s_and_saveexec_b32 s22, s17
	s_delay_alu instid0(SALU_CYCLE_1)
	s_xor_b32 s17, exec_lo, s22
; %bb.15:                               ;   in Loop: Header=BB547_10 Depth=2
	v_dual_mov_b32 v0, v1 :: v_dual_mov_b32 v2, v1
	v_mov_b32_e32 v3, v1
	ds_store_b128 v9, v[0:3]
; %bb.16:                               ;   in Loop: Header=BB547_10 Depth=2
	s_and_not1_saveexec_b32 s17, s17
	s_cbranch_execz .LBB547_9
; %bb.17:                               ;   in Loop: Header=BB547_10 Depth=2
	v_mul_u64_e32 v[2:3], s[20:21], v[0:1]
	s_delay_alu instid0(VALU_DEP_1)
	v_lshl_add_u64 v[2:3], v[2:3], 4, v[30:31]
	flat_load_b128 v[2:5], v[2:3]
	s_wait_loadcnt_dscnt 0x0
	ds_store_2addr_b64 v9, v[2:3], v[4:5] offset1:1
	s_branch .LBB547_9
.LBB547_18:                             ;   in Loop: Header=BB547_7 Depth=1
	s_wait_loadcnt 0x0
	v_add_nc_u64_e32 v[22:23], s[10:11], v[22:23]
	s_delay_alu instid0(VALU_DEP_1)
	v_lshl_add_u64 v[28:29], v[14:15], 4, v[22:23]
	s_wait_xcnt 0x0
	s_and_saveexec_b32 s14, s28
	s_cbranch_execz .LBB547_23
; %bb.19:                               ;   in Loop: Header=BB547_7 Depth=1
	v_mul_f64_e32 v[2:3], s[42:43], v[42:43]
	v_mul_f64_e32 v[4:5], s[40:41], v[42:43]
	v_lshl_add_u64 v[30:31], v[18:19], 4, v[28:29]
	s_and_b32 vcc_lo, exec_lo, s25
	s_mov_b32 s15, -1
	s_delay_alu instid0(VALU_DEP_3) | instskip(NEXT) | instid1(VALU_DEP_3)
	v_fma_f64 v[2:3], s[40:41], v[40:41], -v[2:3]
	v_fmac_f64_e32 v[4:5], s[42:43], v[40:41]
	s_cbranch_vccz .LBB547_21
; %bb.20:                               ;   in Loop: Header=BB547_7 Depth=1
	flat_load_b128 v[40:43], v[30:31]
	s_mov_b32 s15, 0
	s_wait_loadcnt_dscnt 0x0
	v_mul_f64_e32 v[46:47], s[38:39], v[42:43]
	v_mul_f64_e32 v[42:43], s[36:37], v[42:43]
	s_delay_alu instid0(VALU_DEP_2) | instskip(NEXT) | instid1(VALU_DEP_2)
	v_fma_f64 v[46:47], s[36:37], v[40:41], -v[46:47]
	v_fmac_f64_e32 v[42:43], s[38:39], v[40:41]
	s_delay_alu instid0(VALU_DEP_2) | instskip(NEXT) | instid1(VALU_DEP_2)
	v_add_f64_e32 v[40:41], v[2:3], v[46:47]
	v_add_f64_e32 v[42:43], v[4:5], v[42:43]
	flat_store_b128 v[30:31], v[40:43]
.LBB547_21:                             ;   in Loop: Header=BB547_7 Depth=1
	s_and_not1_b32 vcc_lo, exec_lo, s15
	s_cbranch_vccnz .LBB547_23
; %bb.22:                               ;   in Loop: Header=BB547_7 Depth=1
	flat_store_b128 v[30:31], v[2:5]
.LBB547_23:                             ;   in Loop: Header=BB547_7 Depth=1
	s_wait_xcnt 0x0
	s_or_b32 exec_lo, exec_lo, s14
	s_and_saveexec_b32 s14, s1
	s_cbranch_execz .LBB547_28
; %bb.24:                               ;   in Loop: Header=BB547_7 Depth=1
	v_mul_f64_e32 v[2:3], s[42:43], v[38:39]
	v_mul_f64_e32 v[4:5], s[40:41], v[38:39]
	v_lshl_add_u64 v[28:29], v[20:21], 4, v[28:29]
	s_and_not1_b32 vcc_lo, exec_lo, s25
	s_mov_b32 s15, -1
	s_delay_alu instid0(VALU_DEP_3) | instskip(NEXT) | instid1(VALU_DEP_3)
	v_fma_f64 v[2:3], s[40:41], v[36:37], -v[2:3]
	v_fmac_f64_e32 v[4:5], s[42:43], v[36:37]
	s_cbranch_vccnz .LBB547_26
; %bb.25:                               ;   in Loop: Header=BB547_7 Depth=1
	flat_load_b128 v[36:39], v[28:29]
	s_mov_b32 s15, 0
	s_wait_loadcnt_dscnt 0x0
	v_mul_f64_e32 v[30:31], s[38:39], v[38:39]
	v_mul_f64_e32 v[38:39], s[36:37], v[38:39]
	s_delay_alu instid0(VALU_DEP_2) | instskip(NEXT) | instid1(VALU_DEP_2)
	v_fma_f64 v[30:31], s[36:37], v[36:37], -v[30:31]
	v_fmac_f64_e32 v[38:39], s[38:39], v[36:37]
	s_delay_alu instid0(VALU_DEP_2) | instskip(NEXT) | instid1(VALU_DEP_2)
	v_add_f64_e32 v[36:37], v[2:3], v[30:31]
	v_add_f64_e32 v[38:39], v[4:5], v[38:39]
	flat_store_b128 v[28:29], v[36:39]
.LBB547_26:                             ;   in Loop: Header=BB547_7 Depth=1
	s_and_not1_b32 vcc_lo, exec_lo, s15
	s_cbranch_vccnz .LBB547_28
; %bb.27:                               ;   in Loop: Header=BB547_7 Depth=1
	flat_store_b128 v[28:29], v[2:5]
.LBB547_28:                             ;   in Loop: Header=BB547_7 Depth=1
	s_wait_xcnt 0x0
	s_or_b32 exec_lo, exec_lo, s14
	v_lshl_add_u64 v[22:23], v[16:17], 4, v[22:23]
	s_and_saveexec_b32 s14, s29
	s_cbranch_execz .LBB547_33
; %bb.29:                               ;   in Loop: Header=BB547_7 Depth=1
	v_mul_f64_e32 v[2:3], s[42:43], v[34:35]
	v_mul_f64_e32 v[4:5], s[40:41], v[34:35]
	v_lshl_add_u64 v[28:29], v[18:19], 4, v[22:23]
	s_and_not1_b32 vcc_lo, exec_lo, s25
	s_mov_b32 s15, -1
	s_delay_alu instid0(VALU_DEP_3) | instskip(NEXT) | instid1(VALU_DEP_3)
	v_fma_f64 v[2:3], s[40:41], v[32:33], -v[2:3]
	v_fmac_f64_e32 v[4:5], s[42:43], v[32:33]
	s_cbranch_vccnz .LBB547_31
; %bb.30:                               ;   in Loop: Header=BB547_7 Depth=1
	flat_load_b128 v[30:33], v[28:29]
	s_mov_b32 s15, 0
	s_wait_loadcnt_dscnt 0x0
	v_mul_f64_e32 v[34:35], s[38:39], v[32:33]
	v_mul_f64_e32 v[32:33], s[36:37], v[32:33]
	s_delay_alu instid0(VALU_DEP_2) | instskip(NEXT) | instid1(VALU_DEP_2)
	v_fma_f64 v[34:35], s[36:37], v[30:31], -v[34:35]
	v_fmac_f64_e32 v[32:33], s[38:39], v[30:31]
	s_delay_alu instid0(VALU_DEP_2) | instskip(NEXT) | instid1(VALU_DEP_2)
	v_add_f64_e32 v[30:31], v[2:3], v[34:35]
	v_add_f64_e32 v[32:33], v[4:5], v[32:33]
	flat_store_b128 v[28:29], v[30:33]
.LBB547_31:                             ;   in Loop: Header=BB547_7 Depth=1
	s_and_not1_b32 vcc_lo, exec_lo, s15
	s_cbranch_vccnz .LBB547_33
; %bb.32:                               ;   in Loop: Header=BB547_7 Depth=1
	flat_store_b128 v[28:29], v[2:5]
.LBB547_33:                             ;   in Loop: Header=BB547_7 Depth=1
	s_wait_xcnt 0x0
	s_or_b32 exec_lo, exec_lo, s14
	s_and_saveexec_b32 s14, s33
	s_cbranch_execz .LBB547_6
; %bb.34:                               ;   in Loop: Header=BB547_7 Depth=1
	s_delay_alu instid0(VALU_DEP_4) | instskip(SKIP_4) | instid1(VALU_DEP_3)
	v_mul_f64_e32 v[2:3], s[42:43], v[26:27]
	v_mul_f64_e32 v[4:5], s[40:41], v[26:27]
	v_lshl_add_u64 v[22:23], v[20:21], 4, v[22:23]
	s_and_not1_b32 vcc_lo, exec_lo, s25
	s_mov_b32 s15, -1
	v_fma_f64 v[2:3], s[40:41], v[24:25], -v[2:3]
	s_delay_alu instid0(VALU_DEP_3)
	v_fmac_f64_e32 v[4:5], s[42:43], v[24:25]
	s_cbranch_vccnz .LBB547_36
; %bb.35:                               ;   in Loop: Header=BB547_7 Depth=1
	flat_load_b128 v[24:27], v[22:23]
	s_mov_b32 s15, 0
	s_wait_loadcnt_dscnt 0x0
	v_mul_f64_e32 v[28:29], s[38:39], v[26:27]
	v_mul_f64_e32 v[26:27], s[36:37], v[26:27]
	s_delay_alu instid0(VALU_DEP_2) | instskip(NEXT) | instid1(VALU_DEP_2)
	v_fma_f64 v[28:29], s[36:37], v[24:25], -v[28:29]
	v_fmac_f64_e32 v[26:27], s[38:39], v[24:25]
	s_delay_alu instid0(VALU_DEP_2) | instskip(NEXT) | instid1(VALU_DEP_2)
	v_add_f64_e32 v[24:25], v[2:3], v[28:29]
	v_add_f64_e32 v[26:27], v[4:5], v[26:27]
	flat_store_b128 v[22:23], v[24:27]
.LBB547_36:                             ;   in Loop: Header=BB547_7 Depth=1
	s_and_not1_b32 vcc_lo, exec_lo, s15
	s_cbranch_vccnz .LBB547_6
; %bb.37:                               ;   in Loop: Header=BB547_7 Depth=1
	flat_store_b128 v[22:23], v[2:5]
	s_branch .LBB547_6
.LBB547_38:
.LBB547_39:
	s_sendmsg sendmsg(MSG_DEALLOC_VGPRS)
	s_endpgm
	.section	.rodata,"a",@progbits
	.p2align	6, 0x0
	.amdhsa_kernel _ZL29rocblas_internal_gemmt_kernelIlLi16ELi32ELi8ELc67ELc84ELc85ELb1ELb0E19rocblas_complex_numIdEPKS1_PKS3_PKPS1_EviT_T9_T10_S9_lSB_S9_lSA_T11_S9_li
		.amdhsa_group_segment_fixed_size 8192
		.amdhsa_private_segment_fixed_size 0
		.amdhsa_kernarg_size 108
		.amdhsa_user_sgpr_count 2
		.amdhsa_user_sgpr_dispatch_ptr 0
		.amdhsa_user_sgpr_queue_ptr 0
		.amdhsa_user_sgpr_kernarg_segment_ptr 1
		.amdhsa_user_sgpr_dispatch_id 0
		.amdhsa_user_sgpr_kernarg_preload_length 0
		.amdhsa_user_sgpr_kernarg_preload_offset 0
		.amdhsa_user_sgpr_private_segment_size 0
		.amdhsa_wavefront_size32 1
		.amdhsa_uses_dynamic_stack 0
		.amdhsa_enable_private_segment 0
		.amdhsa_system_sgpr_workgroup_id_x 1
		.amdhsa_system_sgpr_workgroup_id_y 1
		.amdhsa_system_sgpr_workgroup_id_z 1
		.amdhsa_system_sgpr_workgroup_info 0
		.amdhsa_system_vgpr_workitem_id 1
		.amdhsa_next_free_vgpr 132
		.amdhsa_next_free_sgpr 44
		.amdhsa_named_barrier_count 0
		.amdhsa_reserve_vcc 1
		.amdhsa_float_round_mode_32 0
		.amdhsa_float_round_mode_16_64 0
		.amdhsa_float_denorm_mode_32 3
		.amdhsa_float_denorm_mode_16_64 3
		.amdhsa_fp16_overflow 0
		.amdhsa_memory_ordered 1
		.amdhsa_forward_progress 1
		.amdhsa_inst_pref_size 23
		.amdhsa_round_robin_scheduling 0
		.amdhsa_exception_fp_ieee_invalid_op 0
		.amdhsa_exception_fp_denorm_src 0
		.amdhsa_exception_fp_ieee_div_zero 0
		.amdhsa_exception_fp_ieee_overflow 0
		.amdhsa_exception_fp_ieee_underflow 0
		.amdhsa_exception_fp_ieee_inexact 0
		.amdhsa_exception_int_div_zero 0
	.end_amdhsa_kernel
	.section	.text._ZL29rocblas_internal_gemmt_kernelIlLi16ELi32ELi8ELc67ELc84ELc85ELb1ELb0E19rocblas_complex_numIdEPKS1_PKS3_PKPS1_EviT_T9_T10_S9_lSB_S9_lSA_T11_S9_li,"axG",@progbits,_ZL29rocblas_internal_gemmt_kernelIlLi16ELi32ELi8ELc67ELc84ELc85ELb1ELb0E19rocblas_complex_numIdEPKS1_PKS3_PKPS1_EviT_T9_T10_S9_lSB_S9_lSA_T11_S9_li,comdat
.Lfunc_end547:
	.size	_ZL29rocblas_internal_gemmt_kernelIlLi16ELi32ELi8ELc67ELc84ELc85ELb1ELb0E19rocblas_complex_numIdEPKS1_PKS3_PKPS1_EviT_T9_T10_S9_lSB_S9_lSA_T11_S9_li, .Lfunc_end547-_ZL29rocblas_internal_gemmt_kernelIlLi16ELi32ELi8ELc67ELc84ELc85ELb1ELb0E19rocblas_complex_numIdEPKS1_PKS3_PKPS1_EviT_T9_T10_S9_lSB_S9_lSA_T11_S9_li
                                        ; -- End function
	.set _ZL29rocblas_internal_gemmt_kernelIlLi16ELi32ELi8ELc67ELc84ELc85ELb1ELb0E19rocblas_complex_numIdEPKS1_PKS3_PKPS1_EviT_T9_T10_S9_lSB_S9_lSA_T11_S9_li.num_vgpr, 132
	.set _ZL29rocblas_internal_gemmt_kernelIlLi16ELi32ELi8ELc67ELc84ELc85ELb1ELb0E19rocblas_complex_numIdEPKS1_PKS3_PKPS1_EviT_T9_T10_S9_lSB_S9_lSA_T11_S9_li.num_agpr, 0
	.set _ZL29rocblas_internal_gemmt_kernelIlLi16ELi32ELi8ELc67ELc84ELc85ELb1ELb0E19rocblas_complex_numIdEPKS1_PKS3_PKPS1_EviT_T9_T10_S9_lSB_S9_lSA_T11_S9_li.numbered_sgpr, 44
	.set _ZL29rocblas_internal_gemmt_kernelIlLi16ELi32ELi8ELc67ELc84ELc85ELb1ELb0E19rocblas_complex_numIdEPKS1_PKS3_PKPS1_EviT_T9_T10_S9_lSB_S9_lSA_T11_S9_li.num_named_barrier, 0
	.set _ZL29rocblas_internal_gemmt_kernelIlLi16ELi32ELi8ELc67ELc84ELc85ELb1ELb0E19rocblas_complex_numIdEPKS1_PKS3_PKPS1_EviT_T9_T10_S9_lSB_S9_lSA_T11_S9_li.private_seg_size, 0
	.set _ZL29rocblas_internal_gemmt_kernelIlLi16ELi32ELi8ELc67ELc84ELc85ELb1ELb0E19rocblas_complex_numIdEPKS1_PKS3_PKPS1_EviT_T9_T10_S9_lSB_S9_lSA_T11_S9_li.uses_vcc, 1
	.set _ZL29rocblas_internal_gemmt_kernelIlLi16ELi32ELi8ELc67ELc84ELc85ELb1ELb0E19rocblas_complex_numIdEPKS1_PKS3_PKPS1_EviT_T9_T10_S9_lSB_S9_lSA_T11_S9_li.uses_flat_scratch, 0
	.set _ZL29rocblas_internal_gemmt_kernelIlLi16ELi32ELi8ELc67ELc84ELc85ELb1ELb0E19rocblas_complex_numIdEPKS1_PKS3_PKPS1_EviT_T9_T10_S9_lSB_S9_lSA_T11_S9_li.has_dyn_sized_stack, 0
	.set _ZL29rocblas_internal_gemmt_kernelIlLi16ELi32ELi8ELc67ELc84ELc85ELb1ELb0E19rocblas_complex_numIdEPKS1_PKS3_PKPS1_EviT_T9_T10_S9_lSB_S9_lSA_T11_S9_li.has_recursion, 0
	.set _ZL29rocblas_internal_gemmt_kernelIlLi16ELi32ELi8ELc67ELc84ELc85ELb1ELb0E19rocblas_complex_numIdEPKS1_PKS3_PKPS1_EviT_T9_T10_S9_lSB_S9_lSA_T11_S9_li.has_indirect_call, 0
	.section	.AMDGPU.csdata,"",@progbits
; Kernel info:
; codeLenInByte = 2944
; TotalNumSgprs: 46
; NumVgprs: 132
; ScratchSize: 0
; MemoryBound: 1
; FloatMode: 240
; IeeeMode: 1
; LDSByteSize: 8192 bytes/workgroup (compile time only)
; SGPRBlocks: 0
; VGPRBlocks: 8
; NumSGPRsForWavesPerEU: 46
; NumVGPRsForWavesPerEU: 132
; NamedBarCnt: 0
; Occupancy: 7
; WaveLimiterHint : 1
; COMPUTE_PGM_RSRC2:SCRATCH_EN: 0
; COMPUTE_PGM_RSRC2:USER_SGPR: 2
; COMPUTE_PGM_RSRC2:TRAP_HANDLER: 0
; COMPUTE_PGM_RSRC2:TGID_X_EN: 1
; COMPUTE_PGM_RSRC2:TGID_Y_EN: 1
; COMPUTE_PGM_RSRC2:TGID_Z_EN: 1
; COMPUTE_PGM_RSRC2:TIDIG_COMP_CNT: 1
	.section	.text._ZL29rocblas_internal_gemmt_kernelIlLi16ELi32ELi8ELc67ELc67ELc85ELb1ELb1E19rocblas_complex_numIdEPKS1_PKS3_PKPS1_EviT_T9_T10_S9_lSB_S9_lSA_T11_S9_li,"axG",@progbits,_ZL29rocblas_internal_gemmt_kernelIlLi16ELi32ELi8ELc67ELc67ELc85ELb1ELb1E19rocblas_complex_numIdEPKS1_PKS3_PKPS1_EviT_T9_T10_S9_lSB_S9_lSA_T11_S9_li,comdat
	.globl	_ZL29rocblas_internal_gemmt_kernelIlLi16ELi32ELi8ELc67ELc67ELc85ELb1ELb1E19rocblas_complex_numIdEPKS1_PKS3_PKPS1_EviT_T9_T10_S9_lSB_S9_lSA_T11_S9_li ; -- Begin function _ZL29rocblas_internal_gemmt_kernelIlLi16ELi32ELi8ELc67ELc67ELc85ELb1ELb1E19rocblas_complex_numIdEPKS1_PKS3_PKPS1_EviT_T9_T10_S9_lSB_S9_lSA_T11_S9_li
	.p2align	8
	.type	_ZL29rocblas_internal_gemmt_kernelIlLi16ELi32ELi8ELc67ELc67ELc85ELb1ELb1E19rocblas_complex_numIdEPKS1_PKS3_PKPS1_EviT_T9_T10_S9_lSB_S9_lSA_T11_S9_li,@function
_ZL29rocblas_internal_gemmt_kernelIlLi16ELi32ELi8ELc67ELc67ELc85ELb1ELb1E19rocblas_complex_numIdEPKS1_PKS3_PKPS1_EviT_T9_T10_S9_lSB_S9_lSA_T11_S9_li: ; @_ZL29rocblas_internal_gemmt_kernelIlLi16ELi32ELi8ELc67ELc67ELc85ELb1ELb1E19rocblas_complex_numIdEPKS1_PKS3_PKPS1_EviT_T9_T10_S9_lSB_S9_lSA_T11_S9_li
; %bb.0:
	s_clause 0x1
	s_load_b256 s[24:31], s[0:1], 0x48
	s_load_b512 s[8:23], s[0:1], 0x8
	s_wait_kmcnt 0x0
	s_load_b128 s[36:39], s[24:25], 0x0
	s_load_b128 s[40:43], s[10:11], 0x0
	s_wait_kmcnt 0x0
	v_cmp_eq_f64_e64 s2, s[36:37], 1.0
	v_cmp_eq_f64_e64 s3, s[38:39], 0
	s_and_b32 s2, s2, s3
	s_delay_alu instid0(SALU_CYCLE_1)
	s_and_not1_b32 vcc_lo, exec_lo, s2
	s_mov_b32 s2, -1
	s_cbranch_vccnz .LBB548_3
; %bb.1:
	s_cmp_lg_u64 s[8:9], 0
	s_cbranch_scc0 .LBB548_36
; %bb.2:
	v_cmp_neq_f64_e64 s2, s[40:41], 0
	v_cmp_neq_f64_e64 s4, s[42:43], 0
	s_or_b32 s2, s2, s4
.LBB548_3:
	s_delay_alu instid0(SALU_CYCLE_1)
	s_and_b32 vcc_lo, exec_lo, s2
	s_cbranch_vccz .LBB548_37
; %bb.4:
	s_load_b32 s24, s[0:1], 0x68
	s_bfe_u32 s2, ttmp6, 0x40014
	s_lshr_b32 s4, ttmp7, 16
	s_add_co_i32 s2, s2, 1
	s_bfe_u32 s6, ttmp6, 0x40008
	s_mul_i32 s5, s4, s2
	s_getreg_b32 s2, hwreg(HW_REG_IB_STS2, 6, 4)
	s_add_co_i32 s6, s6, s5
	s_cmp_eq_u32 s2, 0
	s_mov_b32 s7, 0
	s_cselect_b32 s6, s4, s6
	s_wait_kmcnt 0x0
	s_cmp_ge_u32 s6, s24
	s_cbranch_scc1 .LBB548_37
; %bb.5:
	s_load_b32 s10, s[0:1], 0x0
	s_wait_xcnt 0x0
	s_bfe_u32 s1, ttmp6, 0x4000c
	s_bfe_u32 s25, ttmp6, 0x40010
	s_and_b32 s11, ttmp7, 0xffff
	s_add_co_i32 s1, s1, 1
	s_add_co_i32 s25, s25, 1
	v_and_b32_e32 v6, 0x3ff, v0
	v_bfe_u32 v7, v0, 10, 10
	s_and_b32 s0, ttmp6, 15
	s_bfe_u32 s33, ttmp6, 0x40004
	s_mul_i32 s1, ttmp9, s1
	s_mul_i32 s25, s11, s25
	s_add_co_i32 s0, s0, s1
	s_add_co_i32 s33, s33, s25
	s_cmp_eq_u32 s2, 0
	v_lshl_add_u32 v1, v7, 4, v6
	s_cselect_b32 s1, s11, s33
	s_cselect_b32 s0, ttmp9, s0
	s_lshl_b32 s1, s1, 5
	s_delay_alu instid0(VALU_DEP_1) | instskip(SKIP_4) | instid1(VALU_DEP_3)
	v_dual_lshrrev_b32 v11, 3, v1 :: v_dual_bitop2_b32 v8, 7, v0 bitop3:0x40
	v_dual_add_nc_u32 v0, s1, v7 :: v_dual_bitop2_b32 v9, 31, v1 bitop3:0x40
	s_lshl_b32 s2, s0, 5
	v_cmp_neq_f64_e64 s4, s[40:41], 0
	v_cmp_neq_f64_e64 s5, s[42:43], 0
	v_dual_add_nc_u32 v4, 16, v0 :: v_dual_bitop2_b32 v2, s2, v9 bitop3:0x54
	v_cmp_neq_f64_e64 s25, s[36:37], 0
	v_dual_lshrrev_b32 v10, 5, v1 :: v_dual_add_nc_u32 v12, s1, v11
	s_delay_alu instid0(VALU_DEP_3) | instskip(NEXT) | instid1(VALU_DEP_4)
	v_dual_ashrrev_i32 v3, 31, v2 :: v_dual_ashrrev_i32 v1, 31, v0
	v_dual_ashrrev_i32 v5, 31, v4 :: v_dual_lshlrev_b32 v9, 4, v9
	v_dual_lshlrev_b32 v13, 4, v8 :: v_dual_add_nc_u32 v20, s2, v6
	s_delay_alu instid0(VALU_DEP_3) | instskip(NEXT) | instid1(VALU_DEP_4)
	v_mul_u64_e32 v[14:15], s[14:15], v[2:3]
	v_mul_u64_e32 v[16:17], s[28:29], v[0:1]
	s_delay_alu instid0(VALU_DEP_4)
	v_mul_u64_e32 v[18:19], s[28:29], v[4:5]
	s_wait_kmcnt 0x0
	v_cmp_gt_i32_e32 vcc_lo, s10, v0
	v_cmp_le_i32_e64 s2, v20, v0
	v_dual_add_nc_u32 v22, 16, v20 :: v_dual_ashrrev_i32 v21, 31, v20
	v_lshl_or_b32 v1, v11, 7, v13
	v_cmp_gt_i64_e64 s11, s[8:9], 0
	s_xor_b32 s3, s3, -1
	s_and_b32 s28, vcc_lo, s2
	v_cmp_le_i32_e64 s2, v22, v0
	v_cmp_gt_i32_e64 s0, s10, v2
	v_lshl_or_b32 v9, v10, 9, v9
	v_cmp_gt_i32_e64 s1, s10, v12
	v_add_nc_u32_e32 v11, 0x1000, v1
	v_dual_ashrrev_i32 v13, 31, v12 :: v_dual_lshlrev_b32 v48, 4, v6
	v_lshl_add_u32 v49, v7, 7, 0x1000
	v_dual_ashrrev_i32 v23, 31, v22 :: v_dual_mov_b32 v25, 0
	s_or_b32 s35, s4, s5
	v_cmp_le_i32_e64 s4, v20, v4
	s_or_b32 s25, s25, s3
	v_cmp_gt_i32_e64 s3, s10, v4
	v_cmp_le_i32_e64 s5, v22, v4
	s_and_b32 s29, vcc_lo, s2
	s_and_b32 s35, s35, s11
	s_lshl_b64 s[10:11], s[30:31], 4
	s_and_b32 s33, s3, s4
	s_and_b32 s34, s3, s5
	s_lshl_b64 s[2:3], s[22:23], 4
	s_lshl_b64 s[4:5], s[16:17], 4
	s_branch .LBB548_7
.LBB548_6:                              ;   in Loop: Header=BB548_7 Depth=1
	s_wait_xcnt 0x0
	s_or_b32 exec_lo, exec_lo, s14
	s_add_co_i32 s6, s6, 0x10000
	s_delay_alu instid0(SALU_CYCLE_1)
	s_cmp_lt_u32 s6, s24
	s_cbranch_scc0 .LBB548_37
.LBB548_7:                              ; =>This Loop Header: Depth=1
                                        ;     Child Loop BB548_10 Depth 2
	v_mov_b32_e32 v0, s6
	v_mov_b64_e32 v[44:45], 0
	v_mov_b64_e32 v[46:47], 0
	;; [unrolled: 1-line block ×4, first 2 shown]
	global_load_b64 v[26:27], v0, s[26:27] scale_offset
	v_mov_b64_e32 v[36:37], 0
	v_mov_b64_e32 v[38:39], 0
	;; [unrolled: 1-line block ×4, first 2 shown]
	s_and_not1_b32 vcc_lo, exec_lo, s35
	s_cbranch_vccnz .LBB548_16
; %bb.8:                                ;   in Loop: Header=BB548_7 Depth=1
	s_lshl_b64 s[14:15], s[6:7], 3
	v_mov_b64_e32 v[30:31], 0
	s_add_nc_u64 s[16:17], s[12:13], s[14:15]
	s_add_nc_u64 s[14:15], s[18:19], s[14:15]
	s_clause 0x1
	global_load_b64 v[0:1], v25, s[16:17]
	global_load_b64 v[2:3], v25, s[14:15]
	v_mov_b64_e32 v[28:29], 0
	v_mov_b64_e32 v[38:39], 0
	;; [unrolled: 1-line block ×7, first 2 shown]
	s_wait_xcnt 0x0
	s_mov_b64 s[14:15], 0
	s_wait_loadcnt 0x1
	v_add_nc_u64_e32 v[0:1], s[4:5], v[0:1]
	s_wait_loadcnt 0x0
	v_add_nc_u64_e32 v[2:3], s[2:3], v[2:3]
	s_delay_alu instid0(VALU_DEP_2) | instskip(NEXT) | instid1(VALU_DEP_2)
	v_lshl_add_u64 v[32:33], v[14:15], 4, v[0:1]
	v_lshl_add_u64 v[34:35], v[12:13], 4, v[2:3]
	s_branch .LBB548_10
.LBB548_9:                              ;   in Loop: Header=BB548_10 Depth=2
	s_wait_xcnt 0x0
	s_or_b32 exec_lo, exec_lo, s16
	ds_store_b128 v11, v[4:7]
	s_wait_dscnt 0x0
	s_barrier_signal -1
	s_barrier_wait -1
	ds_load_b128 v[0:3], v49
	ds_load_b128 v[4:7], v48
	ds_load_b128 v[50:53], v48 offset:256
	ds_load_b128 v[54:57], v49 offset:2048
	;; [unrolled: 1-line block ×10, first 2 shown]
	s_add_nc_u64 s[14:15], s[14:15], 8
	s_delay_alu instid0(SALU_CYCLE_1)
	v_cmp_gt_i64_e64 s16, s[8:9], s[14:15]
	s_and_b32 vcc_lo, exec_lo, s16
	s_wait_dscnt 0xa
	v_mul_f64_e32 v[90:91], v[2:3], v[6:7]
	v_mul_f64_e32 v[92:93], v[0:1], v[6:7]
	s_wait_dscnt 0x9
	v_mul_f64_e32 v[94:95], v[2:3], v[52:53]
	v_mul_f64_e32 v[96:97], v[0:1], v[52:53]
	s_wait_dscnt 0x8
	v_mul_f64_e32 v[98:99], v[56:57], v[6:7]
	v_mul_f64_e32 v[100:101], v[54:55], v[6:7]
	v_mul_f64_e32 v[6:7], v[56:57], v[52:53]
	v_mul_f64_e32 v[102:103], v[54:55], v[52:53]
	s_wait_dscnt 0x6
	v_mul_f64_e32 v[104:105], v[60:61], v[64:65]
	v_mul_f64_e32 v[106:107], v[58:59], v[64:65]
	s_wait_dscnt 0x5
	v_mul_f64_e32 v[108:109], v[60:61], v[68:69]
	v_mul_f64_e32 v[110:111], v[58:59], v[68:69]
	s_wait_dscnt 0x4
	v_mul_f64_e32 v[112:113], v[72:73], v[64:65]
	v_mul_f64_e32 v[64:65], v[70:71], v[64:65]
	v_mul_f64_e32 v[114:115], v[72:73], v[68:69]
	v_mul_f64_e32 v[68:69], v[70:71], v[68:69]
	;; [unrolled: 11-line block ×3, first 2 shown]
	v_fma_f64 v[90:91], v[0:1], v[4:5], -v[90:91]
	v_fmac_f64_e32 v[92:93], v[2:3], v[4:5]
	v_fma_f64 v[94:95], v[0:1], v[50:51], -v[94:95]
	v_fmac_f64_e32 v[96:97], v[2:3], v[50:51]
	;; [unrolled: 2-line block ×8, first 2 shown]
	ds_load_b128 v[0:3], v49 offset:48
	ds_load_b128 v[4:7], v49 offset:2096
	;; [unrolled: 1-line block ×4, first 2 shown]
	v_fma_f64 v[118:119], v[74:75], v[78:79], -v[118:119]
	v_fmac_f64_e32 v[120:121], v[76:77], v[78:79]
	v_fma_f64 v[74:75], v[74:75], v[82:83], -v[122:123]
	v_fmac_f64_e32 v[124:125], v[76:77], v[82:83]
	;; [unrolled: 2-line block ×4, first 2 shown]
	v_add_f64_e32 v[66:67], v[44:45], v[90:91]
	v_add_f64_e32 v[70:71], v[92:93], v[46:47]
	v_add_f64_e32 v[72:73], v[40:41], v[94:95]
	v_add_f64_e32 v[90:91], v[96:97], v[42:43]
	v_add_f64_e32 v[92:93], v[36:37], v[98:99]
	v_add_f64_e32 v[94:95], v[100:101], v[38:39]
	v_add_f64_e32 v[96:97], v[28:29], v[116:117]
	v_add_f64_e32 v[98:99], v[102:103], v[30:31]
	s_wait_dscnt 0x1
	v_mul_f64_e32 v[100:101], v[2:3], v[52:53]
	v_mul_f64_e32 v[102:103], v[0:1], v[52:53]
	s_wait_dscnt 0x0
	v_mul_f64_e32 v[108:109], v[2:3], v[56:57]
	v_mul_f64_e32 v[112:113], v[0:1], v[56:57]
	;; [unrolled: 1-line block ×6, first 2 shown]
	ds_load_b128 v[28:31], v49 offset:64
	ds_load_b128 v[36:39], v48 offset:2048
	;; [unrolled: 1-line block ×4, first 2 shown]
	v_add_f64_e32 v[82:83], v[66:67], v[104:105]
	v_add_f64_e32 v[86:87], v[106:107], v[70:71]
	;; [unrolled: 1-line block ×8, first 2 shown]
	s_wait_dscnt 0x2
	v_mul_f64_e32 v[98:99], v[30:31], v[38:39]
	v_mul_f64_e32 v[104:105], v[28:29], v[38:39]
	s_wait_dscnt 0x1
	v_mul_f64_e32 v[106:107], v[30:31], v[42:43]
	v_mul_f64_e32 v[110:111], v[28:29], v[42:43]
	;; [unrolled: 3-line block ×3, first 2 shown]
	v_mul_f64_e32 v[38:39], v[46:47], v[42:43]
	v_mul_f64_e32 v[128:129], v[44:45], v[42:43]
	v_fma_f64 v[42:43], v[0:1], v[50:51], -v[100:101]
	v_fmac_f64_e32 v[102:103], v[2:3], v[50:51]
	v_fma_f64 v[100:101], v[0:1], v[54:55], -v[108:109]
	v_fmac_f64_e32 v[112:113], v[2:3], v[54:55]
	;; [unrolled: 2-line block ×4, first 2 shown]
	ds_load_b128 v[56:59], v49 offset:80
	ds_load_b128 v[60:63], v49 offset:2128
	;; [unrolled: 1-line block ×4, first 2 shown]
	v_add_f64_e32 v[54:55], v[82:83], v[118:119]
	v_add_f64_e32 v[82:83], v[120:121], v[86:87]
	;; [unrolled: 1-line block ×8, first 2 shown]
	v_fma_f64 v[98:99], v[28:29], v[36:37], -v[98:99]
	v_fmac_f64_e32 v[104:105], v[30:31], v[36:37]
	v_fma_f64 v[106:107], v[28:29], v[40:41], -v[106:107]
	s_wait_dscnt 0x1
	v_mul_f64_e32 v[90:91], v[58:59], v[66:67]
	v_mul_f64_e32 v[92:93], v[56:57], v[66:67]
	s_wait_dscnt 0x0
	v_mul_f64_e32 v[94:95], v[58:59], v[70:71]
	v_mul_f64_e32 v[96:97], v[56:57], v[70:71]
	;; [unrolled: 1-line block ×6, first 2 shown]
	v_fmac_f64_e32 v[110:111], v[30:31], v[40:41]
	v_fma_f64 v[122:123], v[44:45], v[36:37], -v[122:123]
	v_fmac_f64_e32 v[126:127], v[46:47], v[36:37]
	v_fma_f64 v[124:125], v[44:45], v[40:41], -v[38:39]
	v_fmac_f64_e32 v[128:129], v[46:47], v[40:41]
	ds_load_b128 v[0:3], v49 offset:96
	ds_load_b128 v[4:7], v48 offset:3072
	;; [unrolled: 1-line block ×4, first 2 shown]
	v_add_f64_e32 v[54:55], v[54:55], v[42:43]
	v_add_f64_e32 v[82:83], v[102:103], v[82:83]
	;; [unrolled: 1-line block ×8, first 2 shown]
	ds_load_b128 v[28:31], v49 offset:112
	ds_load_b128 v[36:39], v49 offset:2160
	;; [unrolled: 1-line block ×4, first 2 shown]
	s_wait_dscnt 0x0
	v_mul_f64_e32 v[100:101], v[2:3], v[6:7]
	v_mul_f64_e32 v[102:103], v[0:1], v[6:7]
	;; [unrolled: 1-line block ×8, first 2 shown]
	v_fma_f64 v[90:91], v[56:57], v[64:65], -v[90:91]
	v_fmac_f64_e32 v[92:93], v[58:59], v[64:65]
	v_fma_f64 v[56:57], v[56:57], v[68:69], -v[94:95]
	v_fmac_f64_e32 v[96:97], v[58:59], v[68:69]
	;; [unrolled: 2-line block ×4, first 2 shown]
	s_barrier_signal -1
	s_barrier_wait -1
	v_mul_f64_e32 v[94:95], v[28:29], v[46:47]
	v_add_f64_e32 v[54:55], v[54:55], v[98:99]
	v_add_f64_e32 v[62:63], v[104:105], v[82:83]
	;; [unrolled: 1-line block ×8, first 2 shown]
	v_mul_f64_e32 v[84:85], v[30:31], v[42:43]
	v_mul_f64_e32 v[86:87], v[28:29], v[42:43]
	;; [unrolled: 1-line block ×7, first 2 shown]
	v_fma_f64 v[46:47], v[0:1], v[4:5], -v[100:101]
	v_fmac_f64_e32 v[102:103], v[2:3], v[4:5]
	v_fma_f64 v[0:1], v[0:1], v[50:51], -v[108:109]
	v_fmac_f64_e32 v[112:113], v[2:3], v[50:51]
	;; [unrolled: 2-line block ×4, first 2 shown]
	v_fmac_f64_e32 v[94:95], v[30:31], v[44:45]
	v_add_f64_e32 v[50:51], v[54:55], v[90:91]
	v_add_f64_e32 v[54:55], v[92:93], v[62:63]
	;; [unrolled: 1-line block ×8, first 2 shown]
	v_fma_f64 v[68:69], v[28:29], v[40:41], -v[84:85]
	v_fmac_f64_e32 v[86:87], v[30:31], v[40:41]
	v_fma_f64 v[28:29], v[28:29], v[44:45], -v[88:89]
	v_fma_f64 v[30:31], v[36:37], v[40:41], -v[98:99]
	v_fmac_f64_e32 v[104:105], v[38:39], v[40:41]
	v_fma_f64 v[70:71], v[36:37], v[44:45], -v[42:43]
	v_fmac_f64_e32 v[106:107], v[38:39], v[44:45]
	v_add_f64_e32 v[36:37], v[50:51], v[46:47]
	v_add_f64_e32 v[38:39], v[102:103], v[54:55]
	;; [unrolled: 1-line block ×16, first 2 shown]
	s_cbranch_vccz .LBB548_16
.LBB548_10:                             ;   Parent Loop BB548_7 Depth=1
                                        ; =>  This Inner Loop Header: Depth=2
	v_mov_b64_e32 v[0:1], 0
	v_mov_b64_e32 v[2:3], 0
	s_and_saveexec_b32 s16, s0
	s_cbranch_execz .LBB548_14
; %bb.11:                               ;   in Loop: Header=BB548_10 Depth=2
	v_mov_b64_e32 v[2:3], 0
	v_mov_b64_e32 v[0:1], 0
	v_add_nc_u32_e32 v24, s14, v10
	s_mov_b32 s17, exec_lo
	s_delay_alu instid0(VALU_DEP_1)
	v_cmpx_gt_u64_e64 s[8:9], v[24:25]
	s_cbranch_execz .LBB548_13
; %bb.12:                               ;   in Loop: Header=BB548_10 Depth=2
	v_lshl_add_u64 v[0:1], v[24:25], 4, v[32:33]
	flat_load_b128 v[0:3], v[0:1]
	s_wait_loadcnt_dscnt 0x0
	v_xor_b32_e32 v3, 0x80000000, v3
.LBB548_13:                             ;   in Loop: Header=BB548_10 Depth=2
	s_wait_xcnt 0x0
	s_or_b32 exec_lo, exec_lo, s17
.LBB548_14:                             ;   in Loop: Header=BB548_10 Depth=2
	s_delay_alu instid0(SALU_CYCLE_1)
	s_or_b32 exec_lo, exec_lo, s16
	v_add_nc_u32_e32 v24, s14, v8
	v_mov_b64_e32 v[4:5], 0
	v_mov_b64_e32 v[6:7], 0
	ds_store_b128 v9, v[0:3]
	v_cmp_gt_u64_e32 vcc_lo, s[8:9], v[24:25]
	s_and_b32 s17, vcc_lo, s1
	s_delay_alu instid0(SALU_CYCLE_1)
	s_and_saveexec_b32 s16, s17
	s_cbranch_execz .LBB548_9
; %bb.15:                               ;   in Loop: Header=BB548_10 Depth=2
	v_mul_u64_e32 v[0:1], s[20:21], v[24:25]
	s_delay_alu instid0(VALU_DEP_1)
	v_lshl_add_u64 v[0:1], v[0:1], 4, v[34:35]
	flat_load_b128 v[4:7], v[0:1]
	s_wait_loadcnt_dscnt 0x0
	v_xor_b32_e32 v7, 0x80000000, v7
	s_branch .LBB548_9
.LBB548_16:                             ;   in Loop: Header=BB548_7 Depth=1
	s_wait_loadcnt 0x0
	v_add_nc_u64_e32 v[4:5], s[10:11], v[26:27]
	s_delay_alu instid0(VALU_DEP_1)
	v_lshl_add_u64 v[6:7], v[16:17], 4, v[4:5]
	s_wait_xcnt 0x0
	s_and_saveexec_b32 s14, s28
	s_cbranch_execz .LBB548_21
; %bb.17:                               ;   in Loop: Header=BB548_7 Depth=1
	v_mul_f64_e32 v[0:1], s[42:43], v[46:47]
	v_mul_f64_e32 v[2:3], s[40:41], v[46:47]
	v_lshl_add_u64 v[26:27], v[20:21], 4, v[6:7]
	s_and_b32 vcc_lo, exec_lo, s25
	s_mov_b32 s15, -1
	s_delay_alu instid0(VALU_DEP_3) | instskip(NEXT) | instid1(VALU_DEP_3)
	v_fma_f64 v[0:1], s[40:41], v[44:45], -v[0:1]
	v_fmac_f64_e32 v[2:3], s[42:43], v[44:45]
	s_cbranch_vccz .LBB548_19
; %bb.18:                               ;   in Loop: Header=BB548_7 Depth=1
	flat_load_b128 v[32:35], v[26:27]
	s_mov_b32 s15, 0
	s_wait_loadcnt_dscnt 0x0
	v_mul_f64_e32 v[44:45], s[38:39], v[34:35]
	v_mul_f64_e32 v[34:35], s[36:37], v[34:35]
	s_delay_alu instid0(VALU_DEP_2) | instskip(NEXT) | instid1(VALU_DEP_2)
	v_fma_f64 v[44:45], s[36:37], v[32:33], -v[44:45]
	v_fmac_f64_e32 v[34:35], s[38:39], v[32:33]
	s_delay_alu instid0(VALU_DEP_2) | instskip(NEXT) | instid1(VALU_DEP_2)
	v_add_f64_e32 v[32:33], v[0:1], v[44:45]
	v_add_f64_e32 v[34:35], v[2:3], v[34:35]
	flat_store_b128 v[26:27], v[32:35]
.LBB548_19:                             ;   in Loop: Header=BB548_7 Depth=1
	s_and_not1_b32 vcc_lo, exec_lo, s15
	s_cbranch_vccnz .LBB548_21
; %bb.20:                               ;   in Loop: Header=BB548_7 Depth=1
	flat_store_b128 v[26:27], v[0:3]
.LBB548_21:                             ;   in Loop: Header=BB548_7 Depth=1
	s_wait_xcnt 0x0
	s_or_b32 exec_lo, exec_lo, s14
	s_and_saveexec_b32 s14, s29
	s_cbranch_execz .LBB548_26
; %bb.22:                               ;   in Loop: Header=BB548_7 Depth=1
	v_mul_f64_e32 v[0:1], s[42:43], v[42:43]
	v_mul_f64_e32 v[2:3], s[40:41], v[42:43]
	v_lshl_add_u64 v[6:7], v[22:23], 4, v[6:7]
	s_and_not1_b32 vcc_lo, exec_lo, s25
	s_mov_b32 s15, -1
	s_delay_alu instid0(VALU_DEP_3) | instskip(NEXT) | instid1(VALU_DEP_3)
	v_fma_f64 v[0:1], s[40:41], v[40:41], -v[0:1]
	v_fmac_f64_e32 v[2:3], s[42:43], v[40:41]
	s_cbranch_vccnz .LBB548_24
; %bb.23:                               ;   in Loop: Header=BB548_7 Depth=1
	flat_load_b128 v[32:35], v[6:7]
	s_mov_b32 s15, 0
	s_wait_loadcnt_dscnt 0x0
	v_mul_f64_e32 v[26:27], s[38:39], v[34:35]
	v_mul_f64_e32 v[34:35], s[36:37], v[34:35]
	s_delay_alu instid0(VALU_DEP_2) | instskip(NEXT) | instid1(VALU_DEP_2)
	v_fma_f64 v[26:27], s[36:37], v[32:33], -v[26:27]
	v_fmac_f64_e32 v[34:35], s[38:39], v[32:33]
	s_delay_alu instid0(VALU_DEP_2) | instskip(NEXT) | instid1(VALU_DEP_2)
	v_add_f64_e32 v[32:33], v[0:1], v[26:27]
	v_add_f64_e32 v[34:35], v[2:3], v[34:35]
	flat_store_b128 v[6:7], v[32:35]
.LBB548_24:                             ;   in Loop: Header=BB548_7 Depth=1
	s_and_not1_b32 vcc_lo, exec_lo, s15
	s_cbranch_vccnz .LBB548_26
; %bb.25:                               ;   in Loop: Header=BB548_7 Depth=1
	flat_store_b128 v[6:7], v[0:3]
.LBB548_26:                             ;   in Loop: Header=BB548_7 Depth=1
	s_wait_xcnt 0x0
	s_or_b32 exec_lo, exec_lo, s14
	v_lshl_add_u64 v[4:5], v[18:19], 4, v[4:5]
	s_and_saveexec_b32 s14, s33
	s_cbranch_execz .LBB548_31
; %bb.27:                               ;   in Loop: Header=BB548_7 Depth=1
	v_mul_f64_e32 v[0:1], s[42:43], v[38:39]
	v_mul_f64_e32 v[2:3], s[40:41], v[38:39]
	v_lshl_add_u64 v[6:7], v[20:21], 4, v[4:5]
	s_and_not1_b32 vcc_lo, exec_lo, s25
	s_mov_b32 s15, -1
	s_delay_alu instid0(VALU_DEP_3) | instskip(NEXT) | instid1(VALU_DEP_3)
	v_fma_f64 v[0:1], s[40:41], v[36:37], -v[0:1]
	v_fmac_f64_e32 v[2:3], s[42:43], v[36:37]
	s_cbranch_vccnz .LBB548_29
; %bb.28:                               ;   in Loop: Header=BB548_7 Depth=1
	flat_load_b128 v[32:35], v[6:7]
	s_mov_b32 s15, 0
	s_wait_loadcnt_dscnt 0x0
	v_mul_f64_e32 v[26:27], s[38:39], v[34:35]
	v_mul_f64_e32 v[34:35], s[36:37], v[34:35]
	s_delay_alu instid0(VALU_DEP_2) | instskip(NEXT) | instid1(VALU_DEP_2)
	v_fma_f64 v[26:27], s[36:37], v[32:33], -v[26:27]
	v_fmac_f64_e32 v[34:35], s[38:39], v[32:33]
	s_delay_alu instid0(VALU_DEP_2) | instskip(NEXT) | instid1(VALU_DEP_2)
	v_add_f64_e32 v[32:33], v[0:1], v[26:27]
	v_add_f64_e32 v[34:35], v[2:3], v[34:35]
	flat_store_b128 v[6:7], v[32:35]
.LBB548_29:                             ;   in Loop: Header=BB548_7 Depth=1
	s_and_not1_b32 vcc_lo, exec_lo, s15
	s_cbranch_vccnz .LBB548_31
; %bb.30:                               ;   in Loop: Header=BB548_7 Depth=1
	flat_store_b128 v[6:7], v[0:3]
.LBB548_31:                             ;   in Loop: Header=BB548_7 Depth=1
	s_wait_xcnt 0x0
	s_or_b32 exec_lo, exec_lo, s14
	s_and_saveexec_b32 s14, s34
	s_cbranch_execz .LBB548_6
; %bb.32:                               ;   in Loop: Header=BB548_7 Depth=1
	s_delay_alu instid0(VALU_DEP_4) | instskip(SKIP_4) | instid1(VALU_DEP_3)
	v_mul_f64_e32 v[0:1], s[42:43], v[30:31]
	v_mul_f64_e32 v[2:3], s[40:41], v[30:31]
	v_lshl_add_u64 v[4:5], v[22:23], 4, v[4:5]
	s_and_not1_b32 vcc_lo, exec_lo, s25
	s_mov_b32 s15, -1
	v_fma_f64 v[0:1], s[40:41], v[28:29], -v[0:1]
	s_delay_alu instid0(VALU_DEP_3)
	v_fmac_f64_e32 v[2:3], s[42:43], v[28:29]
	s_cbranch_vccnz .LBB548_34
; %bb.33:                               ;   in Loop: Header=BB548_7 Depth=1
	flat_load_b128 v[26:29], v[4:5]
	s_mov_b32 s15, 0
	s_wait_loadcnt_dscnt 0x0
	v_mul_f64_e32 v[6:7], s[38:39], v[28:29]
	v_mul_f64_e32 v[28:29], s[36:37], v[28:29]
	s_delay_alu instid0(VALU_DEP_2) | instskip(NEXT) | instid1(VALU_DEP_2)
	v_fma_f64 v[6:7], s[36:37], v[26:27], -v[6:7]
	v_fmac_f64_e32 v[28:29], s[38:39], v[26:27]
	s_delay_alu instid0(VALU_DEP_2) | instskip(NEXT) | instid1(VALU_DEP_2)
	v_add_f64_e32 v[26:27], v[0:1], v[6:7]
	v_add_f64_e32 v[28:29], v[2:3], v[28:29]
	flat_store_b128 v[4:5], v[26:29]
.LBB548_34:                             ;   in Loop: Header=BB548_7 Depth=1
	s_and_not1_b32 vcc_lo, exec_lo, s15
	s_cbranch_vccnz .LBB548_6
; %bb.35:                               ;   in Loop: Header=BB548_7 Depth=1
	flat_store_b128 v[4:5], v[0:3]
	s_branch .LBB548_6
.LBB548_36:
.LBB548_37:
	s_sendmsg sendmsg(MSG_DEALLOC_VGPRS)
	s_endpgm
	.section	.rodata,"a",@progbits
	.p2align	6, 0x0
	.amdhsa_kernel _ZL29rocblas_internal_gemmt_kernelIlLi16ELi32ELi8ELc67ELc67ELc85ELb1ELb1E19rocblas_complex_numIdEPKS1_PKS3_PKPS1_EviT_T9_T10_S9_lSB_S9_lSA_T11_S9_li
		.amdhsa_group_segment_fixed_size 8192
		.amdhsa_private_segment_fixed_size 0
		.amdhsa_kernarg_size 108
		.amdhsa_user_sgpr_count 2
		.amdhsa_user_sgpr_dispatch_ptr 0
		.amdhsa_user_sgpr_queue_ptr 0
		.amdhsa_user_sgpr_kernarg_segment_ptr 1
		.amdhsa_user_sgpr_dispatch_id 0
		.amdhsa_user_sgpr_kernarg_preload_length 0
		.amdhsa_user_sgpr_kernarg_preload_offset 0
		.amdhsa_user_sgpr_private_segment_size 0
		.amdhsa_wavefront_size32 1
		.amdhsa_uses_dynamic_stack 0
		.amdhsa_enable_private_segment 0
		.amdhsa_system_sgpr_workgroup_id_x 1
		.amdhsa_system_sgpr_workgroup_id_y 1
		.amdhsa_system_sgpr_workgroup_id_z 1
		.amdhsa_system_sgpr_workgroup_info 0
		.amdhsa_system_vgpr_workitem_id 1
		.amdhsa_next_free_vgpr 132
		.amdhsa_next_free_sgpr 44
		.amdhsa_named_barrier_count 0
		.amdhsa_reserve_vcc 1
		.amdhsa_float_round_mode_32 0
		.amdhsa_float_round_mode_16_64 0
		.amdhsa_float_denorm_mode_32 3
		.amdhsa_float_denorm_mode_16_64 3
		.amdhsa_fp16_overflow 0
		.amdhsa_memory_ordered 1
		.amdhsa_forward_progress 1
		.amdhsa_inst_pref_size 23
		.amdhsa_round_robin_scheduling 0
		.amdhsa_exception_fp_ieee_invalid_op 0
		.amdhsa_exception_fp_denorm_src 0
		.amdhsa_exception_fp_ieee_div_zero 0
		.amdhsa_exception_fp_ieee_overflow 0
		.amdhsa_exception_fp_ieee_underflow 0
		.amdhsa_exception_fp_ieee_inexact 0
		.amdhsa_exception_int_div_zero 0
	.end_amdhsa_kernel
	.section	.text._ZL29rocblas_internal_gemmt_kernelIlLi16ELi32ELi8ELc67ELc67ELc85ELb1ELb1E19rocblas_complex_numIdEPKS1_PKS3_PKPS1_EviT_T9_T10_S9_lSB_S9_lSA_T11_S9_li,"axG",@progbits,_ZL29rocblas_internal_gemmt_kernelIlLi16ELi32ELi8ELc67ELc67ELc85ELb1ELb1E19rocblas_complex_numIdEPKS1_PKS3_PKPS1_EviT_T9_T10_S9_lSB_S9_lSA_T11_S9_li,comdat
.Lfunc_end548:
	.size	_ZL29rocblas_internal_gemmt_kernelIlLi16ELi32ELi8ELc67ELc67ELc85ELb1ELb1E19rocblas_complex_numIdEPKS1_PKS3_PKPS1_EviT_T9_T10_S9_lSB_S9_lSA_T11_S9_li, .Lfunc_end548-_ZL29rocblas_internal_gemmt_kernelIlLi16ELi32ELi8ELc67ELc67ELc85ELb1ELb1E19rocblas_complex_numIdEPKS1_PKS3_PKPS1_EviT_T9_T10_S9_lSB_S9_lSA_T11_S9_li
                                        ; -- End function
	.set _ZL29rocblas_internal_gemmt_kernelIlLi16ELi32ELi8ELc67ELc67ELc85ELb1ELb1E19rocblas_complex_numIdEPKS1_PKS3_PKPS1_EviT_T9_T10_S9_lSB_S9_lSA_T11_S9_li.num_vgpr, 132
	.set _ZL29rocblas_internal_gemmt_kernelIlLi16ELi32ELi8ELc67ELc67ELc85ELb1ELb1E19rocblas_complex_numIdEPKS1_PKS3_PKPS1_EviT_T9_T10_S9_lSB_S9_lSA_T11_S9_li.num_agpr, 0
	.set _ZL29rocblas_internal_gemmt_kernelIlLi16ELi32ELi8ELc67ELc67ELc85ELb1ELb1E19rocblas_complex_numIdEPKS1_PKS3_PKPS1_EviT_T9_T10_S9_lSB_S9_lSA_T11_S9_li.numbered_sgpr, 44
	.set _ZL29rocblas_internal_gemmt_kernelIlLi16ELi32ELi8ELc67ELc67ELc85ELb1ELb1E19rocblas_complex_numIdEPKS1_PKS3_PKPS1_EviT_T9_T10_S9_lSB_S9_lSA_T11_S9_li.num_named_barrier, 0
	.set _ZL29rocblas_internal_gemmt_kernelIlLi16ELi32ELi8ELc67ELc67ELc85ELb1ELb1E19rocblas_complex_numIdEPKS1_PKS3_PKPS1_EviT_T9_T10_S9_lSB_S9_lSA_T11_S9_li.private_seg_size, 0
	.set _ZL29rocblas_internal_gemmt_kernelIlLi16ELi32ELi8ELc67ELc67ELc85ELb1ELb1E19rocblas_complex_numIdEPKS1_PKS3_PKPS1_EviT_T9_T10_S9_lSB_S9_lSA_T11_S9_li.uses_vcc, 1
	.set _ZL29rocblas_internal_gemmt_kernelIlLi16ELi32ELi8ELc67ELc67ELc85ELb1ELb1E19rocblas_complex_numIdEPKS1_PKS3_PKPS1_EviT_T9_T10_S9_lSB_S9_lSA_T11_S9_li.uses_flat_scratch, 0
	.set _ZL29rocblas_internal_gemmt_kernelIlLi16ELi32ELi8ELc67ELc67ELc85ELb1ELb1E19rocblas_complex_numIdEPKS1_PKS3_PKPS1_EviT_T9_T10_S9_lSB_S9_lSA_T11_S9_li.has_dyn_sized_stack, 0
	.set _ZL29rocblas_internal_gemmt_kernelIlLi16ELi32ELi8ELc67ELc67ELc85ELb1ELb1E19rocblas_complex_numIdEPKS1_PKS3_PKPS1_EviT_T9_T10_S9_lSB_S9_lSA_T11_S9_li.has_recursion, 0
	.set _ZL29rocblas_internal_gemmt_kernelIlLi16ELi32ELi8ELc67ELc67ELc85ELb1ELb1E19rocblas_complex_numIdEPKS1_PKS3_PKPS1_EviT_T9_T10_S9_lSB_S9_lSA_T11_S9_li.has_indirect_call, 0
	.section	.AMDGPU.csdata,"",@progbits
; Kernel info:
; codeLenInByte = 2928
; TotalNumSgprs: 46
; NumVgprs: 132
; ScratchSize: 0
; MemoryBound: 1
; FloatMode: 240
; IeeeMode: 1
; LDSByteSize: 8192 bytes/workgroup (compile time only)
; SGPRBlocks: 0
; VGPRBlocks: 8
; NumSGPRsForWavesPerEU: 46
; NumVGPRsForWavesPerEU: 132
; NamedBarCnt: 0
; Occupancy: 7
; WaveLimiterHint : 1
; COMPUTE_PGM_RSRC2:SCRATCH_EN: 0
; COMPUTE_PGM_RSRC2:USER_SGPR: 2
; COMPUTE_PGM_RSRC2:TRAP_HANDLER: 0
; COMPUTE_PGM_RSRC2:TGID_X_EN: 1
; COMPUTE_PGM_RSRC2:TGID_Y_EN: 1
; COMPUTE_PGM_RSRC2:TGID_Z_EN: 1
; COMPUTE_PGM_RSRC2:TIDIG_COMP_CNT: 1
	.section	.text._ZL29rocblas_internal_gemmt_kernelIlLi16ELi32ELi8ELc78ELc78ELc76ELb0ELb0E19rocblas_complex_numIdEPKS1_PKS3_PKPS1_EviT_T9_T10_S9_lSB_S9_lSA_T11_S9_li,"axG",@progbits,_ZL29rocblas_internal_gemmt_kernelIlLi16ELi32ELi8ELc78ELc78ELc76ELb0ELb0E19rocblas_complex_numIdEPKS1_PKS3_PKPS1_EviT_T9_T10_S9_lSB_S9_lSA_T11_S9_li,comdat
	.globl	_ZL29rocblas_internal_gemmt_kernelIlLi16ELi32ELi8ELc78ELc78ELc76ELb0ELb0E19rocblas_complex_numIdEPKS1_PKS3_PKPS1_EviT_T9_T10_S9_lSB_S9_lSA_T11_S9_li ; -- Begin function _ZL29rocblas_internal_gemmt_kernelIlLi16ELi32ELi8ELc78ELc78ELc76ELb0ELb0E19rocblas_complex_numIdEPKS1_PKS3_PKPS1_EviT_T9_T10_S9_lSB_S9_lSA_T11_S9_li
	.p2align	8
	.type	_ZL29rocblas_internal_gemmt_kernelIlLi16ELi32ELi8ELc78ELc78ELc76ELb0ELb0E19rocblas_complex_numIdEPKS1_PKS3_PKPS1_EviT_T9_T10_S9_lSB_S9_lSA_T11_S9_li,@function
_ZL29rocblas_internal_gemmt_kernelIlLi16ELi32ELi8ELc78ELc78ELc76ELb0ELb0E19rocblas_complex_numIdEPKS1_PKS3_PKPS1_EviT_T9_T10_S9_lSB_S9_lSA_T11_S9_li: ; @_ZL29rocblas_internal_gemmt_kernelIlLi16ELi32ELi8ELc78ELc78ELc76ELb0ELb0E19rocblas_complex_numIdEPKS1_PKS3_PKPS1_EviT_T9_T10_S9_lSB_S9_lSA_T11_S9_li
; %bb.0:
	s_clause 0x1
	s_load_b256 s[24:31], s[0:1], 0x48
	s_load_b512 s[8:23], s[0:1], 0x8
	s_wait_kmcnt 0x0
	s_load_b128 s[36:39], s[24:25], 0x0
	s_load_b128 s[40:43], s[10:11], 0x0
	s_wait_kmcnt 0x0
	v_cmp_eq_f64_e64 s3, s[36:37], 1.0
	v_cmp_eq_f64_e64 s2, s[38:39], 0
	s_and_b32 s3, s3, s2
	s_delay_alu instid0(SALU_CYCLE_1)
	s_and_not1_b32 vcc_lo, exec_lo, s3
	s_mov_b32 s3, -1
	s_cbranch_vccnz .LBB549_3
; %bb.1:
	s_cmp_lg_u64 s[8:9], 0
	s_cbranch_scc0 .LBB549_41
; %bb.2:
	v_cmp_neq_f64_e64 s3, s[40:41], 0
	v_cmp_neq_f64_e64 s4, s[42:43], 0
	s_or_b32 s3, s3, s4
.LBB549_3:
	s_delay_alu instid0(SALU_CYCLE_1)
	s_and_b32 vcc_lo, exec_lo, s3
	s_cbranch_vccz .LBB549_42
; %bb.4:
	s_load_b32 s24, s[0:1], 0x68
	s_bfe_u32 s3, ttmp6, 0x40014
	s_lshr_b32 s4, ttmp7, 16
	s_add_co_i32 s3, s3, 1
	s_bfe_u32 s6, ttmp6, 0x40008
	s_mul_i32 s5, s4, s3
	s_getreg_b32 s3, hwreg(HW_REG_IB_STS2, 6, 4)
	s_add_co_i32 s6, s6, s5
	s_cmp_eq_u32 s3, 0
	s_mov_b32 s7, 0
	s_cselect_b32 s6, s4, s6
	s_wait_kmcnt 0x0
	s_cmp_ge_u32 s6, s24
	s_cbranch_scc1 .LBB549_42
; %bb.5:
	s_load_b32 s10, s[0:1], 0x0
	s_wait_xcnt 0x0
	s_bfe_u32 s1, ttmp6, 0x4000c
	s_bfe_u32 s25, ttmp6, 0x40010
	s_and_b32 s11, ttmp7, 0xffff
	s_add_co_i32 s1, s1, 1
	s_add_co_i32 s25, s25, 1
	v_and_b32_e32 v19, 0x3ff, v0
	v_bfe_u32 v21, v0, 10, 10
	s_and_b32 s0, ttmp6, 15
	s_bfe_u32 s33, ttmp6, 0x40004
	s_mul_i32 s1, ttmp9, s1
	s_mul_i32 s25, s11, s25
	s_add_co_i32 s0, s0, s1
	s_add_co_i32 s33, s33, s25
	s_cmp_eq_u32 s3, 0
	v_lshl_add_u32 v1, v21, 4, v19
	s_cselect_b32 s1, s11, s33
	s_cselect_b32 s0, ttmp9, s0
	s_lshl_b32 s1, s1, 5
	s_delay_alu instid0(VALU_DEP_1)
	v_dual_lshrrev_b32 v7, 3, v1 :: v_dual_bitop2_b32 v6, 7, v0 bitop3:0x40
	v_dual_lshrrev_b32 v10, 5, v1 :: v_dual_bitop2_b32 v9, 31, v1 bitop3:0x40
	v_add_nc_u32_e32 v0, s1, v21
	v_cmp_neq_f64_e64 s4, s[40:41], 0
	v_cmp_neq_f64_e64 s5, s[42:43], 0
	s_lshl_b32 s11, s0, 5
	s_delay_alu instid0(SALU_CYCLE_1) | instskip(SKIP_2) | instid1(VALU_DEP_3)
	v_dual_add_nc_u32 v2, s1, v7 :: v_dual_bitop2_b32 v8, s11, v9 bitop3:0x54
	v_add_nc_u32_e32 v4, 16, v0
	v_cmp_neq_f64_e64 s3, s[36:37], 0
	v_dual_ashrrev_i32 v1, 31, v0 :: v_dual_ashrrev_i32 v3, 31, v2
	s_delay_alu instid0(VALU_DEP_3) | instskip(SKIP_1) | instid1(VALU_DEP_3)
	v_dual_lshlrev_b32 v11, 4, v6 :: v_dual_ashrrev_i32 v5, 31, v4
	v_dual_lshlrev_b32 v9, 4, v9 :: v_dual_add_nc_u32 v18, s11, v19
	v_mul_u64_e32 v[12:13], s[20:21], v[2:3]
	s_delay_alu instid0(VALU_DEP_4) | instskip(NEXT) | instid1(VALU_DEP_4)
	v_mul_u64_e32 v[14:15], s[28:29], v[0:1]
	v_mul_u64_e32 v[16:17], s[28:29], v[4:5]
	v_lshl_or_b32 v1, v7, 7, v11
	v_add_nc_u32_e32 v20, 16, v18
	v_cmp_le_i32_e64 s1, v0, v18
	v_cmp_gt_i64_e64 s33, s[8:9], 0
	v_lshl_or_b32 v7, v10, 9, v9
	v_dual_ashrrev_i32 v9, 31, v8 :: v_dual_lshlrev_b32 v44, 4, v19
	s_wait_kmcnt 0x0
	v_cmp_gt_i32_e32 vcc_lo, s10, v2
	v_ashrrev_i32_e32 v19, 31, v18
	v_cmp_gt_i32_e64 s0, s10, v8
	v_cmp_le_i32_e64 s25, s10, v8
	v_add_nc_u32_e32 v11, 0x1000, v1
	v_lshl_add_u32 v45, v21, 7, 0x1000
	v_dual_ashrrev_i32 v21, 31, v20 :: v_dual_mov_b32 v1, 0
                                        ; implicit-def: $vgpr22_vgpr23
	s_or_b32 s34, s4, s5
	s_xor_b32 s4, s2, -1
	v_cmp_gt_i32_e64 s2, s10, v18
	v_cmp_le_i32_e64 s5, v4, v20
	s_and_b32 s33, s34, s33
	s_or_b32 s20, s3, s4
	v_cmp_le_i32_e64 s3, v0, v20
	v_cmp_gt_i32_e64 s4, s10, v20
	s_and_b32 s21, s1, s2
	v_cmp_le_i32_e64 s1, v4, v18
	s_lshl_b64 s[10:11], s[30:31], 4
	s_and_b32 s28, s3, s4
	s_and_b32 s29, s5, s4
	;; [unrolled: 1-line block ×3, first 2 shown]
	s_lshl_b64 s[2:3], s[22:23], 4
	s_lshl_b64 s[4:5], s[16:17], 4
	s_xor_b32 s22, vcc_lo, -1
	s_branch .LBB549_7
.LBB549_6:                              ;   in Loop: Header=BB549_7 Depth=1
	s_wait_xcnt 0x0
	s_or_b32 exec_lo, exec_lo, s16
	s_add_co_i32 s6, s6, 0x10000
	s_delay_alu instid0(SALU_CYCLE_1)
	s_cmp_lt_u32 s6, s24
	s_cbranch_scc0 .LBB549_42
.LBB549_7:                              ; =>This Loop Header: Depth=1
                                        ;     Child Loop BB549_10 Depth 2
	v_mov_b32_e32 v0, s6
	v_mov_b64_e32 v[40:41], 0
	s_and_not1_b32 vcc_lo, exec_lo, s33
	global_load_b64 v[4:5], v0, s[26:27] scale_offset
	s_cbranch_vccnz .LBB549_20
; %bb.8:                                ;   in Loop: Header=BB549_7 Depth=1
	s_lshl_b64 s[16:17], s[6:7], 3
	v_mov_b64_e32 v[24:25], 0
	s_add_nc_u64 s[30:31], s[12:13], s[16:17]
	s_add_nc_u64 s[16:17], s[18:19], s[16:17]
	s_clause 0x1
	global_load_b64 v[2:3], v1, s[30:31]
	global_load_b64 v[28:29], v1, s[16:17]
	v_mov_b64_e32 v[26:27], 0
	v_mov_b64_e32 v[34:35], 0
	v_mov_b64_e32 v[32:33], 0
	v_mov_b64_e32 v[38:39], 0
	v_mov_b64_e32 v[36:37], 0
	v_mov_b64_e32 v[42:43], 0
	v_mov_b64_e32 v[40:41], 0
	s_wait_xcnt 0x0
	s_mov_b64 s[16:17], 0
	s_wait_loadcnt 0x1
	v_add_nc_u64_e32 v[2:3], s[4:5], v[2:3]
	s_wait_loadcnt 0x0
	v_add_nc_u64_e32 v[30:31], s[2:3], v[28:29]
	s_delay_alu instid0(VALU_DEP_2) | instskip(NEXT) | instid1(VALU_DEP_2)
	v_lshl_add_u64 v[28:29], v[8:9], 4, v[2:3]
	v_lshl_add_u64 v[30:31], v[12:13], 4, v[30:31]
	s_branch .LBB549_10
.LBB549_9:                              ;   in Loop: Header=BB549_10 Depth=2
	s_wait_xcnt 0x0
	s_or_b32 exec_lo, exec_lo, s23
	s_wait_dscnt 0x0
	s_barrier_signal -1
	s_barrier_wait -1
	ds_load_b128 v[46:49], v45
	ds_load_b128 v[50:53], v44
	ds_load_b128 v[54:57], v44 offset:256
	ds_load_b128 v[58:61], v45 offset:2048
	ds_load_b128 v[62:65], v45 offset:16
	ds_load_b128 v[66:69], v44 offset:512
	ds_load_b128 v[70:73], v44 offset:768
	ds_load_b128 v[74:77], v45 offset:2064
	ds_load_b128 v[78:81], v45 offset:32
	ds_load_b128 v[82:85], v44 offset:1024
	ds_load_b128 v[86:89], v44 offset:1280
	ds_load_b128 v[90:93], v45 offset:2080
	s_add_nc_u64 s[16:17], s[16:17], 8
	s_delay_alu instid0(SALU_CYCLE_1)
	v_cmp_gt_i64_e64 s23, s[8:9], s[16:17]
	s_and_b32 vcc_lo, exec_lo, s23
	s_wait_dscnt 0xa
	v_mul_f64_e32 v[2:3], v[48:49], v[52:53]
	v_mul_f64_e32 v[94:95], v[46:47], v[52:53]
	s_wait_dscnt 0x9
	v_mul_f64_e32 v[96:97], v[48:49], v[56:57]
	v_mul_f64_e32 v[98:99], v[46:47], v[56:57]
	s_wait_dscnt 0x8
	v_mul_f64_e32 v[100:101], v[60:61], v[52:53]
	v_mul_f64_e32 v[102:103], v[58:59], v[52:53]
	v_mul_f64_e32 v[52:53], v[60:61], v[56:57]
	v_mul_f64_e32 v[104:105], v[58:59], v[56:57]
	s_wait_dscnt 0x6
	v_mul_f64_e32 v[106:107], v[64:65], v[68:69]
	v_mul_f64_e32 v[108:109], v[62:63], v[68:69]
	s_wait_dscnt 0x5
	v_mul_f64_e32 v[110:111], v[64:65], v[72:73]
	v_mul_f64_e32 v[112:113], v[62:63], v[72:73]
	s_wait_dscnt 0x4
	v_mul_f64_e32 v[114:115], v[76:77], v[68:69]
	v_mul_f64_e32 v[68:69], v[74:75], v[68:69]
	v_mul_f64_e32 v[116:117], v[76:77], v[72:73]
	v_mul_f64_e32 v[72:73], v[74:75], v[72:73]
	;; [unrolled: 11-line block ×3, first 2 shown]
	v_fma_f64 v[2:3], v[46:47], v[50:51], -v[2:3]
	v_fmac_f64_e32 v[94:95], v[48:49], v[50:51]
	v_fma_f64 v[96:97], v[46:47], v[54:55], -v[96:97]
	v_fmac_f64_e32 v[98:99], v[48:49], v[54:55]
	;; [unrolled: 2-line block ×8, first 2 shown]
	ds_load_b128 v[46:49], v45 offset:48
	ds_load_b128 v[50:53], v45 offset:2096
	;; [unrolled: 1-line block ×4, first 2 shown]
	v_fma_f64 v[120:121], v[78:79], v[82:83], -v[120:121]
	v_fmac_f64_e32 v[122:123], v[80:81], v[82:83]
	v_fma_f64 v[78:79], v[78:79], v[86:87], -v[124:125]
	v_fmac_f64_e32 v[126:127], v[80:81], v[86:87]
	;; [unrolled: 2-line block ×4, first 2 shown]
	v_add_f64_e32 v[2:3], v[40:41], v[2:3]
	v_add_f64_e32 v[70:71], v[94:95], v[42:43]
	;; [unrolled: 1-line block ×8, first 2 shown]
	s_wait_dscnt 0x1
	v_mul_f64_e32 v[102:103], v[48:49], v[56:57]
	v_mul_f64_e32 v[104:105], v[46:47], v[56:57]
	s_wait_dscnt 0x0
	v_mul_f64_e32 v[110:111], v[48:49], v[60:61]
	v_mul_f64_e32 v[114:115], v[46:47], v[60:61]
	;; [unrolled: 1-line block ×6, first 2 shown]
	ds_load_b128 v[24:27], v45 offset:64
	ds_load_b128 v[32:35], v44 offset:2048
	;; [unrolled: 1-line block ×4, first 2 shown]
	v_add_f64_e32 v[2:3], v[2:3], v[106:107]
	v_add_f64_e32 v[86:87], v[108:109], v[70:71]
	;; [unrolled: 1-line block ×8, first 2 shown]
	s_wait_dscnt 0x2
	v_mul_f64_e32 v[100:101], v[26:27], v[34:35]
	v_mul_f64_e32 v[106:107], v[24:25], v[34:35]
	s_wait_dscnt 0x1
	v_mul_f64_e32 v[108:109], v[26:27], v[38:39]
	v_mul_f64_e32 v[112:113], v[24:25], v[38:39]
	s_wait_dscnt 0x0
	v_mul_f64_e32 v[124:125], v[42:43], v[34:35]
	v_mul_f64_e32 v[128:129], v[40:41], v[34:35]
	v_mul_f64_e32 v[34:35], v[42:43], v[38:39]
	v_mul_f64_e32 v[130:131], v[40:41], v[38:39]
	v_fma_f64 v[38:39], v[46:47], v[54:55], -v[102:103]
	v_fmac_f64_e32 v[104:105], v[48:49], v[54:55]
	v_fma_f64 v[102:103], v[46:47], v[58:59], -v[110:111]
	v_fmac_f64_e32 v[114:115], v[48:49], v[58:59]
	;; [unrolled: 2-line block ×4, first 2 shown]
	ds_load_b128 v[60:63], v45 offset:80
	ds_load_b128 v[64:67], v45 offset:2128
	;; [unrolled: 1-line block ×4, first 2 shown]
	v_add_f64_e32 v[2:3], v[2:3], v[120:121]
	v_add_f64_e32 v[58:59], v[122:123], v[86:87]
	;; [unrolled: 1-line block ×8, first 2 shown]
	v_fma_f64 v[100:101], v[24:25], v[32:33], -v[100:101]
	v_fmac_f64_e32 v[106:107], v[26:27], v[32:33]
	v_fma_f64 v[108:109], v[24:25], v[36:37], -v[108:109]
	s_wait_dscnt 0x1
	v_mul_f64_e32 v[92:93], v[62:63], v[70:71]
	v_mul_f64_e32 v[94:95], v[60:61], v[70:71]
	s_wait_dscnt 0x0
	v_mul_f64_e32 v[96:97], v[62:63], v[74:75]
	v_mul_f64_e32 v[98:99], v[60:61], v[74:75]
	;; [unrolled: 1-line block ×6, first 2 shown]
	v_fmac_f64_e32 v[112:113], v[26:27], v[36:37]
	v_fma_f64 v[124:125], v[40:41], v[32:33], -v[124:125]
	v_fmac_f64_e32 v[128:129], v[42:43], v[32:33]
	v_fma_f64 v[126:127], v[40:41], v[36:37], -v[34:35]
	v_fmac_f64_e32 v[130:131], v[42:43], v[36:37]
	ds_load_b128 v[46:49], v45 offset:96
	ds_load_b128 v[50:53], v44 offset:3072
	;; [unrolled: 1-line block ×4, first 2 shown]
	v_add_f64_e32 v[2:3], v[2:3], v[38:39]
	v_add_f64_e32 v[58:59], v[104:105], v[58:59]
	;; [unrolled: 1-line block ×8, first 2 shown]
	ds_load_b128 v[24:27], v45 offset:112
	ds_load_b128 v[32:35], v45 offset:2160
	;; [unrolled: 1-line block ×4, first 2 shown]
	s_wait_dscnt 0x0
	v_mul_f64_e32 v[102:103], v[48:49], v[52:53]
	v_mul_f64_e32 v[104:105], v[46:47], v[52:53]
	;; [unrolled: 1-line block ×8, first 2 shown]
	v_fma_f64 v[92:93], v[60:61], v[68:69], -v[92:93]
	v_fmac_f64_e32 v[94:95], v[62:63], v[68:69]
	v_fma_f64 v[60:61], v[60:61], v[72:73], -v[96:97]
	v_fmac_f64_e32 v[98:99], v[62:63], v[72:73]
	;; [unrolled: 2-line block ×4, first 2 shown]
	s_barrier_signal -1
	s_barrier_wait -1
	v_mul_f64_e32 v[96:97], v[24:25], v[42:43]
	v_add_f64_e32 v[2:3], v[2:3], v[100:101]
	v_add_f64_e32 v[58:59], v[106:107], v[58:59]
	;; [unrolled: 1-line block ×8, first 2 shown]
	v_mul_f64_e32 v[86:87], v[26:27], v[38:39]
	v_mul_f64_e32 v[88:89], v[24:25], v[38:39]
	;; [unrolled: 1-line block ×7, first 2 shown]
	v_fma_f64 v[42:43], v[46:47], v[50:51], -v[102:103]
	v_fmac_f64_e32 v[104:105], v[48:49], v[50:51]
	v_fma_f64 v[46:47], v[46:47], v[54:55], -v[110:111]
	v_fmac_f64_e32 v[114:115], v[48:49], v[54:55]
	;; [unrolled: 2-line block ×4, first 2 shown]
	v_fmac_f64_e32 v[96:97], v[26:27], v[40:41]
	v_add_f64_e32 v[2:3], v[2:3], v[92:93]
	v_add_f64_e32 v[54:55], v[94:95], v[58:59]
	;; [unrolled: 1-line block ×8, first 2 shown]
	v_fma_f64 v[70:71], v[24:25], v[36:37], -v[86:87]
	v_fmac_f64_e32 v[88:89], v[26:27], v[36:37]
	v_fma_f64 v[24:25], v[24:25], v[40:41], -v[90:91]
	v_fma_f64 v[26:27], v[32:33], v[36:37], -v[100:101]
	v_fmac_f64_e32 v[106:107], v[34:35], v[36:37]
	v_fma_f64 v[72:73], v[32:33], v[40:41], -v[38:39]
	v_fmac_f64_e32 v[108:109], v[34:35], v[40:41]
	v_add_f64_e32 v[2:3], v[2:3], v[42:43]
	v_add_f64_e32 v[32:33], v[104:105], v[54:55]
	;; [unrolled: 1-line block ×16, first 2 shown]
	s_cbranch_vccz .LBB549_21
.LBB549_10:                             ;   Parent Loop BB549_7 Depth=1
                                        ; =>  This Inner Loop Header: Depth=2
	s_mov_b32 s23, 0
	s_mov_b32 s31, s25
	s_and_saveexec_b32 s30, s0
	s_cbranch_execnz .LBB549_18
; %bb.11:                               ;   in Loop: Header=BB549_10 Depth=2
	s_or_b32 exec_lo, exec_lo, s30
	s_and_saveexec_b32 s30, s31
	s_delay_alu instid0(SALU_CYCLE_1)
	s_xor_b32 s30, exec_lo, s30
	s_cbranch_execnz .LBB549_19
.LBB549_12:                             ;   in Loop: Header=BB549_10 Depth=2
	s_or_b32 exec_lo, exec_lo, s30
	s_and_saveexec_b32 s30, s23
	s_cbranch_execz .LBB549_14
.LBB549_13:                             ;   in Loop: Header=BB549_10 Depth=2
	v_mul_u64_e32 v[2:3], s[14:15], v[22:23]
	s_delay_alu instid0(VALU_DEP_1)
	v_lshl_add_u64 v[2:3], v[2:3], 4, v[28:29]
	flat_load_b128 v[46:49], v[2:3]
	s_wait_loadcnt_dscnt 0x0
	ds_store_2addr_b64 v7, v[46:47], v[48:49] offset1:1
.LBB549_14:                             ;   in Loop: Header=BB549_10 Depth=2
	s_wait_xcnt 0x0
	s_or_b32 exec_lo, exec_lo, s30
	v_add_nc_u32_e32 v0, s16, v6
	s_delay_alu instid0(VALU_DEP_1) | instskip(SKIP_1) | instid1(SALU_CYCLE_1)
	v_cmp_le_u64_e32 vcc_lo, s[8:9], v[0:1]
	s_or_b32 s23, vcc_lo, s22
	s_and_saveexec_b32 s30, s23
	s_delay_alu instid0(SALU_CYCLE_1)
	s_xor_b32 s23, exec_lo, s30
; %bb.15:                               ;   in Loop: Header=BB549_10 Depth=2
	v_dual_mov_b32 v0, v1 :: v_dual_mov_b32 v2, v1
	v_mov_b32_e32 v3, v1
	ds_store_b128 v11, v[0:3]
; %bb.16:                               ;   in Loop: Header=BB549_10 Depth=2
	s_and_not1_saveexec_b32 s23, s23
	s_cbranch_execz .LBB549_9
; %bb.17:                               ;   in Loop: Header=BB549_10 Depth=2
	v_lshl_add_u64 v[2:3], v[0:1], 4, v[30:31]
	flat_load_b128 v[46:49], v[2:3]
	s_wait_loadcnt_dscnt 0x0
	ds_store_2addr_b64 v11, v[46:47], v[48:49] offset1:1
	s_branch .LBB549_9
.LBB549_18:                             ;   in Loop: Header=BB549_10 Depth=2
	v_add_nc_u32_e32 v0, s16, v10
	s_and_not1_b32 s31, s25, exec_lo
	s_mov_b32 s23, exec_lo
	s_delay_alu instid0(VALU_DEP_1) | instskip(SKIP_2) | instid1(SALU_CYCLE_1)
	v_cmp_le_u64_e32 vcc_lo, s[8:9], v[0:1]
	v_mov_b64_e32 v[22:23], v[0:1]
	s_and_b32 s34, vcc_lo, exec_lo
	s_or_b32 s31, s31, s34
	s_or_b32 exec_lo, exec_lo, s30
	s_and_saveexec_b32 s30, s31
	s_delay_alu instid0(SALU_CYCLE_1)
	s_xor_b32 s30, exec_lo, s30
	s_cbranch_execz .LBB549_12
.LBB549_19:                             ;   in Loop: Header=BB549_10 Depth=2
	v_dual_mov_b32 v0, v1 :: v_dual_mov_b32 v2, v1
	v_mov_b32_e32 v3, v1
	s_and_not1_b32 s23, s23, exec_lo
	ds_store_b128 v7, v[0:3]
	s_or_b32 exec_lo, exec_lo, s30
	s_and_saveexec_b32 s30, s23
	s_cbranch_execnz .LBB549_13
	s_branch .LBB549_14
.LBB549_20:                             ;   in Loop: Header=BB549_7 Depth=1
	v_mov_b64_e32 v[42:43], 0
	v_mov_b64_e32 v[36:37], 0
	;; [unrolled: 1-line block ×7, first 2 shown]
.LBB549_21:                             ;   in Loop: Header=BB549_7 Depth=1
	s_wait_loadcnt 0x0
	v_add_nc_u64_e32 v[28:29], s[10:11], v[4:5]
	s_delay_alu instid0(VALU_DEP_1)
	v_lshl_add_u64 v[30:31], v[14:15], 4, v[28:29]
	s_wait_xcnt 0x0
	s_and_saveexec_b32 s16, s21
	s_cbranch_execz .LBB549_26
; %bb.22:                               ;   in Loop: Header=BB549_7 Depth=1
	v_mul_f64_e32 v[2:3], s[42:43], v[42:43]
	v_mul_f64_e32 v[4:5], s[40:41], v[42:43]
	s_and_b32 vcc_lo, exec_lo, s20
	s_mov_b32 s17, -1
	s_delay_alu instid0(VALU_DEP_2) | instskip(NEXT) | instid1(VALU_DEP_2)
	v_fma_f64 v[2:3], s[40:41], v[40:41], -v[2:3]
	v_fmac_f64_e32 v[4:5], s[42:43], v[40:41]
	v_lshl_add_u64 v[40:41], v[18:19], 4, v[30:31]
	s_cbranch_vccz .LBB549_24
; %bb.23:                               ;   in Loop: Header=BB549_7 Depth=1
	flat_load_b128 v[46:49], v[40:41]
	s_mov_b32 s17, 0
	s_wait_loadcnt_dscnt 0x0
	v_mul_f64_e32 v[42:43], s[38:39], v[48:49]
	v_mul_f64_e32 v[48:49], s[36:37], v[48:49]
	s_delay_alu instid0(VALU_DEP_2) | instskip(NEXT) | instid1(VALU_DEP_2)
	v_fma_f64 v[42:43], s[36:37], v[46:47], -v[42:43]
	v_fmac_f64_e32 v[48:49], s[38:39], v[46:47]
	s_delay_alu instid0(VALU_DEP_2) | instskip(NEXT) | instid1(VALU_DEP_2)
	v_add_f64_e32 v[46:47], v[2:3], v[42:43]
	v_add_f64_e32 v[48:49], v[4:5], v[48:49]
	flat_store_b128 v[40:41], v[46:49]
.LBB549_24:                             ;   in Loop: Header=BB549_7 Depth=1
	s_and_not1_b32 vcc_lo, exec_lo, s17
	s_cbranch_vccnz .LBB549_26
; %bb.25:                               ;   in Loop: Header=BB549_7 Depth=1
	flat_store_b128 v[40:41], v[2:5]
.LBB549_26:                             ;   in Loop: Header=BB549_7 Depth=1
	s_wait_xcnt 0x0
	s_or_b32 exec_lo, exec_lo, s16
	s_and_saveexec_b32 s16, s28
	s_cbranch_execz .LBB549_31
; %bb.27:                               ;   in Loop: Header=BB549_7 Depth=1
	v_mul_f64_e32 v[2:3], s[42:43], v[38:39]
	v_mul_f64_e32 v[4:5], s[40:41], v[38:39]
	v_lshl_add_u64 v[30:31], v[20:21], 4, v[30:31]
	s_and_not1_b32 vcc_lo, exec_lo, s20
	s_mov_b32 s17, -1
	s_delay_alu instid0(VALU_DEP_3) | instskip(NEXT) | instid1(VALU_DEP_3)
	v_fma_f64 v[2:3], s[40:41], v[36:37], -v[2:3]
	v_fmac_f64_e32 v[4:5], s[42:43], v[36:37]
	s_cbranch_vccnz .LBB549_29
; %bb.28:                               ;   in Loop: Header=BB549_7 Depth=1
	flat_load_b128 v[36:39], v[30:31]
	s_mov_b32 s17, 0
	s_wait_loadcnt_dscnt 0x0
	v_mul_f64_e32 v[40:41], s[38:39], v[38:39]
	v_mul_f64_e32 v[38:39], s[36:37], v[38:39]
	s_delay_alu instid0(VALU_DEP_2) | instskip(NEXT) | instid1(VALU_DEP_2)
	v_fma_f64 v[40:41], s[36:37], v[36:37], -v[40:41]
	v_fmac_f64_e32 v[38:39], s[38:39], v[36:37]
	s_delay_alu instid0(VALU_DEP_2) | instskip(NEXT) | instid1(VALU_DEP_2)
	v_add_f64_e32 v[36:37], v[2:3], v[40:41]
	v_add_f64_e32 v[38:39], v[4:5], v[38:39]
	flat_store_b128 v[30:31], v[36:39]
.LBB549_29:                             ;   in Loop: Header=BB549_7 Depth=1
	s_and_not1_b32 vcc_lo, exec_lo, s17
	s_cbranch_vccnz .LBB549_31
; %bb.30:                               ;   in Loop: Header=BB549_7 Depth=1
	flat_store_b128 v[30:31], v[2:5]
.LBB549_31:                             ;   in Loop: Header=BB549_7 Depth=1
	s_wait_xcnt 0x0
	s_or_b32 exec_lo, exec_lo, s16
	v_lshl_add_u64 v[28:29], v[16:17], 4, v[28:29]
	s_and_saveexec_b32 s16, s1
	s_cbranch_execz .LBB549_36
; %bb.32:                               ;   in Loop: Header=BB549_7 Depth=1
	v_mul_f64_e32 v[2:3], s[42:43], v[34:35]
	v_mul_f64_e32 v[4:5], s[40:41], v[34:35]
	v_lshl_add_u64 v[30:31], v[18:19], 4, v[28:29]
	s_and_not1_b32 vcc_lo, exec_lo, s20
	s_mov_b32 s17, -1
	s_delay_alu instid0(VALU_DEP_3) | instskip(NEXT) | instid1(VALU_DEP_3)
	v_fma_f64 v[2:3], s[40:41], v[32:33], -v[2:3]
	v_fmac_f64_e32 v[4:5], s[42:43], v[32:33]
	s_cbranch_vccnz .LBB549_34
; %bb.33:                               ;   in Loop: Header=BB549_7 Depth=1
	flat_load_b128 v[32:35], v[30:31]
	s_mov_b32 s17, 0
	s_wait_loadcnt_dscnt 0x0
	v_mul_f64_e32 v[36:37], s[38:39], v[34:35]
	v_mul_f64_e32 v[34:35], s[36:37], v[34:35]
	s_delay_alu instid0(VALU_DEP_2) | instskip(NEXT) | instid1(VALU_DEP_2)
	v_fma_f64 v[36:37], s[36:37], v[32:33], -v[36:37]
	v_fmac_f64_e32 v[34:35], s[38:39], v[32:33]
	s_delay_alu instid0(VALU_DEP_2) | instskip(NEXT) | instid1(VALU_DEP_2)
	v_add_f64_e32 v[32:33], v[2:3], v[36:37]
	v_add_f64_e32 v[34:35], v[4:5], v[34:35]
	flat_store_b128 v[30:31], v[32:35]
.LBB549_34:                             ;   in Loop: Header=BB549_7 Depth=1
	s_and_not1_b32 vcc_lo, exec_lo, s17
	s_cbranch_vccnz .LBB549_36
; %bb.35:                               ;   in Loop: Header=BB549_7 Depth=1
	flat_store_b128 v[30:31], v[2:5]
.LBB549_36:                             ;   in Loop: Header=BB549_7 Depth=1
	s_wait_xcnt 0x0
	s_or_b32 exec_lo, exec_lo, s16
	s_and_saveexec_b32 s16, s29
	s_cbranch_execz .LBB549_6
; %bb.37:                               ;   in Loop: Header=BB549_7 Depth=1
	s_delay_alu instid0(VALU_DEP_4) | instskip(SKIP_4) | instid1(VALU_DEP_3)
	v_mul_f64_e32 v[2:3], s[42:43], v[24:25]
	v_mul_f64_e32 v[4:5], s[40:41], v[24:25]
	v_lshl_add_u64 v[24:25], v[20:21], 4, v[28:29]
	s_and_not1_b32 vcc_lo, exec_lo, s20
	s_mov_b32 s17, -1
	v_fma_f64 v[2:3], s[40:41], v[26:27], -v[2:3]
	s_delay_alu instid0(VALU_DEP_3)
	v_fmac_f64_e32 v[4:5], s[42:43], v[26:27]
	s_cbranch_vccnz .LBB549_39
; %bb.38:                               ;   in Loop: Header=BB549_7 Depth=1
	flat_load_b128 v[26:29], v[24:25]
	s_mov_b32 s17, 0
	s_wait_loadcnt_dscnt 0x0
	v_mul_f64_e32 v[30:31], s[38:39], v[28:29]
	v_mul_f64_e32 v[28:29], s[36:37], v[28:29]
	s_delay_alu instid0(VALU_DEP_2) | instskip(NEXT) | instid1(VALU_DEP_2)
	v_fma_f64 v[30:31], s[36:37], v[26:27], -v[30:31]
	v_fmac_f64_e32 v[28:29], s[38:39], v[26:27]
	s_delay_alu instid0(VALU_DEP_2) | instskip(NEXT) | instid1(VALU_DEP_2)
	v_add_f64_e32 v[26:27], v[2:3], v[30:31]
	v_add_f64_e32 v[28:29], v[4:5], v[28:29]
	flat_store_b128 v[24:25], v[26:29]
.LBB549_39:                             ;   in Loop: Header=BB549_7 Depth=1
	s_and_not1_b32 vcc_lo, exec_lo, s17
	s_cbranch_vccnz .LBB549_6
; %bb.40:                               ;   in Loop: Header=BB549_7 Depth=1
	flat_store_b128 v[24:25], v[2:5]
	s_branch .LBB549_6
.LBB549_41:
.LBB549_42:
	s_sendmsg sendmsg(MSG_DEALLOC_VGPRS)
	s_endpgm
	.section	.rodata,"a",@progbits
	.p2align	6, 0x0
	.amdhsa_kernel _ZL29rocblas_internal_gemmt_kernelIlLi16ELi32ELi8ELc78ELc78ELc76ELb0ELb0E19rocblas_complex_numIdEPKS1_PKS3_PKPS1_EviT_T9_T10_S9_lSB_S9_lSA_T11_S9_li
		.amdhsa_group_segment_fixed_size 8192
		.amdhsa_private_segment_fixed_size 0
		.amdhsa_kernarg_size 108
		.amdhsa_user_sgpr_count 2
		.amdhsa_user_sgpr_dispatch_ptr 0
		.amdhsa_user_sgpr_queue_ptr 0
		.amdhsa_user_sgpr_kernarg_segment_ptr 1
		.amdhsa_user_sgpr_dispatch_id 0
		.amdhsa_user_sgpr_kernarg_preload_length 0
		.amdhsa_user_sgpr_kernarg_preload_offset 0
		.amdhsa_user_sgpr_private_segment_size 0
		.amdhsa_wavefront_size32 1
		.amdhsa_uses_dynamic_stack 0
		.amdhsa_enable_private_segment 0
		.amdhsa_system_sgpr_workgroup_id_x 1
		.amdhsa_system_sgpr_workgroup_id_y 1
		.amdhsa_system_sgpr_workgroup_id_z 1
		.amdhsa_system_sgpr_workgroup_info 0
		.amdhsa_system_vgpr_workitem_id 1
		.amdhsa_next_free_vgpr 134
		.amdhsa_next_free_sgpr 44
		.amdhsa_named_barrier_count 0
		.amdhsa_reserve_vcc 1
		.amdhsa_float_round_mode_32 0
		.amdhsa_float_round_mode_16_64 0
		.amdhsa_float_denorm_mode_32 3
		.amdhsa_float_denorm_mode_16_64 3
		.amdhsa_fp16_overflow 0
		.amdhsa_memory_ordered 1
		.amdhsa_forward_progress 1
		.amdhsa_inst_pref_size 24
		.amdhsa_round_robin_scheduling 0
		.amdhsa_exception_fp_ieee_invalid_op 0
		.amdhsa_exception_fp_denorm_src 0
		.amdhsa_exception_fp_ieee_div_zero 0
		.amdhsa_exception_fp_ieee_overflow 0
		.amdhsa_exception_fp_ieee_underflow 0
		.amdhsa_exception_fp_ieee_inexact 0
		.amdhsa_exception_int_div_zero 0
	.end_amdhsa_kernel
	.section	.text._ZL29rocblas_internal_gemmt_kernelIlLi16ELi32ELi8ELc78ELc78ELc76ELb0ELb0E19rocblas_complex_numIdEPKS1_PKS3_PKPS1_EviT_T9_T10_S9_lSB_S9_lSA_T11_S9_li,"axG",@progbits,_ZL29rocblas_internal_gemmt_kernelIlLi16ELi32ELi8ELc78ELc78ELc76ELb0ELb0E19rocblas_complex_numIdEPKS1_PKS3_PKPS1_EviT_T9_T10_S9_lSB_S9_lSA_T11_S9_li,comdat
.Lfunc_end549:
	.size	_ZL29rocblas_internal_gemmt_kernelIlLi16ELi32ELi8ELc78ELc78ELc76ELb0ELb0E19rocblas_complex_numIdEPKS1_PKS3_PKPS1_EviT_T9_T10_S9_lSB_S9_lSA_T11_S9_li, .Lfunc_end549-_ZL29rocblas_internal_gemmt_kernelIlLi16ELi32ELi8ELc78ELc78ELc76ELb0ELb0E19rocblas_complex_numIdEPKS1_PKS3_PKPS1_EviT_T9_T10_S9_lSB_S9_lSA_T11_S9_li
                                        ; -- End function
	.set _ZL29rocblas_internal_gemmt_kernelIlLi16ELi32ELi8ELc78ELc78ELc76ELb0ELb0E19rocblas_complex_numIdEPKS1_PKS3_PKPS1_EviT_T9_T10_S9_lSB_S9_lSA_T11_S9_li.num_vgpr, 134
	.set _ZL29rocblas_internal_gemmt_kernelIlLi16ELi32ELi8ELc78ELc78ELc76ELb0ELb0E19rocblas_complex_numIdEPKS1_PKS3_PKPS1_EviT_T9_T10_S9_lSB_S9_lSA_T11_S9_li.num_agpr, 0
	.set _ZL29rocblas_internal_gemmt_kernelIlLi16ELi32ELi8ELc78ELc78ELc76ELb0ELb0E19rocblas_complex_numIdEPKS1_PKS3_PKPS1_EviT_T9_T10_S9_lSB_S9_lSA_T11_S9_li.numbered_sgpr, 44
	.set _ZL29rocblas_internal_gemmt_kernelIlLi16ELi32ELi8ELc78ELc78ELc76ELb0ELb0E19rocblas_complex_numIdEPKS1_PKS3_PKPS1_EviT_T9_T10_S9_lSB_S9_lSA_T11_S9_li.num_named_barrier, 0
	.set _ZL29rocblas_internal_gemmt_kernelIlLi16ELi32ELi8ELc78ELc78ELc76ELb0ELb0E19rocblas_complex_numIdEPKS1_PKS3_PKPS1_EviT_T9_T10_S9_lSB_S9_lSA_T11_S9_li.private_seg_size, 0
	.set _ZL29rocblas_internal_gemmt_kernelIlLi16ELi32ELi8ELc78ELc78ELc76ELb0ELb0E19rocblas_complex_numIdEPKS1_PKS3_PKPS1_EviT_T9_T10_S9_lSB_S9_lSA_T11_S9_li.uses_vcc, 1
	.set _ZL29rocblas_internal_gemmt_kernelIlLi16ELi32ELi8ELc78ELc78ELc76ELb0ELb0E19rocblas_complex_numIdEPKS1_PKS3_PKPS1_EviT_T9_T10_S9_lSB_S9_lSA_T11_S9_li.uses_flat_scratch, 0
	.set _ZL29rocblas_internal_gemmt_kernelIlLi16ELi32ELi8ELc78ELc78ELc76ELb0ELb0E19rocblas_complex_numIdEPKS1_PKS3_PKPS1_EviT_T9_T10_S9_lSB_S9_lSA_T11_S9_li.has_dyn_sized_stack, 0
	.set _ZL29rocblas_internal_gemmt_kernelIlLi16ELi32ELi8ELc78ELc78ELc76ELb0ELb0E19rocblas_complex_numIdEPKS1_PKS3_PKPS1_EviT_T9_T10_S9_lSB_S9_lSA_T11_S9_li.has_recursion, 0
	.set _ZL29rocblas_internal_gemmt_kernelIlLi16ELi32ELi8ELc78ELc78ELc76ELb0ELb0E19rocblas_complex_numIdEPKS1_PKS3_PKPS1_EviT_T9_T10_S9_lSB_S9_lSA_T11_S9_li.has_indirect_call, 0
	.section	.AMDGPU.csdata,"",@progbits
; Kernel info:
; codeLenInByte = 3032
; TotalNumSgprs: 46
; NumVgprs: 134
; ScratchSize: 0
; MemoryBound: 0
; FloatMode: 240
; IeeeMode: 1
; LDSByteSize: 8192 bytes/workgroup (compile time only)
; SGPRBlocks: 0
; VGPRBlocks: 8
; NumSGPRsForWavesPerEU: 46
; NumVGPRsForWavesPerEU: 134
; NamedBarCnt: 0
; Occupancy: 7
; WaveLimiterHint : 1
; COMPUTE_PGM_RSRC2:SCRATCH_EN: 0
; COMPUTE_PGM_RSRC2:USER_SGPR: 2
; COMPUTE_PGM_RSRC2:TRAP_HANDLER: 0
; COMPUTE_PGM_RSRC2:TGID_X_EN: 1
; COMPUTE_PGM_RSRC2:TGID_Y_EN: 1
; COMPUTE_PGM_RSRC2:TGID_Z_EN: 1
; COMPUTE_PGM_RSRC2:TIDIG_COMP_CNT: 1
	.section	.text._ZL29rocblas_internal_gemmt_kernelIlLi16ELi32ELi8ELc78ELc84ELc76ELb0ELb0E19rocblas_complex_numIdEPKS1_PKS3_PKPS1_EviT_T9_T10_S9_lSB_S9_lSA_T11_S9_li,"axG",@progbits,_ZL29rocblas_internal_gemmt_kernelIlLi16ELi32ELi8ELc78ELc84ELc76ELb0ELb0E19rocblas_complex_numIdEPKS1_PKS3_PKPS1_EviT_T9_T10_S9_lSB_S9_lSA_T11_S9_li,comdat
	.globl	_ZL29rocblas_internal_gemmt_kernelIlLi16ELi32ELi8ELc78ELc84ELc76ELb0ELb0E19rocblas_complex_numIdEPKS1_PKS3_PKPS1_EviT_T9_T10_S9_lSB_S9_lSA_T11_S9_li ; -- Begin function _ZL29rocblas_internal_gemmt_kernelIlLi16ELi32ELi8ELc78ELc84ELc76ELb0ELb0E19rocblas_complex_numIdEPKS1_PKS3_PKPS1_EviT_T9_T10_S9_lSB_S9_lSA_T11_S9_li
	.p2align	8
	.type	_ZL29rocblas_internal_gemmt_kernelIlLi16ELi32ELi8ELc78ELc84ELc76ELb0ELb0E19rocblas_complex_numIdEPKS1_PKS3_PKPS1_EviT_T9_T10_S9_lSB_S9_lSA_T11_S9_li,@function
_ZL29rocblas_internal_gemmt_kernelIlLi16ELi32ELi8ELc78ELc84ELc76ELb0ELb0E19rocblas_complex_numIdEPKS1_PKS3_PKPS1_EviT_T9_T10_S9_lSB_S9_lSA_T11_S9_li: ; @_ZL29rocblas_internal_gemmt_kernelIlLi16ELi32ELi8ELc78ELc84ELc76ELb0ELb0E19rocblas_complex_numIdEPKS1_PKS3_PKPS1_EviT_T9_T10_S9_lSB_S9_lSA_T11_S9_li
; %bb.0:
	s_clause 0x1
	s_load_b256 s[24:31], s[0:1], 0x48
	s_load_b512 s[8:23], s[0:1], 0x8
	s_wait_kmcnt 0x0
	s_load_b128 s[36:39], s[24:25], 0x0
	s_load_b128 s[40:43], s[10:11], 0x0
	s_wait_kmcnt 0x0
	v_cmp_eq_f64_e64 s3, s[36:37], 1.0
	v_cmp_eq_f64_e64 s2, s[38:39], 0
	s_and_b32 s3, s3, s2
	s_delay_alu instid0(SALU_CYCLE_1)
	s_and_not1_b32 vcc_lo, exec_lo, s3
	s_mov_b32 s3, -1
	s_cbranch_vccnz .LBB550_3
; %bb.1:
	s_cmp_lg_u64 s[8:9], 0
	s_cbranch_scc0 .LBB550_41
; %bb.2:
	v_cmp_neq_f64_e64 s3, s[40:41], 0
	v_cmp_neq_f64_e64 s4, s[42:43], 0
	s_or_b32 s3, s3, s4
.LBB550_3:
	s_delay_alu instid0(SALU_CYCLE_1)
	s_and_b32 vcc_lo, exec_lo, s3
	s_cbranch_vccz .LBB550_42
; %bb.4:
	s_load_b32 s24, s[0:1], 0x68
	s_bfe_u32 s3, ttmp6, 0x40014
	s_lshr_b32 s4, ttmp7, 16
	s_add_co_i32 s3, s3, 1
	s_bfe_u32 s6, ttmp6, 0x40008
	s_mul_i32 s5, s4, s3
	s_getreg_b32 s3, hwreg(HW_REG_IB_STS2, 6, 4)
	s_add_co_i32 s6, s6, s5
	s_cmp_eq_u32 s3, 0
	s_mov_b32 s7, 0
	s_cselect_b32 s6, s4, s6
	s_wait_kmcnt 0x0
	s_cmp_ge_u32 s6, s24
	s_cbranch_scc1 .LBB550_42
; %bb.5:
	s_load_b32 s10, s[0:1], 0x0
	s_wait_xcnt 0x0
	s_bfe_u32 s1, ttmp6, 0x4000c
	s_bfe_u32 s25, ttmp6, 0x40010
	s_and_b32 s11, ttmp7, 0xffff
	s_add_co_i32 s1, s1, 1
	s_add_co_i32 s25, s25, 1
	v_and_b32_e32 v4, 0x3ff, v0
	v_bfe_u32 v5, v0, 10, 10
	s_and_b32 s0, ttmp6, 15
	s_bfe_u32 s33, ttmp6, 0x40004
	s_mul_i32 s1, ttmp9, s1
	s_mul_i32 s25, s11, s25
	s_add_co_i32 s0, s0, s1
	s_add_co_i32 s33, s33, s25
	s_cmp_eq_u32 s3, 0
	v_lshl_add_u32 v1, v5, 4, v4
	s_cselect_b32 s1, s11, s33
	s_cselect_b32 s0, ttmp9, s0
	s_lshl_b32 s1, s1, 5
	s_delay_alu instid0(VALU_DEP_1)
	v_dual_lshrrev_b32 v7, 3, v1 :: v_dual_bitop2_b32 v6, 7, v0 bitop3:0x40
	v_dual_lshrrev_b32 v10, 5, v1 :: v_dual_bitop2_b32 v9, 31, v1 bitop3:0x40
	v_add_nc_u32_e32 v0, s1, v5
	v_cmp_neq_f64_e64 s4, s[40:41], 0
	v_cmp_neq_f64_e64 s5, s[42:43], 0
	s_lshl_b32 s11, s0, 5
	s_delay_alu instid0(SALU_CYCLE_1) | instskip(SKIP_3) | instid1(VALU_DEP_3)
	v_dual_add_nc_u32 v12, s1, v7 :: v_dual_bitop2_b32 v8, s11, v9 bitop3:0x54
	v_add_nc_u32_e32 v2, 16, v0
	v_cmp_neq_f64_e64 s3, s[36:37], 0
	v_dual_lshlrev_b32 v11, 4, v6 :: v_dual_ashrrev_i32 v1, 31, v0
	v_dual_lshlrev_b32 v9, 4, v9 :: v_dual_ashrrev_i32 v3, 31, v2
	v_dual_add_nc_u32 v18, s11, v4 :: v_dual_lshlrev_b32 v44, 4, v4
	s_delay_alu instid0(VALU_DEP_3) | instskip(NEXT) | instid1(VALU_DEP_4)
	v_mul_u64_e32 v[14:15], s[28:29], v[0:1]
	v_lshl_or_b32 v11, v7, 7, v11
	s_delay_alu instid0(VALU_DEP_4)
	v_mul_u64_e32 v[16:17], s[28:29], v[2:3]
	v_lshl_or_b32 v7, v10, 9, v9
	v_dual_ashrrev_i32 v9, 31, v8 :: v_dual_add_nc_u32 v20, 16, v18
	v_cmp_le_i32_e64 s1, v0, v18
	v_cmp_gt_i64_e64 s35, s[8:9], 0
	s_wait_kmcnt 0x0
	v_cmp_gt_i32_e32 vcc_lo, s10, v12
	v_cmp_gt_i32_e64 s0, s10, v8
	v_cmp_le_i32_e64 s25, s10, v8
	v_add_nc_u32_e32 v11, 0x1000, v11
	v_dual_ashrrev_i32 v13, 31, v12 :: v_dual_ashrrev_i32 v19, 31, v18
	v_lshl_add_u32 v45, v5, 7, 0x1000
	v_dual_ashrrev_i32 v21, 31, v20 :: v_dual_mov_b32 v1, 0
                                        ; implicit-def: $vgpr22_vgpr23
	s_or_b32 s44, s4, s5
	s_xor_b32 s4, s2, -1
	v_cmp_gt_i32_e64 s2, s10, v18
	v_cmp_le_i32_e64 s5, v2, v20
	s_and_b32 s35, s44, s35
	s_or_b32 s28, s3, s4
	v_cmp_le_i32_e64 s3, v0, v20
	v_cmp_gt_i32_e64 s4, s10, v20
	s_and_b32 s29, s1, s2
	v_cmp_le_i32_e64 s1, v2, v18
	s_lshl_b64 s[10:11], s[30:31], 4
	s_and_b32 s33, s3, s4
	s_and_b32 s34, s5, s4
	;; [unrolled: 1-line block ×3, first 2 shown]
	s_lshl_b64 s[2:3], s[22:23], 4
	s_lshl_b64 s[4:5], s[16:17], 4
	s_xor_b32 s22, vcc_lo, -1
	s_branch .LBB550_7
.LBB550_6:                              ;   in Loop: Header=BB550_7 Depth=1
	s_wait_xcnt 0x0
	s_or_b32 exec_lo, exec_lo, s16
	s_add_co_i32 s6, s6, 0x10000
	s_delay_alu instid0(SALU_CYCLE_1)
	s_cmp_lt_u32 s6, s24
	s_cbranch_scc0 .LBB550_42
.LBB550_7:                              ; =>This Loop Header: Depth=1
                                        ;     Child Loop BB550_10 Depth 2
	v_mov_b32_e32 v0, s6
	v_mov_b64_e32 v[40:41], 0
	s_and_not1_b32 vcc_lo, exec_lo, s35
	global_load_b64 v[4:5], v0, s[26:27] scale_offset
	s_cbranch_vccnz .LBB550_20
; %bb.8:                                ;   in Loop: Header=BB550_7 Depth=1
	s_lshl_b64 s[16:17], s[6:7], 3
	v_mov_b64_e32 v[24:25], 0
	s_add_nc_u64 s[30:31], s[12:13], s[16:17]
	s_add_nc_u64 s[16:17], s[18:19], s[16:17]
	s_clause 0x1
	global_load_b64 v[2:3], v1, s[30:31]
	global_load_b64 v[28:29], v1, s[16:17]
	v_mov_b64_e32 v[26:27], 0
	v_mov_b64_e32 v[34:35], 0
	;; [unrolled: 1-line block ×7, first 2 shown]
	s_wait_xcnt 0x0
	s_mov_b64 s[16:17], 0
	s_wait_loadcnt 0x1
	v_add_nc_u64_e32 v[2:3], s[4:5], v[2:3]
	s_wait_loadcnt 0x0
	v_add_nc_u64_e32 v[30:31], s[2:3], v[28:29]
	s_delay_alu instid0(VALU_DEP_2) | instskip(NEXT) | instid1(VALU_DEP_2)
	v_lshl_add_u64 v[28:29], v[8:9], 4, v[2:3]
	v_lshl_add_u64 v[30:31], v[12:13], 4, v[30:31]
	s_branch .LBB550_10
.LBB550_9:                              ;   in Loop: Header=BB550_10 Depth=2
	s_wait_xcnt 0x0
	s_or_b32 exec_lo, exec_lo, s23
	s_wait_dscnt 0x0
	s_barrier_signal -1
	s_barrier_wait -1
	ds_load_b128 v[46:49], v45
	ds_load_b128 v[50:53], v44
	ds_load_b128 v[54:57], v44 offset:256
	ds_load_b128 v[58:61], v45 offset:2048
	;; [unrolled: 1-line block ×10, first 2 shown]
	s_add_nc_u64 s[16:17], s[16:17], 8
	s_delay_alu instid0(SALU_CYCLE_1)
	v_cmp_gt_i64_e64 s23, s[8:9], s[16:17]
	s_and_b32 vcc_lo, exec_lo, s23
	s_wait_dscnt 0xa
	v_mul_f64_e32 v[2:3], v[48:49], v[52:53]
	v_mul_f64_e32 v[94:95], v[46:47], v[52:53]
	s_wait_dscnt 0x9
	v_mul_f64_e32 v[96:97], v[48:49], v[56:57]
	v_mul_f64_e32 v[98:99], v[46:47], v[56:57]
	s_wait_dscnt 0x8
	v_mul_f64_e32 v[100:101], v[60:61], v[52:53]
	v_mul_f64_e32 v[102:103], v[58:59], v[52:53]
	v_mul_f64_e32 v[52:53], v[60:61], v[56:57]
	v_mul_f64_e32 v[104:105], v[58:59], v[56:57]
	s_wait_dscnt 0x6
	v_mul_f64_e32 v[106:107], v[64:65], v[68:69]
	v_mul_f64_e32 v[108:109], v[62:63], v[68:69]
	s_wait_dscnt 0x5
	v_mul_f64_e32 v[110:111], v[64:65], v[72:73]
	v_mul_f64_e32 v[112:113], v[62:63], v[72:73]
	s_wait_dscnt 0x4
	v_mul_f64_e32 v[114:115], v[76:77], v[68:69]
	v_mul_f64_e32 v[68:69], v[74:75], v[68:69]
	v_mul_f64_e32 v[116:117], v[76:77], v[72:73]
	v_mul_f64_e32 v[72:73], v[74:75], v[72:73]
	;; [unrolled: 11-line block ×3, first 2 shown]
	v_fma_f64 v[2:3], v[46:47], v[50:51], -v[2:3]
	v_fmac_f64_e32 v[94:95], v[48:49], v[50:51]
	v_fma_f64 v[96:97], v[46:47], v[54:55], -v[96:97]
	v_fmac_f64_e32 v[98:99], v[48:49], v[54:55]
	v_fma_f64 v[100:101], v[58:59], v[50:51], -v[100:101]
	v_fmac_f64_e32 v[102:103], v[60:61], v[50:51]
	v_fma_f64 v[118:119], v[58:59], v[54:55], -v[52:53]
	v_fmac_f64_e32 v[104:105], v[60:61], v[54:55]
	v_fma_f64 v[106:107], v[62:63], v[66:67], -v[106:107]
	v_fmac_f64_e32 v[108:109], v[64:65], v[66:67]
	v_fma_f64 v[62:63], v[62:63], v[70:71], -v[110:111]
	v_fmac_f64_e32 v[112:113], v[64:65], v[70:71]
	v_fma_f64 v[64:65], v[74:75], v[66:67], -v[114:115]
	v_fmac_f64_e32 v[68:69], v[76:77], v[66:67]
	v_fma_f64 v[66:67], v[74:75], v[70:71], -v[116:117]
	v_fmac_f64_e32 v[72:73], v[76:77], v[70:71]
	ds_load_b128 v[46:49], v45 offset:48
	ds_load_b128 v[50:53], v45 offset:2096
	ds_load_b128 v[54:57], v44 offset:1536
	ds_load_b128 v[58:61], v44 offset:1792
	v_fma_f64 v[120:121], v[78:79], v[82:83], -v[120:121]
	v_fmac_f64_e32 v[122:123], v[80:81], v[82:83]
	v_fma_f64 v[78:79], v[78:79], v[86:87], -v[124:125]
	v_fmac_f64_e32 v[126:127], v[80:81], v[86:87]
	;; [unrolled: 2-line block ×4, first 2 shown]
	v_add_f64_e32 v[2:3], v[40:41], v[2:3]
	v_add_f64_e32 v[70:71], v[94:95], v[42:43]
	;; [unrolled: 1-line block ×8, first 2 shown]
	s_wait_dscnt 0x1
	v_mul_f64_e32 v[102:103], v[48:49], v[56:57]
	v_mul_f64_e32 v[104:105], v[46:47], v[56:57]
	s_wait_dscnt 0x0
	v_mul_f64_e32 v[110:111], v[48:49], v[60:61]
	v_mul_f64_e32 v[114:115], v[46:47], v[60:61]
	v_mul_f64_e32 v[116:117], v[52:53], v[56:57]
	v_mul_f64_e32 v[118:119], v[50:51], v[56:57]
	v_mul_f64_e32 v[56:57], v[52:53], v[60:61]
	v_mul_f64_e32 v[132:133], v[50:51], v[60:61]
	ds_load_b128 v[24:27], v45 offset:64
	ds_load_b128 v[32:35], v44 offset:2048
	;; [unrolled: 1-line block ×4, first 2 shown]
	v_add_f64_e32 v[2:3], v[2:3], v[106:107]
	v_add_f64_e32 v[86:87], v[108:109], v[70:71]
	;; [unrolled: 1-line block ×8, first 2 shown]
	s_wait_dscnt 0x2
	v_mul_f64_e32 v[100:101], v[26:27], v[34:35]
	v_mul_f64_e32 v[106:107], v[24:25], v[34:35]
	s_wait_dscnt 0x1
	v_mul_f64_e32 v[108:109], v[26:27], v[38:39]
	v_mul_f64_e32 v[112:113], v[24:25], v[38:39]
	;; [unrolled: 3-line block ×3, first 2 shown]
	v_mul_f64_e32 v[34:35], v[42:43], v[38:39]
	v_mul_f64_e32 v[130:131], v[40:41], v[38:39]
	v_fma_f64 v[38:39], v[46:47], v[54:55], -v[102:103]
	v_fmac_f64_e32 v[104:105], v[48:49], v[54:55]
	v_fma_f64 v[102:103], v[46:47], v[58:59], -v[110:111]
	v_fmac_f64_e32 v[114:115], v[48:49], v[58:59]
	;; [unrolled: 2-line block ×4, first 2 shown]
	ds_load_b128 v[60:63], v45 offset:80
	ds_load_b128 v[64:67], v45 offset:2128
	;; [unrolled: 1-line block ×4, first 2 shown]
	v_add_f64_e32 v[2:3], v[2:3], v[120:121]
	v_add_f64_e32 v[58:59], v[122:123], v[86:87]
	;; [unrolled: 1-line block ×8, first 2 shown]
	v_fma_f64 v[100:101], v[24:25], v[32:33], -v[100:101]
	v_fmac_f64_e32 v[106:107], v[26:27], v[32:33]
	v_fma_f64 v[108:109], v[24:25], v[36:37], -v[108:109]
	s_wait_dscnt 0x1
	v_mul_f64_e32 v[92:93], v[62:63], v[70:71]
	v_mul_f64_e32 v[94:95], v[60:61], v[70:71]
	s_wait_dscnt 0x0
	v_mul_f64_e32 v[96:97], v[62:63], v[74:75]
	v_mul_f64_e32 v[98:99], v[60:61], v[74:75]
	;; [unrolled: 1-line block ×6, first 2 shown]
	v_fmac_f64_e32 v[112:113], v[26:27], v[36:37]
	v_fma_f64 v[124:125], v[40:41], v[32:33], -v[124:125]
	v_fmac_f64_e32 v[128:129], v[42:43], v[32:33]
	v_fma_f64 v[126:127], v[40:41], v[36:37], -v[34:35]
	v_fmac_f64_e32 v[130:131], v[42:43], v[36:37]
	ds_load_b128 v[46:49], v45 offset:96
	ds_load_b128 v[50:53], v44 offset:3072
	;; [unrolled: 1-line block ×4, first 2 shown]
	v_add_f64_e32 v[2:3], v[2:3], v[38:39]
	v_add_f64_e32 v[58:59], v[104:105], v[58:59]
	;; [unrolled: 1-line block ×8, first 2 shown]
	ds_load_b128 v[24:27], v45 offset:112
	ds_load_b128 v[32:35], v45 offset:2160
	;; [unrolled: 1-line block ×4, first 2 shown]
	s_wait_dscnt 0x0
	v_mul_f64_e32 v[102:103], v[48:49], v[52:53]
	v_mul_f64_e32 v[104:105], v[46:47], v[52:53]
	;; [unrolled: 1-line block ×8, first 2 shown]
	v_fma_f64 v[92:93], v[60:61], v[68:69], -v[92:93]
	v_fmac_f64_e32 v[94:95], v[62:63], v[68:69]
	v_fma_f64 v[60:61], v[60:61], v[72:73], -v[96:97]
	v_fmac_f64_e32 v[98:99], v[62:63], v[72:73]
	;; [unrolled: 2-line block ×4, first 2 shown]
	s_barrier_signal -1
	s_barrier_wait -1
	v_mul_f64_e32 v[96:97], v[24:25], v[42:43]
	v_add_f64_e32 v[2:3], v[2:3], v[100:101]
	v_add_f64_e32 v[58:59], v[106:107], v[58:59]
	;; [unrolled: 1-line block ×8, first 2 shown]
	v_mul_f64_e32 v[86:87], v[26:27], v[38:39]
	v_mul_f64_e32 v[88:89], v[24:25], v[38:39]
	;; [unrolled: 1-line block ×7, first 2 shown]
	v_fma_f64 v[42:43], v[46:47], v[50:51], -v[102:103]
	v_fmac_f64_e32 v[104:105], v[48:49], v[50:51]
	v_fma_f64 v[46:47], v[46:47], v[54:55], -v[110:111]
	v_fmac_f64_e32 v[114:115], v[48:49], v[54:55]
	;; [unrolled: 2-line block ×4, first 2 shown]
	v_fmac_f64_e32 v[96:97], v[26:27], v[40:41]
	v_add_f64_e32 v[2:3], v[2:3], v[92:93]
	v_add_f64_e32 v[54:55], v[94:95], v[58:59]
	;; [unrolled: 1-line block ×8, first 2 shown]
	v_fma_f64 v[70:71], v[24:25], v[36:37], -v[86:87]
	v_fmac_f64_e32 v[88:89], v[26:27], v[36:37]
	v_fma_f64 v[24:25], v[24:25], v[40:41], -v[90:91]
	v_fma_f64 v[26:27], v[32:33], v[36:37], -v[100:101]
	v_fmac_f64_e32 v[106:107], v[34:35], v[36:37]
	v_fma_f64 v[72:73], v[32:33], v[40:41], -v[38:39]
	v_fmac_f64_e32 v[108:109], v[34:35], v[40:41]
	v_add_f64_e32 v[2:3], v[2:3], v[42:43]
	v_add_f64_e32 v[32:33], v[104:105], v[54:55]
	;; [unrolled: 1-line block ×16, first 2 shown]
	s_cbranch_vccz .LBB550_21
.LBB550_10:                             ;   Parent Loop BB550_7 Depth=1
                                        ; =>  This Inner Loop Header: Depth=2
	s_mov_b32 s23, 0
	s_mov_b32 s31, s25
	s_and_saveexec_b32 s30, s0
	s_cbranch_execnz .LBB550_18
; %bb.11:                               ;   in Loop: Header=BB550_10 Depth=2
	s_or_b32 exec_lo, exec_lo, s30
	s_and_saveexec_b32 s30, s31
	s_delay_alu instid0(SALU_CYCLE_1)
	s_xor_b32 s30, exec_lo, s30
	s_cbranch_execnz .LBB550_19
.LBB550_12:                             ;   in Loop: Header=BB550_10 Depth=2
	s_or_b32 exec_lo, exec_lo, s30
	s_and_saveexec_b32 s30, s23
	s_cbranch_execz .LBB550_14
.LBB550_13:                             ;   in Loop: Header=BB550_10 Depth=2
	v_mul_u64_e32 v[2:3], s[14:15], v[22:23]
	s_delay_alu instid0(VALU_DEP_1)
	v_lshl_add_u64 v[2:3], v[2:3], 4, v[28:29]
	flat_load_b128 v[46:49], v[2:3]
	s_wait_loadcnt_dscnt 0x0
	ds_store_2addr_b64 v7, v[46:47], v[48:49] offset1:1
.LBB550_14:                             ;   in Loop: Header=BB550_10 Depth=2
	s_wait_xcnt 0x0
	s_or_b32 exec_lo, exec_lo, s30
	v_add_nc_u32_e32 v0, s16, v6
	s_delay_alu instid0(VALU_DEP_1) | instskip(SKIP_1) | instid1(SALU_CYCLE_1)
	v_cmp_le_u64_e32 vcc_lo, s[8:9], v[0:1]
	s_or_b32 s23, vcc_lo, s22
	s_and_saveexec_b32 s30, s23
	s_delay_alu instid0(SALU_CYCLE_1)
	s_xor_b32 s23, exec_lo, s30
; %bb.15:                               ;   in Loop: Header=BB550_10 Depth=2
	v_dual_mov_b32 v0, v1 :: v_dual_mov_b32 v2, v1
	v_mov_b32_e32 v3, v1
	ds_store_b128 v11, v[0:3]
; %bb.16:                               ;   in Loop: Header=BB550_10 Depth=2
	s_and_not1_saveexec_b32 s23, s23
	s_cbranch_execz .LBB550_9
; %bb.17:                               ;   in Loop: Header=BB550_10 Depth=2
	v_mul_u64_e32 v[2:3], s[20:21], v[0:1]
	s_delay_alu instid0(VALU_DEP_1)
	v_lshl_add_u64 v[2:3], v[2:3], 4, v[30:31]
	flat_load_b128 v[46:49], v[2:3]
	s_wait_loadcnt_dscnt 0x0
	ds_store_2addr_b64 v11, v[46:47], v[48:49] offset1:1
	s_branch .LBB550_9
.LBB550_18:                             ;   in Loop: Header=BB550_10 Depth=2
	v_add_nc_u32_e32 v0, s16, v10
	s_and_not1_b32 s31, s25, exec_lo
	s_mov_b32 s23, exec_lo
	s_delay_alu instid0(VALU_DEP_1) | instskip(SKIP_2) | instid1(SALU_CYCLE_1)
	v_cmp_le_u64_e32 vcc_lo, s[8:9], v[0:1]
	v_mov_b64_e32 v[22:23], v[0:1]
	s_and_b32 s44, vcc_lo, exec_lo
	s_or_b32 s31, s31, s44
	s_or_b32 exec_lo, exec_lo, s30
	s_and_saveexec_b32 s30, s31
	s_delay_alu instid0(SALU_CYCLE_1)
	s_xor_b32 s30, exec_lo, s30
	s_cbranch_execz .LBB550_12
.LBB550_19:                             ;   in Loop: Header=BB550_10 Depth=2
	v_dual_mov_b32 v0, v1 :: v_dual_mov_b32 v2, v1
	v_mov_b32_e32 v3, v1
	s_and_not1_b32 s23, s23, exec_lo
	ds_store_b128 v7, v[0:3]
	s_or_b32 exec_lo, exec_lo, s30
	s_and_saveexec_b32 s30, s23
	s_cbranch_execnz .LBB550_13
	s_branch .LBB550_14
.LBB550_20:                             ;   in Loop: Header=BB550_7 Depth=1
	v_mov_b64_e32 v[42:43], 0
	v_mov_b64_e32 v[36:37], 0
	;; [unrolled: 1-line block ×7, first 2 shown]
.LBB550_21:                             ;   in Loop: Header=BB550_7 Depth=1
	s_wait_loadcnt 0x0
	v_add_nc_u64_e32 v[28:29], s[10:11], v[4:5]
	s_delay_alu instid0(VALU_DEP_1)
	v_lshl_add_u64 v[30:31], v[14:15], 4, v[28:29]
	s_wait_xcnt 0x0
	s_and_saveexec_b32 s16, s29
	s_cbranch_execz .LBB550_26
; %bb.22:                               ;   in Loop: Header=BB550_7 Depth=1
	v_mul_f64_e32 v[2:3], s[42:43], v[42:43]
	v_mul_f64_e32 v[4:5], s[40:41], v[42:43]
	s_and_b32 vcc_lo, exec_lo, s28
	s_mov_b32 s17, -1
	s_delay_alu instid0(VALU_DEP_2) | instskip(NEXT) | instid1(VALU_DEP_2)
	v_fma_f64 v[2:3], s[40:41], v[40:41], -v[2:3]
	v_fmac_f64_e32 v[4:5], s[42:43], v[40:41]
	v_lshl_add_u64 v[40:41], v[18:19], 4, v[30:31]
	s_cbranch_vccz .LBB550_24
; %bb.23:                               ;   in Loop: Header=BB550_7 Depth=1
	flat_load_b128 v[46:49], v[40:41]
	s_mov_b32 s17, 0
	s_wait_loadcnt_dscnt 0x0
	v_mul_f64_e32 v[42:43], s[38:39], v[48:49]
	v_mul_f64_e32 v[48:49], s[36:37], v[48:49]
	s_delay_alu instid0(VALU_DEP_2) | instskip(NEXT) | instid1(VALU_DEP_2)
	v_fma_f64 v[42:43], s[36:37], v[46:47], -v[42:43]
	v_fmac_f64_e32 v[48:49], s[38:39], v[46:47]
	s_delay_alu instid0(VALU_DEP_2) | instskip(NEXT) | instid1(VALU_DEP_2)
	v_add_f64_e32 v[46:47], v[2:3], v[42:43]
	v_add_f64_e32 v[48:49], v[4:5], v[48:49]
	flat_store_b128 v[40:41], v[46:49]
.LBB550_24:                             ;   in Loop: Header=BB550_7 Depth=1
	s_and_not1_b32 vcc_lo, exec_lo, s17
	s_cbranch_vccnz .LBB550_26
; %bb.25:                               ;   in Loop: Header=BB550_7 Depth=1
	flat_store_b128 v[40:41], v[2:5]
.LBB550_26:                             ;   in Loop: Header=BB550_7 Depth=1
	s_wait_xcnt 0x0
	s_or_b32 exec_lo, exec_lo, s16
	s_and_saveexec_b32 s16, s33
	s_cbranch_execz .LBB550_31
; %bb.27:                               ;   in Loop: Header=BB550_7 Depth=1
	v_mul_f64_e32 v[2:3], s[42:43], v[38:39]
	v_mul_f64_e32 v[4:5], s[40:41], v[38:39]
	v_lshl_add_u64 v[30:31], v[20:21], 4, v[30:31]
	s_and_not1_b32 vcc_lo, exec_lo, s28
	s_mov_b32 s17, -1
	s_delay_alu instid0(VALU_DEP_3) | instskip(NEXT) | instid1(VALU_DEP_3)
	v_fma_f64 v[2:3], s[40:41], v[36:37], -v[2:3]
	v_fmac_f64_e32 v[4:5], s[42:43], v[36:37]
	s_cbranch_vccnz .LBB550_29
; %bb.28:                               ;   in Loop: Header=BB550_7 Depth=1
	flat_load_b128 v[36:39], v[30:31]
	s_mov_b32 s17, 0
	s_wait_loadcnt_dscnt 0x0
	v_mul_f64_e32 v[40:41], s[38:39], v[38:39]
	v_mul_f64_e32 v[38:39], s[36:37], v[38:39]
	s_delay_alu instid0(VALU_DEP_2) | instskip(NEXT) | instid1(VALU_DEP_2)
	v_fma_f64 v[40:41], s[36:37], v[36:37], -v[40:41]
	v_fmac_f64_e32 v[38:39], s[38:39], v[36:37]
	s_delay_alu instid0(VALU_DEP_2) | instskip(NEXT) | instid1(VALU_DEP_2)
	v_add_f64_e32 v[36:37], v[2:3], v[40:41]
	v_add_f64_e32 v[38:39], v[4:5], v[38:39]
	flat_store_b128 v[30:31], v[36:39]
.LBB550_29:                             ;   in Loop: Header=BB550_7 Depth=1
	s_and_not1_b32 vcc_lo, exec_lo, s17
	s_cbranch_vccnz .LBB550_31
; %bb.30:                               ;   in Loop: Header=BB550_7 Depth=1
	flat_store_b128 v[30:31], v[2:5]
.LBB550_31:                             ;   in Loop: Header=BB550_7 Depth=1
	s_wait_xcnt 0x0
	s_or_b32 exec_lo, exec_lo, s16
	v_lshl_add_u64 v[28:29], v[16:17], 4, v[28:29]
	s_and_saveexec_b32 s16, s1
	s_cbranch_execz .LBB550_36
; %bb.32:                               ;   in Loop: Header=BB550_7 Depth=1
	v_mul_f64_e32 v[2:3], s[42:43], v[34:35]
	v_mul_f64_e32 v[4:5], s[40:41], v[34:35]
	v_lshl_add_u64 v[30:31], v[18:19], 4, v[28:29]
	s_and_not1_b32 vcc_lo, exec_lo, s28
	s_mov_b32 s17, -1
	s_delay_alu instid0(VALU_DEP_3) | instskip(NEXT) | instid1(VALU_DEP_3)
	v_fma_f64 v[2:3], s[40:41], v[32:33], -v[2:3]
	v_fmac_f64_e32 v[4:5], s[42:43], v[32:33]
	s_cbranch_vccnz .LBB550_34
; %bb.33:                               ;   in Loop: Header=BB550_7 Depth=1
	flat_load_b128 v[32:35], v[30:31]
	s_mov_b32 s17, 0
	s_wait_loadcnt_dscnt 0x0
	v_mul_f64_e32 v[36:37], s[38:39], v[34:35]
	v_mul_f64_e32 v[34:35], s[36:37], v[34:35]
	s_delay_alu instid0(VALU_DEP_2) | instskip(NEXT) | instid1(VALU_DEP_2)
	v_fma_f64 v[36:37], s[36:37], v[32:33], -v[36:37]
	v_fmac_f64_e32 v[34:35], s[38:39], v[32:33]
	s_delay_alu instid0(VALU_DEP_2) | instskip(NEXT) | instid1(VALU_DEP_2)
	v_add_f64_e32 v[32:33], v[2:3], v[36:37]
	v_add_f64_e32 v[34:35], v[4:5], v[34:35]
	flat_store_b128 v[30:31], v[32:35]
.LBB550_34:                             ;   in Loop: Header=BB550_7 Depth=1
	s_and_not1_b32 vcc_lo, exec_lo, s17
	s_cbranch_vccnz .LBB550_36
; %bb.35:                               ;   in Loop: Header=BB550_7 Depth=1
	flat_store_b128 v[30:31], v[2:5]
.LBB550_36:                             ;   in Loop: Header=BB550_7 Depth=1
	s_wait_xcnt 0x0
	s_or_b32 exec_lo, exec_lo, s16
	s_and_saveexec_b32 s16, s34
	s_cbranch_execz .LBB550_6
; %bb.37:                               ;   in Loop: Header=BB550_7 Depth=1
	s_delay_alu instid0(VALU_DEP_4) | instskip(SKIP_4) | instid1(VALU_DEP_3)
	v_mul_f64_e32 v[2:3], s[42:43], v[24:25]
	v_mul_f64_e32 v[4:5], s[40:41], v[24:25]
	v_lshl_add_u64 v[24:25], v[20:21], 4, v[28:29]
	s_and_not1_b32 vcc_lo, exec_lo, s28
	s_mov_b32 s17, -1
	v_fma_f64 v[2:3], s[40:41], v[26:27], -v[2:3]
	s_delay_alu instid0(VALU_DEP_3)
	v_fmac_f64_e32 v[4:5], s[42:43], v[26:27]
	s_cbranch_vccnz .LBB550_39
; %bb.38:                               ;   in Loop: Header=BB550_7 Depth=1
	flat_load_b128 v[26:29], v[24:25]
	s_mov_b32 s17, 0
	s_wait_loadcnt_dscnt 0x0
	v_mul_f64_e32 v[30:31], s[38:39], v[28:29]
	v_mul_f64_e32 v[28:29], s[36:37], v[28:29]
	s_delay_alu instid0(VALU_DEP_2) | instskip(NEXT) | instid1(VALU_DEP_2)
	v_fma_f64 v[30:31], s[36:37], v[26:27], -v[30:31]
	v_fmac_f64_e32 v[28:29], s[38:39], v[26:27]
	s_delay_alu instid0(VALU_DEP_2) | instskip(NEXT) | instid1(VALU_DEP_2)
	v_add_f64_e32 v[26:27], v[2:3], v[30:31]
	v_add_f64_e32 v[28:29], v[4:5], v[28:29]
	flat_store_b128 v[24:25], v[26:29]
.LBB550_39:                             ;   in Loop: Header=BB550_7 Depth=1
	s_and_not1_b32 vcc_lo, exec_lo, s17
	s_cbranch_vccnz .LBB550_6
; %bb.40:                               ;   in Loop: Header=BB550_7 Depth=1
	flat_store_b128 v[24:25], v[2:5]
	s_branch .LBB550_6
.LBB550_41:
.LBB550_42:
	s_sendmsg sendmsg(MSG_DEALLOC_VGPRS)
	s_endpgm
	.section	.rodata,"a",@progbits
	.p2align	6, 0x0
	.amdhsa_kernel _ZL29rocblas_internal_gemmt_kernelIlLi16ELi32ELi8ELc78ELc84ELc76ELb0ELb0E19rocblas_complex_numIdEPKS1_PKS3_PKPS1_EviT_T9_T10_S9_lSB_S9_lSA_T11_S9_li
		.amdhsa_group_segment_fixed_size 8192
		.amdhsa_private_segment_fixed_size 0
		.amdhsa_kernarg_size 108
		.amdhsa_user_sgpr_count 2
		.amdhsa_user_sgpr_dispatch_ptr 0
		.amdhsa_user_sgpr_queue_ptr 0
		.amdhsa_user_sgpr_kernarg_segment_ptr 1
		.amdhsa_user_sgpr_dispatch_id 0
		.amdhsa_user_sgpr_kernarg_preload_length 0
		.amdhsa_user_sgpr_kernarg_preload_offset 0
		.amdhsa_user_sgpr_private_segment_size 0
		.amdhsa_wavefront_size32 1
		.amdhsa_uses_dynamic_stack 0
		.amdhsa_enable_private_segment 0
		.amdhsa_system_sgpr_workgroup_id_x 1
		.amdhsa_system_sgpr_workgroup_id_y 1
		.amdhsa_system_sgpr_workgroup_id_z 1
		.amdhsa_system_sgpr_workgroup_info 0
		.amdhsa_system_vgpr_workitem_id 1
		.amdhsa_next_free_vgpr 134
		.amdhsa_next_free_sgpr 45
		.amdhsa_named_barrier_count 0
		.amdhsa_reserve_vcc 1
		.amdhsa_float_round_mode_32 0
		.amdhsa_float_round_mode_16_64 0
		.amdhsa_float_denorm_mode_32 3
		.amdhsa_float_denorm_mode_16_64 3
		.amdhsa_fp16_overflow 0
		.amdhsa_memory_ordered 1
		.amdhsa_forward_progress 1
		.amdhsa_inst_pref_size 24
		.amdhsa_round_robin_scheduling 0
		.amdhsa_exception_fp_ieee_invalid_op 0
		.amdhsa_exception_fp_denorm_src 0
		.amdhsa_exception_fp_ieee_div_zero 0
		.amdhsa_exception_fp_ieee_overflow 0
		.amdhsa_exception_fp_ieee_underflow 0
		.amdhsa_exception_fp_ieee_inexact 0
		.amdhsa_exception_int_div_zero 0
	.end_amdhsa_kernel
	.section	.text._ZL29rocblas_internal_gemmt_kernelIlLi16ELi32ELi8ELc78ELc84ELc76ELb0ELb0E19rocblas_complex_numIdEPKS1_PKS3_PKPS1_EviT_T9_T10_S9_lSB_S9_lSA_T11_S9_li,"axG",@progbits,_ZL29rocblas_internal_gemmt_kernelIlLi16ELi32ELi8ELc78ELc84ELc76ELb0ELb0E19rocblas_complex_numIdEPKS1_PKS3_PKPS1_EviT_T9_T10_S9_lSB_S9_lSA_T11_S9_li,comdat
.Lfunc_end550:
	.size	_ZL29rocblas_internal_gemmt_kernelIlLi16ELi32ELi8ELc78ELc84ELc76ELb0ELb0E19rocblas_complex_numIdEPKS1_PKS3_PKPS1_EviT_T9_T10_S9_lSB_S9_lSA_T11_S9_li, .Lfunc_end550-_ZL29rocblas_internal_gemmt_kernelIlLi16ELi32ELi8ELc78ELc84ELc76ELb0ELb0E19rocblas_complex_numIdEPKS1_PKS3_PKPS1_EviT_T9_T10_S9_lSB_S9_lSA_T11_S9_li
                                        ; -- End function
	.set _ZL29rocblas_internal_gemmt_kernelIlLi16ELi32ELi8ELc78ELc84ELc76ELb0ELb0E19rocblas_complex_numIdEPKS1_PKS3_PKPS1_EviT_T9_T10_S9_lSB_S9_lSA_T11_S9_li.num_vgpr, 134
	.set _ZL29rocblas_internal_gemmt_kernelIlLi16ELi32ELi8ELc78ELc84ELc76ELb0ELb0E19rocblas_complex_numIdEPKS1_PKS3_PKPS1_EviT_T9_T10_S9_lSB_S9_lSA_T11_S9_li.num_agpr, 0
	.set _ZL29rocblas_internal_gemmt_kernelIlLi16ELi32ELi8ELc78ELc84ELc76ELb0ELb0E19rocblas_complex_numIdEPKS1_PKS3_PKPS1_EviT_T9_T10_S9_lSB_S9_lSA_T11_S9_li.numbered_sgpr, 45
	.set _ZL29rocblas_internal_gemmt_kernelIlLi16ELi32ELi8ELc78ELc84ELc76ELb0ELb0E19rocblas_complex_numIdEPKS1_PKS3_PKPS1_EviT_T9_T10_S9_lSB_S9_lSA_T11_S9_li.num_named_barrier, 0
	.set _ZL29rocblas_internal_gemmt_kernelIlLi16ELi32ELi8ELc78ELc84ELc76ELb0ELb0E19rocblas_complex_numIdEPKS1_PKS3_PKPS1_EviT_T9_T10_S9_lSB_S9_lSA_T11_S9_li.private_seg_size, 0
	.set _ZL29rocblas_internal_gemmt_kernelIlLi16ELi32ELi8ELc78ELc84ELc76ELb0ELb0E19rocblas_complex_numIdEPKS1_PKS3_PKPS1_EviT_T9_T10_S9_lSB_S9_lSA_T11_S9_li.uses_vcc, 1
	.set _ZL29rocblas_internal_gemmt_kernelIlLi16ELi32ELi8ELc78ELc84ELc76ELb0ELb0E19rocblas_complex_numIdEPKS1_PKS3_PKPS1_EviT_T9_T10_S9_lSB_S9_lSA_T11_S9_li.uses_flat_scratch, 0
	.set _ZL29rocblas_internal_gemmt_kernelIlLi16ELi32ELi8ELc78ELc84ELc76ELb0ELb0E19rocblas_complex_numIdEPKS1_PKS3_PKPS1_EviT_T9_T10_S9_lSB_S9_lSA_T11_S9_li.has_dyn_sized_stack, 0
	.set _ZL29rocblas_internal_gemmt_kernelIlLi16ELi32ELi8ELc78ELc84ELc76ELb0ELb0E19rocblas_complex_numIdEPKS1_PKS3_PKPS1_EviT_T9_T10_S9_lSB_S9_lSA_T11_S9_li.has_recursion, 0
	.set _ZL29rocblas_internal_gemmt_kernelIlLi16ELi32ELi8ELc78ELc84ELc76ELb0ELb0E19rocblas_complex_numIdEPKS1_PKS3_PKPS1_EviT_T9_T10_S9_lSB_S9_lSA_T11_S9_li.has_indirect_call, 0
	.section	.AMDGPU.csdata,"",@progbits
; Kernel info:
; codeLenInByte = 3040
; TotalNumSgprs: 47
; NumVgprs: 134
; ScratchSize: 0
; MemoryBound: 0
; FloatMode: 240
; IeeeMode: 1
; LDSByteSize: 8192 bytes/workgroup (compile time only)
; SGPRBlocks: 0
; VGPRBlocks: 8
; NumSGPRsForWavesPerEU: 47
; NumVGPRsForWavesPerEU: 134
; NamedBarCnt: 0
; Occupancy: 7
; WaveLimiterHint : 1
; COMPUTE_PGM_RSRC2:SCRATCH_EN: 0
; COMPUTE_PGM_RSRC2:USER_SGPR: 2
; COMPUTE_PGM_RSRC2:TRAP_HANDLER: 0
; COMPUTE_PGM_RSRC2:TGID_X_EN: 1
; COMPUTE_PGM_RSRC2:TGID_Y_EN: 1
; COMPUTE_PGM_RSRC2:TGID_Z_EN: 1
; COMPUTE_PGM_RSRC2:TIDIG_COMP_CNT: 1
	.section	.text._ZL29rocblas_internal_gemmt_kernelIlLi16ELi32ELi8ELc78ELc67ELc76ELb0ELb1E19rocblas_complex_numIdEPKS1_PKS3_PKPS1_EviT_T9_T10_S9_lSB_S9_lSA_T11_S9_li,"axG",@progbits,_ZL29rocblas_internal_gemmt_kernelIlLi16ELi32ELi8ELc78ELc67ELc76ELb0ELb1E19rocblas_complex_numIdEPKS1_PKS3_PKPS1_EviT_T9_T10_S9_lSB_S9_lSA_T11_S9_li,comdat
	.globl	_ZL29rocblas_internal_gemmt_kernelIlLi16ELi32ELi8ELc78ELc67ELc76ELb0ELb1E19rocblas_complex_numIdEPKS1_PKS3_PKPS1_EviT_T9_T10_S9_lSB_S9_lSA_T11_S9_li ; -- Begin function _ZL29rocblas_internal_gemmt_kernelIlLi16ELi32ELi8ELc78ELc67ELc76ELb0ELb1E19rocblas_complex_numIdEPKS1_PKS3_PKPS1_EviT_T9_T10_S9_lSB_S9_lSA_T11_S9_li
	.p2align	8
	.type	_ZL29rocblas_internal_gemmt_kernelIlLi16ELi32ELi8ELc78ELc67ELc76ELb0ELb1E19rocblas_complex_numIdEPKS1_PKS3_PKPS1_EviT_T9_T10_S9_lSB_S9_lSA_T11_S9_li,@function
_ZL29rocblas_internal_gemmt_kernelIlLi16ELi32ELi8ELc78ELc67ELc76ELb0ELb1E19rocblas_complex_numIdEPKS1_PKS3_PKPS1_EviT_T9_T10_S9_lSB_S9_lSA_T11_S9_li: ; @_ZL29rocblas_internal_gemmt_kernelIlLi16ELi32ELi8ELc78ELc67ELc76ELb0ELb1E19rocblas_complex_numIdEPKS1_PKS3_PKPS1_EviT_T9_T10_S9_lSB_S9_lSA_T11_S9_li
; %bb.0:
	s_clause 0x1
	s_load_b256 s[24:31], s[0:1], 0x48
	s_load_b512 s[8:23], s[0:1], 0x8
	s_wait_kmcnt 0x0
	s_load_b128 s[36:39], s[24:25], 0x0
	s_load_b128 s[40:43], s[10:11], 0x0
	s_wait_kmcnt 0x0
	v_cmp_eq_f64_e64 s3, s[36:37], 1.0
	v_cmp_eq_f64_e64 s2, s[38:39], 0
	s_and_b32 s3, s3, s2
	s_delay_alu instid0(SALU_CYCLE_1)
	s_and_not1_b32 vcc_lo, exec_lo, s3
	s_mov_b32 s3, -1
	s_cbranch_vccnz .LBB551_3
; %bb.1:
	s_cmp_lg_u64 s[8:9], 0
	s_cbranch_scc0 .LBB551_39
; %bb.2:
	v_cmp_neq_f64_e64 s3, s[40:41], 0
	v_cmp_neq_f64_e64 s4, s[42:43], 0
	s_or_b32 s3, s3, s4
.LBB551_3:
	s_delay_alu instid0(SALU_CYCLE_1)
	s_and_b32 vcc_lo, exec_lo, s3
	s_cbranch_vccz .LBB551_40
; %bb.4:
	s_load_b32 s24, s[0:1], 0x68
	s_bfe_u32 s3, ttmp6, 0x40014
	s_lshr_b32 s4, ttmp7, 16
	s_add_co_i32 s3, s3, 1
	s_bfe_u32 s6, ttmp6, 0x40008
	s_mul_i32 s5, s4, s3
	s_getreg_b32 s3, hwreg(HW_REG_IB_STS2, 6, 4)
	s_add_co_i32 s6, s6, s5
	s_cmp_eq_u32 s3, 0
	s_mov_b32 s7, 0
	s_cselect_b32 s6, s4, s6
	s_wait_kmcnt 0x0
	s_cmp_ge_u32 s6, s24
	s_cbranch_scc1 .LBB551_40
; %bb.5:
	s_load_b32 s10, s[0:1], 0x0
	s_wait_xcnt 0x0
	s_bfe_u32 s1, ttmp6, 0x4000c
	s_bfe_u32 s25, ttmp6, 0x40010
	s_and_b32 s11, ttmp7, 0xffff
	s_add_co_i32 s1, s1, 1
	s_add_co_i32 s25, s25, 1
	v_and_b32_e32 v4, 0x3ff, v0
	v_bfe_u32 v5, v0, 10, 10
	s_and_b32 s0, ttmp6, 15
	s_bfe_u32 s33, ttmp6, 0x40004
	s_mul_i32 s1, ttmp9, s1
	s_mul_i32 s25, s11, s25
	s_add_co_i32 s0, s0, s1
	s_add_co_i32 s33, s33, s25
	s_cmp_eq_u32 s3, 0
	v_lshl_add_u32 v1, v5, 4, v4
	s_cselect_b32 s1, s11, s33
	s_cselect_b32 s0, ttmp9, s0
	s_lshl_b32 s1, s1, 5
	s_delay_alu instid0(VALU_DEP_1)
	v_dual_lshrrev_b32 v9, 3, v1 :: v_dual_bitop2_b32 v6, 7, v0 bitop3:0x40
	v_dual_lshrrev_b32 v10, 5, v1 :: v_dual_bitop2_b32 v7, 31, v1 bitop3:0x40
	s_lshl_b32 s11, s0, 5
	v_add_nc_u32_e32 v0, s1, v5
	v_cmp_neq_f64_e64 s4, s[40:41], 0
	v_cmp_neq_f64_e64 s5, s[42:43], 0
	v_or_b32_e32 v8, s11, v7
	v_cmp_neq_f64_e64 s3, s[36:37], 0
	v_dual_add_nc_u32 v2, 16, v0 :: v_dual_add_nc_u32 v12, s1, v9
	v_dual_ashrrev_i32 v1, 31, v0 :: v_dual_lshlrev_b32 v11, 4, v6
	s_delay_alu instid0(VALU_DEP_2) | instskip(SKIP_1) | instid1(VALU_DEP_3)
	v_dual_lshlrev_b32 v7, 4, v7 :: v_dual_ashrrev_i32 v3, 31, v2
	v_dual_add_nc_u32 v18, s11, v4 :: v_dual_lshlrev_b32 v46, 4, v4
	v_mul_u64_e32 v[14:15], s[28:29], v[0:1]
	s_delay_alu instid0(VALU_DEP_4) | instskip(NEXT) | instid1(VALU_DEP_4)
	v_lshl_or_b32 v1, v9, 7, v11
	v_mul_u64_e32 v[16:17], s[28:29], v[2:3]
	s_delay_alu instid0(VALU_DEP_4)
	v_dual_ashrrev_i32 v9, 31, v8 :: v_dual_add_nc_u32 v20, 16, v18
	v_cmp_le_i32_e32 vcc_lo, v0, v18
	v_cmp_gt_i64_e64 s44, s[8:9], 0
	s_wait_kmcnt 0x0
	v_cmp_gt_i32_e64 s0, s10, v8
	v_cmp_le_i32_e64 s25, s10, v8
	v_lshl_or_b32 v7, v10, 9, v7
	v_cmp_gt_i32_e64 s1, s10, v12
	v_add_nc_u32_e32 v11, 0x1000, v1
	v_dual_ashrrev_i32 v13, 31, v12 :: v_dual_ashrrev_i32 v19, 31, v18
	v_lshl_add_u32 v47, v5, 7, 0x1000
	v_dual_ashrrev_i32 v21, 31, v20 :: v_dual_mov_b32 v1, 0
                                        ; implicit-def: $vgpr22_vgpr23
	s_or_b32 s45, s4, s5
	s_xor_b32 s4, s2, -1
	v_cmp_gt_i32_e64 s2, s10, v18
	s_or_b32 s28, s3, s4
	v_cmp_le_i32_e64 s3, v0, v20
	v_cmp_gt_i32_e64 s4, s10, v20
	v_cmp_le_i32_e64 s5, v2, v20
	s_and_b32 s29, vcc_lo, s2
	v_cmp_le_i32_e32 vcc_lo, v2, v18
	s_and_b32 s44, s45, s44
	s_and_b32 s33, s3, s4
	;; [unrolled: 1-line block ×3, first 2 shown]
	s_lshl_b64 s[4:5], s[16:17], 4
	s_and_b32 s34, vcc_lo, s2
	s_lshl_b64 s[2:3], s[22:23], 4
	s_lshl_b64 s[10:11], s[30:31], 4
	s_branch .LBB551_7
.LBB551_6:                              ;   in Loop: Header=BB551_7 Depth=1
	s_wait_xcnt 0x0
	s_or_b32 exec_lo, exec_lo, s16
	s_add_co_i32 s6, s6, 0x10000
	s_delay_alu instid0(SALU_CYCLE_1)
	s_cmp_lt_u32 s6, s24
	s_cbranch_scc0 .LBB551_40
.LBB551_7:                              ; =>This Loop Header: Depth=1
                                        ;     Child Loop BB551_10 Depth 2
	v_mov_b32_e32 v0, s6
	v_mov_b64_e32 v[42:43], 0
	s_and_not1_b32 vcc_lo, exec_lo, s44
	global_load_b64 v[24:25], v0, s[26:27] scale_offset
	s_cbranch_vccnz .LBB551_18
; %bb.8:                                ;   in Loop: Header=BB551_7 Depth=1
	s_lshl_b64 s[16:17], s[6:7], 3
	v_mov_b64_e32 v[26:27], 0
	s_add_nc_u64 s[22:23], s[12:13], s[16:17]
	s_add_nc_u64 s[16:17], s[18:19], s[16:17]
	s_clause 0x1
	global_load_b64 v[2:3], v1, s[22:23]
	global_load_b64 v[4:5], v1, s[16:17]
	v_mov_b64_e32 v[28:29], 0
	v_mov_b64_e32 v[36:37], 0
	;; [unrolled: 1-line block ×7, first 2 shown]
	s_wait_xcnt 0x0
	s_mov_b64 s[16:17], 0
	s_wait_loadcnt 0x1
	v_add_nc_u64_e32 v[2:3], s[4:5], v[2:3]
	s_wait_loadcnt 0x0
	v_add_nc_u64_e32 v[4:5], s[2:3], v[4:5]
	s_delay_alu instid0(VALU_DEP_2) | instskip(NEXT) | instid1(VALU_DEP_2)
	v_lshl_add_u64 v[30:31], v[8:9], 4, v[2:3]
	v_lshl_add_u64 v[32:33], v[12:13], 4, v[4:5]
	s_branch .LBB551_10
.LBB551_9:                              ;   in Loop: Header=BB551_10 Depth=2
	s_wait_xcnt 0x0
	s_or_b32 exec_lo, exec_lo, s22
	ds_store_b128 v11, v[2:5]
	s_wait_dscnt 0x0
	s_barrier_signal -1
	s_barrier_wait -1
	ds_load_b128 v[2:5], v47
	ds_load_b128 v[48:51], v46
	ds_load_b128 v[52:55], v46 offset:256
	ds_load_b128 v[56:59], v47 offset:2048
	;; [unrolled: 1-line block ×10, first 2 shown]
	s_add_nc_u64 s[16:17], s[16:17], 8
	s_delay_alu instid0(SALU_CYCLE_1)
	v_cmp_gt_i64_e64 s22, s[8:9], s[16:17]
	s_and_b32 vcc_lo, exec_lo, s22
	s_wait_dscnt 0xa
	v_mul_f64_e32 v[92:93], v[4:5], v[50:51]
	v_mul_f64_e32 v[94:95], v[2:3], v[50:51]
	s_wait_dscnt 0x9
	v_mul_f64_e32 v[96:97], v[4:5], v[54:55]
	v_mul_f64_e32 v[98:99], v[2:3], v[54:55]
	s_wait_dscnt 0x8
	v_mul_f64_e32 v[100:101], v[58:59], v[50:51]
	v_mul_f64_e32 v[102:103], v[56:57], v[50:51]
	v_mul_f64_e32 v[50:51], v[58:59], v[54:55]
	v_mul_f64_e32 v[104:105], v[56:57], v[54:55]
	s_wait_dscnt 0x6
	v_mul_f64_e32 v[106:107], v[62:63], v[66:67]
	v_mul_f64_e32 v[108:109], v[60:61], v[66:67]
	s_wait_dscnt 0x5
	v_mul_f64_e32 v[110:111], v[62:63], v[70:71]
	v_mul_f64_e32 v[112:113], v[60:61], v[70:71]
	s_wait_dscnt 0x4
	v_mul_f64_e32 v[114:115], v[74:75], v[66:67]
	v_mul_f64_e32 v[66:67], v[72:73], v[66:67]
	v_mul_f64_e32 v[116:117], v[74:75], v[70:71]
	v_mul_f64_e32 v[70:71], v[72:73], v[70:71]
	;; [unrolled: 11-line block ×3, first 2 shown]
	v_fma_f64 v[92:93], v[2:3], v[48:49], -v[92:93]
	v_fmac_f64_e32 v[94:95], v[4:5], v[48:49]
	v_fma_f64 v[96:97], v[2:3], v[52:53], -v[96:97]
	v_fmac_f64_e32 v[98:99], v[4:5], v[52:53]
	;; [unrolled: 2-line block ×8, first 2 shown]
	ds_load_b128 v[2:5], v47 offset:48
	ds_load_b128 v[48:51], v47 offset:2096
	;; [unrolled: 1-line block ×4, first 2 shown]
	v_fma_f64 v[120:121], v[76:77], v[80:81], -v[120:121]
	v_fmac_f64_e32 v[122:123], v[78:79], v[80:81]
	v_fma_f64 v[76:77], v[76:77], v[84:85], -v[124:125]
	v_fmac_f64_e32 v[126:127], v[78:79], v[84:85]
	;; [unrolled: 2-line block ×4, first 2 shown]
	v_add_f64_e32 v[68:69], v[42:43], v[92:93]
	v_add_f64_e32 v[72:73], v[94:95], v[44:45]
	;; [unrolled: 1-line block ×8, first 2 shown]
	s_wait_dscnt 0x1
	v_mul_f64_e32 v[102:103], v[4:5], v[54:55]
	v_mul_f64_e32 v[104:105], v[2:3], v[54:55]
	s_wait_dscnt 0x0
	v_mul_f64_e32 v[110:111], v[4:5], v[58:59]
	v_mul_f64_e32 v[114:115], v[2:3], v[58:59]
	;; [unrolled: 1-line block ×6, first 2 shown]
	ds_load_b128 v[26:29], v47 offset:64
	ds_load_b128 v[34:37], v46 offset:2048
	;; [unrolled: 1-line block ×4, first 2 shown]
	v_add_f64_e32 v[84:85], v[68:69], v[106:107]
	v_add_f64_e32 v[88:89], v[108:109], v[72:73]
	;; [unrolled: 1-line block ×8, first 2 shown]
	s_wait_dscnt 0x2
	v_mul_f64_e32 v[100:101], v[28:29], v[36:37]
	v_mul_f64_e32 v[106:107], v[26:27], v[36:37]
	s_wait_dscnt 0x1
	v_mul_f64_e32 v[108:109], v[28:29], v[40:41]
	v_mul_f64_e32 v[112:113], v[26:27], v[40:41]
	;; [unrolled: 3-line block ×3, first 2 shown]
	v_mul_f64_e32 v[36:37], v[44:45], v[40:41]
	v_mul_f64_e32 v[130:131], v[42:43], v[40:41]
	v_fma_f64 v[40:41], v[2:3], v[52:53], -v[102:103]
	v_fmac_f64_e32 v[104:105], v[4:5], v[52:53]
	v_fma_f64 v[102:103], v[2:3], v[56:57], -v[110:111]
	v_fmac_f64_e32 v[114:115], v[4:5], v[56:57]
	;; [unrolled: 2-line block ×4, first 2 shown]
	ds_load_b128 v[58:61], v47 offset:80
	ds_load_b128 v[62:65], v47 offset:2128
	;; [unrolled: 1-line block ×4, first 2 shown]
	v_add_f64_e32 v[56:57], v[84:85], v[120:121]
	v_add_f64_e32 v[84:85], v[122:123], v[88:89]
	;; [unrolled: 1-line block ×8, first 2 shown]
	v_fma_f64 v[100:101], v[26:27], v[34:35], -v[100:101]
	v_fmac_f64_e32 v[106:107], v[28:29], v[34:35]
	v_fma_f64 v[108:109], v[26:27], v[38:39], -v[108:109]
	s_wait_dscnt 0x1
	v_mul_f64_e32 v[92:93], v[60:61], v[68:69]
	v_mul_f64_e32 v[94:95], v[58:59], v[68:69]
	s_wait_dscnt 0x0
	v_mul_f64_e32 v[96:97], v[60:61], v[72:73]
	v_mul_f64_e32 v[98:99], v[58:59], v[72:73]
	;; [unrolled: 1-line block ×6, first 2 shown]
	v_fmac_f64_e32 v[112:113], v[28:29], v[38:39]
	v_fma_f64 v[124:125], v[42:43], v[34:35], -v[124:125]
	v_fmac_f64_e32 v[128:129], v[44:45], v[34:35]
	v_fma_f64 v[126:127], v[42:43], v[38:39], -v[36:37]
	v_fmac_f64_e32 v[130:131], v[44:45], v[38:39]
	ds_load_b128 v[2:5], v47 offset:96
	ds_load_b128 v[48:51], v46 offset:3072
	;; [unrolled: 1-line block ×4, first 2 shown]
	v_add_f64_e32 v[56:57], v[56:57], v[40:41]
	v_add_f64_e32 v[84:85], v[104:105], v[84:85]
	;; [unrolled: 1-line block ×8, first 2 shown]
	ds_load_b128 v[26:29], v47 offset:112
	ds_load_b128 v[34:37], v47 offset:2160
	;; [unrolled: 1-line block ×4, first 2 shown]
	s_wait_dscnt 0x0
	v_mul_f64_e32 v[102:103], v[4:5], v[50:51]
	v_mul_f64_e32 v[104:105], v[2:3], v[50:51]
	v_mul_f64_e32 v[110:111], v[4:5], v[54:55]
	v_mul_f64_e32 v[114:115], v[2:3], v[54:55]
	v_mul_f64_e32 v[116:117], v[76:77], v[50:51]
	v_mul_f64_e32 v[50:51], v[74:75], v[50:51]
	v_mul_f64_e32 v[118:119], v[76:77], v[54:55]
	v_mul_f64_e32 v[54:55], v[74:75], v[54:55]
	v_fma_f64 v[92:93], v[58:59], v[66:67], -v[92:93]
	v_fmac_f64_e32 v[94:95], v[60:61], v[66:67]
	v_fma_f64 v[58:59], v[58:59], v[70:71], -v[96:97]
	v_fmac_f64_e32 v[98:99], v[60:61], v[70:71]
	;; [unrolled: 2-line block ×4, first 2 shown]
	s_barrier_signal -1
	s_barrier_wait -1
	v_mul_f64_e32 v[96:97], v[26:27], v[44:45]
	v_add_f64_e32 v[56:57], v[56:57], v[100:101]
	v_add_f64_e32 v[64:65], v[106:107], v[84:85]
	;; [unrolled: 1-line block ×8, first 2 shown]
	v_mul_f64_e32 v[86:87], v[28:29], v[40:41]
	v_mul_f64_e32 v[88:89], v[26:27], v[40:41]
	v_mul_f64_e32 v[90:91], v[28:29], v[44:45]
	v_mul_f64_e32 v[100:101], v[36:37], v[40:41]
	v_mul_f64_e32 v[106:107], v[34:35], v[40:41]
	v_mul_f64_e32 v[40:41], v[36:37], v[44:45]
	v_mul_f64_e32 v[108:109], v[34:35], v[44:45]
	v_fma_f64 v[44:45], v[2:3], v[48:49], -v[102:103]
	v_fmac_f64_e32 v[104:105], v[4:5], v[48:49]
	v_fma_f64 v[2:3], v[2:3], v[52:53], -v[110:111]
	v_fmac_f64_e32 v[114:115], v[4:5], v[52:53]
	;; [unrolled: 2-line block ×4, first 2 shown]
	v_fmac_f64_e32 v[96:97], v[28:29], v[42:43]
	v_add_f64_e32 v[52:53], v[56:57], v[92:93]
	v_add_f64_e32 v[56:57], v[94:95], v[64:65]
	;; [unrolled: 1-line block ×8, first 2 shown]
	v_fma_f64 v[70:71], v[26:27], v[38:39], -v[86:87]
	v_fmac_f64_e32 v[88:89], v[28:29], v[38:39]
	v_fma_f64 v[26:27], v[26:27], v[42:43], -v[90:91]
	v_fma_f64 v[28:29], v[34:35], v[38:39], -v[100:101]
	v_fmac_f64_e32 v[106:107], v[36:37], v[38:39]
	v_fma_f64 v[72:73], v[34:35], v[42:43], -v[40:41]
	v_fmac_f64_e32 v[108:109], v[36:37], v[42:43]
	v_add_f64_e32 v[34:35], v[52:53], v[44:45]
	v_add_f64_e32 v[36:37], v[104:105], v[56:57]
	;; [unrolled: 1-line block ×16, first 2 shown]
	s_cbranch_vccz .LBB551_19
.LBB551_10:                             ;   Parent Loop BB551_7 Depth=1
                                        ; =>  This Inner Loop Header: Depth=2
	s_mov_b32 s22, 0
	s_mov_b32 s30, s25
	s_and_saveexec_b32 s23, s0
	s_cbranch_execnz .LBB551_16
; %bb.11:                               ;   in Loop: Header=BB551_10 Depth=2
	s_or_b32 exec_lo, exec_lo, s23
	s_and_saveexec_b32 s23, s30
	s_delay_alu instid0(SALU_CYCLE_1)
	s_xor_b32 s23, exec_lo, s23
	s_cbranch_execnz .LBB551_17
.LBB551_12:                             ;   in Loop: Header=BB551_10 Depth=2
	s_or_b32 exec_lo, exec_lo, s23
	s_and_saveexec_b32 s23, s22
	s_cbranch_execz .LBB551_14
.LBB551_13:                             ;   in Loop: Header=BB551_10 Depth=2
	v_mul_u64_e32 v[2:3], s[14:15], v[22:23]
	s_delay_alu instid0(VALU_DEP_1)
	v_lshl_add_u64 v[2:3], v[2:3], 4, v[30:31]
	flat_load_b128 v[2:5], v[2:3]
	s_wait_loadcnt_dscnt 0x0
	ds_store_2addr_b64 v7, v[2:3], v[4:5] offset1:1
.LBB551_14:                             ;   in Loop: Header=BB551_10 Depth=2
	s_wait_xcnt 0x0
	s_or_b32 exec_lo, exec_lo, s23
	v_add_nc_u32_e32 v0, s16, v6
	v_mov_b64_e32 v[2:3], 0
	v_mov_b64_e32 v[4:5], 0
	s_delay_alu instid0(VALU_DEP_3) | instskip(SKIP_1) | instid1(SALU_CYCLE_1)
	v_cmp_gt_u64_e32 vcc_lo, s[8:9], v[0:1]
	s_and_b32 s23, vcc_lo, s1
	s_and_saveexec_b32 s22, s23
	s_cbranch_execz .LBB551_9
; %bb.15:                               ;   in Loop: Header=BB551_10 Depth=2
	v_mul_u64_e32 v[2:3], s[20:21], v[0:1]
	s_delay_alu instid0(VALU_DEP_1)
	v_lshl_add_u64 v[2:3], v[2:3], 4, v[32:33]
	flat_load_b128 v[2:5], v[2:3]
	s_wait_loadcnt_dscnt 0x0
	v_xor_b32_e32 v5, 0x80000000, v5
	s_branch .LBB551_9
.LBB551_16:                             ;   in Loop: Header=BB551_10 Depth=2
	v_add_nc_u32_e32 v0, s16, v10
	s_and_not1_b32 s30, s25, exec_lo
	s_mov_b32 s22, exec_lo
	s_delay_alu instid0(VALU_DEP_1) | instskip(SKIP_2) | instid1(SALU_CYCLE_1)
	v_cmp_le_u64_e32 vcc_lo, s[8:9], v[0:1]
	v_mov_b64_e32 v[22:23], v[0:1]
	s_and_b32 s31, vcc_lo, exec_lo
	s_or_b32 s30, s30, s31
	s_or_b32 exec_lo, exec_lo, s23
	s_and_saveexec_b32 s23, s30
	s_delay_alu instid0(SALU_CYCLE_1)
	s_xor_b32 s23, exec_lo, s23
	s_cbranch_execz .LBB551_12
.LBB551_17:                             ;   in Loop: Header=BB551_10 Depth=2
	v_dual_mov_b32 v0, v1 :: v_dual_mov_b32 v2, v1
	v_mov_b32_e32 v3, v1
	s_and_not1_b32 s22, s22, exec_lo
	ds_store_b128 v7, v[0:3]
	s_or_b32 exec_lo, exec_lo, s23
	s_and_saveexec_b32 s23, s22
	s_cbranch_execnz .LBB551_13
	s_branch .LBB551_14
.LBB551_18:                             ;   in Loop: Header=BB551_7 Depth=1
	v_mov_b64_e32 v[44:45], 0
	v_mov_b64_e32 v[38:39], 0
	;; [unrolled: 1-line block ×7, first 2 shown]
.LBB551_19:                             ;   in Loop: Header=BB551_7 Depth=1
	s_wait_loadcnt 0x0
	v_add_nc_u64_e32 v[24:25], s[10:11], v[24:25]
	s_delay_alu instid0(VALU_DEP_1)
	v_lshl_add_u64 v[30:31], v[14:15], 4, v[24:25]
	s_wait_xcnt 0x0
	s_and_saveexec_b32 s16, s29
	s_cbranch_execz .LBB551_24
; %bb.20:                               ;   in Loop: Header=BB551_7 Depth=1
	v_mul_f64_e32 v[2:3], s[42:43], v[44:45]
	v_mul_f64_e32 v[4:5], s[40:41], v[44:45]
	v_lshl_add_u64 v[32:33], v[18:19], 4, v[30:31]
	s_and_b32 vcc_lo, exec_lo, s28
	s_mov_b32 s17, -1
	s_delay_alu instid0(VALU_DEP_3) | instskip(NEXT) | instid1(VALU_DEP_3)
	v_fma_f64 v[2:3], s[40:41], v[42:43], -v[2:3]
	v_fmac_f64_e32 v[4:5], s[42:43], v[42:43]
	s_cbranch_vccz .LBB551_22
; %bb.21:                               ;   in Loop: Header=BB551_7 Depth=1
	flat_load_b128 v[42:45], v[32:33]
	s_mov_b32 s17, 0
	s_wait_loadcnt_dscnt 0x0
	v_mul_f64_e32 v[48:49], s[38:39], v[44:45]
	v_mul_f64_e32 v[44:45], s[36:37], v[44:45]
	s_delay_alu instid0(VALU_DEP_2) | instskip(NEXT) | instid1(VALU_DEP_2)
	v_fma_f64 v[48:49], s[36:37], v[42:43], -v[48:49]
	v_fmac_f64_e32 v[44:45], s[38:39], v[42:43]
	s_delay_alu instid0(VALU_DEP_2) | instskip(NEXT) | instid1(VALU_DEP_2)
	v_add_f64_e32 v[42:43], v[2:3], v[48:49]
	v_add_f64_e32 v[44:45], v[4:5], v[44:45]
	flat_store_b128 v[32:33], v[42:45]
.LBB551_22:                             ;   in Loop: Header=BB551_7 Depth=1
	s_and_not1_b32 vcc_lo, exec_lo, s17
	s_cbranch_vccnz .LBB551_24
; %bb.23:                               ;   in Loop: Header=BB551_7 Depth=1
	flat_store_b128 v[32:33], v[2:5]
.LBB551_24:                             ;   in Loop: Header=BB551_7 Depth=1
	s_wait_xcnt 0x0
	s_or_b32 exec_lo, exec_lo, s16
	s_and_saveexec_b32 s16, s33
	s_cbranch_execz .LBB551_29
; %bb.25:                               ;   in Loop: Header=BB551_7 Depth=1
	v_mul_f64_e32 v[2:3], s[42:43], v[40:41]
	v_mul_f64_e32 v[4:5], s[40:41], v[40:41]
	v_lshl_add_u64 v[30:31], v[20:21], 4, v[30:31]
	s_and_not1_b32 vcc_lo, exec_lo, s28
	s_mov_b32 s17, -1
	s_delay_alu instid0(VALU_DEP_3) | instskip(NEXT) | instid1(VALU_DEP_3)
	v_fma_f64 v[2:3], s[40:41], v[38:39], -v[2:3]
	v_fmac_f64_e32 v[4:5], s[42:43], v[38:39]
	s_cbranch_vccnz .LBB551_27
; %bb.26:                               ;   in Loop: Header=BB551_7 Depth=1
	flat_load_b128 v[38:41], v[30:31]
	s_mov_b32 s17, 0
	s_wait_loadcnt_dscnt 0x0
	v_mul_f64_e32 v[32:33], s[38:39], v[40:41]
	v_mul_f64_e32 v[40:41], s[36:37], v[40:41]
	s_delay_alu instid0(VALU_DEP_2) | instskip(NEXT) | instid1(VALU_DEP_2)
	v_fma_f64 v[32:33], s[36:37], v[38:39], -v[32:33]
	v_fmac_f64_e32 v[40:41], s[38:39], v[38:39]
	s_delay_alu instid0(VALU_DEP_2) | instskip(NEXT) | instid1(VALU_DEP_2)
	v_add_f64_e32 v[38:39], v[2:3], v[32:33]
	v_add_f64_e32 v[40:41], v[4:5], v[40:41]
	flat_store_b128 v[30:31], v[38:41]
.LBB551_27:                             ;   in Loop: Header=BB551_7 Depth=1
	s_and_not1_b32 vcc_lo, exec_lo, s17
	s_cbranch_vccnz .LBB551_29
; %bb.28:                               ;   in Loop: Header=BB551_7 Depth=1
	flat_store_b128 v[30:31], v[2:5]
.LBB551_29:                             ;   in Loop: Header=BB551_7 Depth=1
	s_wait_xcnt 0x0
	s_or_b32 exec_lo, exec_lo, s16
	v_lshl_add_u64 v[24:25], v[16:17], 4, v[24:25]
	s_and_saveexec_b32 s16, s34
	s_cbranch_execz .LBB551_34
; %bb.30:                               ;   in Loop: Header=BB551_7 Depth=1
	v_mul_f64_e32 v[2:3], s[42:43], v[36:37]
	v_mul_f64_e32 v[4:5], s[40:41], v[36:37]
	v_lshl_add_u64 v[30:31], v[18:19], 4, v[24:25]
	s_and_not1_b32 vcc_lo, exec_lo, s28
	s_mov_b32 s17, -1
	s_delay_alu instid0(VALU_DEP_3) | instskip(NEXT) | instid1(VALU_DEP_3)
	v_fma_f64 v[2:3], s[40:41], v[34:35], -v[2:3]
	v_fmac_f64_e32 v[4:5], s[42:43], v[34:35]
	s_cbranch_vccnz .LBB551_32
; %bb.31:                               ;   in Loop: Header=BB551_7 Depth=1
	flat_load_b128 v[32:35], v[30:31]
	s_mov_b32 s17, 0
	s_wait_loadcnt_dscnt 0x0
	v_mul_f64_e32 v[36:37], s[38:39], v[34:35]
	v_mul_f64_e32 v[34:35], s[36:37], v[34:35]
	s_delay_alu instid0(VALU_DEP_2) | instskip(NEXT) | instid1(VALU_DEP_2)
	v_fma_f64 v[36:37], s[36:37], v[32:33], -v[36:37]
	v_fmac_f64_e32 v[34:35], s[38:39], v[32:33]
	s_delay_alu instid0(VALU_DEP_2) | instskip(NEXT) | instid1(VALU_DEP_2)
	v_add_f64_e32 v[32:33], v[2:3], v[36:37]
	v_add_f64_e32 v[34:35], v[4:5], v[34:35]
	flat_store_b128 v[30:31], v[32:35]
.LBB551_32:                             ;   in Loop: Header=BB551_7 Depth=1
	s_and_not1_b32 vcc_lo, exec_lo, s17
	s_cbranch_vccnz .LBB551_34
; %bb.33:                               ;   in Loop: Header=BB551_7 Depth=1
	flat_store_b128 v[30:31], v[2:5]
.LBB551_34:                             ;   in Loop: Header=BB551_7 Depth=1
	s_wait_xcnt 0x0
	s_or_b32 exec_lo, exec_lo, s16
	s_and_saveexec_b32 s16, s35
	s_cbranch_execz .LBB551_6
; %bb.35:                               ;   in Loop: Header=BB551_7 Depth=1
	s_delay_alu instid0(VALU_DEP_4) | instskip(SKIP_4) | instid1(VALU_DEP_3)
	v_mul_f64_e32 v[2:3], s[42:43], v[26:27]
	v_mul_f64_e32 v[4:5], s[40:41], v[26:27]
	v_lshl_add_u64 v[24:25], v[20:21], 4, v[24:25]
	s_and_not1_b32 vcc_lo, exec_lo, s28
	s_mov_b32 s17, -1
	v_fma_f64 v[2:3], s[40:41], v[28:29], -v[2:3]
	s_delay_alu instid0(VALU_DEP_3)
	v_fmac_f64_e32 v[4:5], s[42:43], v[28:29]
	s_cbranch_vccnz .LBB551_37
; %bb.36:                               ;   in Loop: Header=BB551_7 Depth=1
	flat_load_b128 v[26:29], v[24:25]
	s_mov_b32 s17, 0
	s_wait_loadcnt_dscnt 0x0
	v_mul_f64_e32 v[30:31], s[38:39], v[28:29]
	v_mul_f64_e32 v[28:29], s[36:37], v[28:29]
	s_delay_alu instid0(VALU_DEP_2) | instskip(NEXT) | instid1(VALU_DEP_2)
	v_fma_f64 v[30:31], s[36:37], v[26:27], -v[30:31]
	v_fmac_f64_e32 v[28:29], s[38:39], v[26:27]
	s_delay_alu instid0(VALU_DEP_2) | instskip(NEXT) | instid1(VALU_DEP_2)
	v_add_f64_e32 v[26:27], v[2:3], v[30:31]
	v_add_f64_e32 v[28:29], v[4:5], v[28:29]
	flat_store_b128 v[24:25], v[26:29]
.LBB551_37:                             ;   in Loop: Header=BB551_7 Depth=1
	s_and_not1_b32 vcc_lo, exec_lo, s17
	s_cbranch_vccnz .LBB551_6
; %bb.38:                               ;   in Loop: Header=BB551_7 Depth=1
	flat_store_b128 v[24:25], v[2:5]
	s_branch .LBB551_6
.LBB551_39:
.LBB551_40:
	s_sendmsg sendmsg(MSG_DEALLOC_VGPRS)
	s_endpgm
	.section	.rodata,"a",@progbits
	.p2align	6, 0x0
	.amdhsa_kernel _ZL29rocblas_internal_gemmt_kernelIlLi16ELi32ELi8ELc78ELc67ELc76ELb0ELb1E19rocblas_complex_numIdEPKS1_PKS3_PKPS1_EviT_T9_T10_S9_lSB_S9_lSA_T11_S9_li
		.amdhsa_group_segment_fixed_size 8192
		.amdhsa_private_segment_fixed_size 0
		.amdhsa_kernarg_size 108
		.amdhsa_user_sgpr_count 2
		.amdhsa_user_sgpr_dispatch_ptr 0
		.amdhsa_user_sgpr_queue_ptr 0
		.amdhsa_user_sgpr_kernarg_segment_ptr 1
		.amdhsa_user_sgpr_dispatch_id 0
		.amdhsa_user_sgpr_kernarg_preload_length 0
		.amdhsa_user_sgpr_kernarg_preload_offset 0
		.amdhsa_user_sgpr_private_segment_size 0
		.amdhsa_wavefront_size32 1
		.amdhsa_uses_dynamic_stack 0
		.amdhsa_enable_private_segment 0
		.amdhsa_system_sgpr_workgroup_id_x 1
		.amdhsa_system_sgpr_workgroup_id_y 1
		.amdhsa_system_sgpr_workgroup_id_z 1
		.amdhsa_system_sgpr_workgroup_info 0
		.amdhsa_system_vgpr_workitem_id 1
		.amdhsa_next_free_vgpr 134
		.amdhsa_next_free_sgpr 46
		.amdhsa_named_barrier_count 0
		.amdhsa_reserve_vcc 1
		.amdhsa_float_round_mode_32 0
		.amdhsa_float_round_mode_16_64 0
		.amdhsa_float_denorm_mode_32 3
		.amdhsa_float_denorm_mode_16_64 3
		.amdhsa_fp16_overflow 0
		.amdhsa_memory_ordered 1
		.amdhsa_forward_progress 1
		.amdhsa_inst_pref_size 24
		.amdhsa_round_robin_scheduling 0
		.amdhsa_exception_fp_ieee_invalid_op 0
		.amdhsa_exception_fp_denorm_src 0
		.amdhsa_exception_fp_ieee_div_zero 0
		.amdhsa_exception_fp_ieee_overflow 0
		.amdhsa_exception_fp_ieee_underflow 0
		.amdhsa_exception_fp_ieee_inexact 0
		.amdhsa_exception_int_div_zero 0
	.end_amdhsa_kernel
	.section	.text._ZL29rocblas_internal_gemmt_kernelIlLi16ELi32ELi8ELc78ELc67ELc76ELb0ELb1E19rocblas_complex_numIdEPKS1_PKS3_PKPS1_EviT_T9_T10_S9_lSB_S9_lSA_T11_S9_li,"axG",@progbits,_ZL29rocblas_internal_gemmt_kernelIlLi16ELi32ELi8ELc78ELc67ELc76ELb0ELb1E19rocblas_complex_numIdEPKS1_PKS3_PKPS1_EviT_T9_T10_S9_lSB_S9_lSA_T11_S9_li,comdat
.Lfunc_end551:
	.size	_ZL29rocblas_internal_gemmt_kernelIlLi16ELi32ELi8ELc78ELc67ELc76ELb0ELb1E19rocblas_complex_numIdEPKS1_PKS3_PKPS1_EviT_T9_T10_S9_lSB_S9_lSA_T11_S9_li, .Lfunc_end551-_ZL29rocblas_internal_gemmt_kernelIlLi16ELi32ELi8ELc78ELc67ELc76ELb0ELb1E19rocblas_complex_numIdEPKS1_PKS3_PKPS1_EviT_T9_T10_S9_lSB_S9_lSA_T11_S9_li
                                        ; -- End function
	.set _ZL29rocblas_internal_gemmt_kernelIlLi16ELi32ELi8ELc78ELc67ELc76ELb0ELb1E19rocblas_complex_numIdEPKS1_PKS3_PKPS1_EviT_T9_T10_S9_lSB_S9_lSA_T11_S9_li.num_vgpr, 134
	.set _ZL29rocblas_internal_gemmt_kernelIlLi16ELi32ELi8ELc78ELc67ELc76ELb0ELb1E19rocblas_complex_numIdEPKS1_PKS3_PKPS1_EviT_T9_T10_S9_lSB_S9_lSA_T11_S9_li.num_agpr, 0
	.set _ZL29rocblas_internal_gemmt_kernelIlLi16ELi32ELi8ELc78ELc67ELc76ELb0ELb1E19rocblas_complex_numIdEPKS1_PKS3_PKPS1_EviT_T9_T10_S9_lSB_S9_lSA_T11_S9_li.numbered_sgpr, 46
	.set _ZL29rocblas_internal_gemmt_kernelIlLi16ELi32ELi8ELc78ELc67ELc76ELb0ELb1E19rocblas_complex_numIdEPKS1_PKS3_PKPS1_EviT_T9_T10_S9_lSB_S9_lSA_T11_S9_li.num_named_barrier, 0
	.set _ZL29rocblas_internal_gemmt_kernelIlLi16ELi32ELi8ELc78ELc67ELc76ELb0ELb1E19rocblas_complex_numIdEPKS1_PKS3_PKPS1_EviT_T9_T10_S9_lSB_S9_lSA_T11_S9_li.private_seg_size, 0
	.set _ZL29rocblas_internal_gemmt_kernelIlLi16ELi32ELi8ELc78ELc67ELc76ELb0ELb1E19rocblas_complex_numIdEPKS1_PKS3_PKPS1_EviT_T9_T10_S9_lSB_S9_lSA_T11_S9_li.uses_vcc, 1
	.set _ZL29rocblas_internal_gemmt_kernelIlLi16ELi32ELi8ELc78ELc67ELc76ELb0ELb1E19rocblas_complex_numIdEPKS1_PKS3_PKPS1_EviT_T9_T10_S9_lSB_S9_lSA_T11_S9_li.uses_flat_scratch, 0
	.set _ZL29rocblas_internal_gemmt_kernelIlLi16ELi32ELi8ELc78ELc67ELc76ELb0ELb1E19rocblas_complex_numIdEPKS1_PKS3_PKPS1_EviT_T9_T10_S9_lSB_S9_lSA_T11_S9_li.has_dyn_sized_stack, 0
	.set _ZL29rocblas_internal_gemmt_kernelIlLi16ELi32ELi8ELc78ELc67ELc76ELb0ELb1E19rocblas_complex_numIdEPKS1_PKS3_PKPS1_EviT_T9_T10_S9_lSB_S9_lSA_T11_S9_li.has_recursion, 0
	.set _ZL29rocblas_internal_gemmt_kernelIlLi16ELi32ELi8ELc78ELc67ELc76ELb0ELb1E19rocblas_complex_numIdEPKS1_PKS3_PKPS1_EviT_T9_T10_S9_lSB_S9_lSA_T11_S9_li.has_indirect_call, 0
	.section	.AMDGPU.csdata,"",@progbits
; Kernel info:
; codeLenInByte = 3012
; TotalNumSgprs: 48
; NumVgprs: 134
; ScratchSize: 0
; MemoryBound: 1
; FloatMode: 240
; IeeeMode: 1
; LDSByteSize: 8192 bytes/workgroup (compile time only)
; SGPRBlocks: 0
; VGPRBlocks: 8
; NumSGPRsForWavesPerEU: 48
; NumVGPRsForWavesPerEU: 134
; NamedBarCnt: 0
; Occupancy: 7
; WaveLimiterHint : 1
; COMPUTE_PGM_RSRC2:SCRATCH_EN: 0
; COMPUTE_PGM_RSRC2:USER_SGPR: 2
; COMPUTE_PGM_RSRC2:TRAP_HANDLER: 0
; COMPUTE_PGM_RSRC2:TGID_X_EN: 1
; COMPUTE_PGM_RSRC2:TGID_Y_EN: 1
; COMPUTE_PGM_RSRC2:TGID_Z_EN: 1
; COMPUTE_PGM_RSRC2:TIDIG_COMP_CNT: 1
	.section	.text._ZL29rocblas_internal_gemmt_kernelIlLi16ELi32ELi8ELc84ELc78ELc76ELb0ELb0E19rocblas_complex_numIdEPKS1_PKS3_PKPS1_EviT_T9_T10_S9_lSB_S9_lSA_T11_S9_li,"axG",@progbits,_ZL29rocblas_internal_gemmt_kernelIlLi16ELi32ELi8ELc84ELc78ELc76ELb0ELb0E19rocblas_complex_numIdEPKS1_PKS3_PKPS1_EviT_T9_T10_S9_lSB_S9_lSA_T11_S9_li,comdat
	.globl	_ZL29rocblas_internal_gemmt_kernelIlLi16ELi32ELi8ELc84ELc78ELc76ELb0ELb0E19rocblas_complex_numIdEPKS1_PKS3_PKPS1_EviT_T9_T10_S9_lSB_S9_lSA_T11_S9_li ; -- Begin function _ZL29rocblas_internal_gemmt_kernelIlLi16ELi32ELi8ELc84ELc78ELc76ELb0ELb0E19rocblas_complex_numIdEPKS1_PKS3_PKPS1_EviT_T9_T10_S9_lSB_S9_lSA_T11_S9_li
	.p2align	8
	.type	_ZL29rocblas_internal_gemmt_kernelIlLi16ELi32ELi8ELc84ELc78ELc76ELb0ELb0E19rocblas_complex_numIdEPKS1_PKS3_PKPS1_EviT_T9_T10_S9_lSB_S9_lSA_T11_S9_li,@function
_ZL29rocblas_internal_gemmt_kernelIlLi16ELi32ELi8ELc84ELc78ELc76ELb0ELb0E19rocblas_complex_numIdEPKS1_PKS3_PKPS1_EviT_T9_T10_S9_lSB_S9_lSA_T11_S9_li: ; @_ZL29rocblas_internal_gemmt_kernelIlLi16ELi32ELi8ELc84ELc78ELc76ELb0ELb0E19rocblas_complex_numIdEPKS1_PKS3_PKPS1_EviT_T9_T10_S9_lSB_S9_lSA_T11_S9_li
; %bb.0:
	s_clause 0x1
	s_load_b256 s[24:31], s[0:1], 0x48
	s_load_b512 s[8:23], s[0:1], 0x8
	s_wait_kmcnt 0x0
	s_load_b128 s[36:39], s[24:25], 0x0
	s_load_b128 s[40:43], s[10:11], 0x0
	s_wait_kmcnt 0x0
	v_cmp_eq_f64_e64 s3, s[36:37], 1.0
	v_cmp_eq_f64_e64 s2, s[38:39], 0
	s_and_b32 s3, s3, s2
	s_delay_alu instid0(SALU_CYCLE_1)
	s_and_not1_b32 vcc_lo, exec_lo, s3
	s_mov_b32 s3, -1
	s_cbranch_vccnz .LBB552_3
; %bb.1:
	s_cmp_lg_u64 s[8:9], 0
	s_cbranch_scc0 .LBB552_41
; %bb.2:
	v_cmp_neq_f64_e64 s3, s[40:41], 0
	v_cmp_neq_f64_e64 s4, s[42:43], 0
	s_or_b32 s3, s3, s4
.LBB552_3:
	s_delay_alu instid0(SALU_CYCLE_1)
	s_and_b32 vcc_lo, exec_lo, s3
	s_cbranch_vccz .LBB552_42
; %bb.4:
	s_load_b32 s24, s[0:1], 0x68
	s_bfe_u32 s3, ttmp6, 0x40014
	s_lshr_b32 s4, ttmp7, 16
	s_add_co_i32 s3, s3, 1
	s_bfe_u32 s6, ttmp6, 0x40008
	s_mul_i32 s5, s4, s3
	s_getreg_b32 s3, hwreg(HW_REG_IB_STS2, 6, 4)
	s_add_co_i32 s6, s6, s5
	s_cmp_eq_u32 s3, 0
	s_mov_b32 s7, 0
	s_cselect_b32 s6, s4, s6
	s_wait_kmcnt 0x0
	s_cmp_ge_u32 s6, s24
	s_cbranch_scc1 .LBB552_42
; %bb.5:
	v_and_b32_e32 v19, 0x3ff, v0
	v_bfe_u32 v21, v0, 10, 10
	s_load_b32 s10, s[0:1], 0x0
	s_wait_xcnt 0x0
	s_bfe_u32 s1, ttmp6, 0x4000c
	s_bfe_u32 s25, ttmp6, 0x40010
	s_and_b32 s11, ttmp7, 0xffff
	s_add_co_i32 s1, s1, 1
	s_add_co_i32 s25, s25, 1
	v_lshl_add_u32 v1, v21, 4, v19
	s_and_b32 s0, ttmp6, 15
	s_bfe_u32 s33, ttmp6, 0x40004
	s_mul_i32 s1, ttmp9, s1
	s_mul_i32 s25, s11, s25
	s_add_co_i32 s0, s0, s1
	s_add_co_i32 s33, s33, s25
	s_cmp_eq_u32 s3, 0
	v_dual_lshrrev_b32 v8, 5, v1 :: v_dual_bitop2_b32 v3, 31, v1 bitop3:0x40
	s_cselect_b32 s1, s11, s33
	s_cselect_b32 s0, ttmp9, s0
	v_dual_lshrrev_b32 v7, 3, v1 :: v_dual_bitop2_b32 v6, 7, v0 bitop3:0x40
	s_lshl_b32 s11, s0, 5
	s_lshl_b32 s0, s1, 5
	s_delay_alu instid0(SALU_CYCLE_1)
	v_dual_add_nc_u32 v2, s0, v21 :: v_dual_bitop2_b32 v0, s11, v3 bitop3:0x54
	v_cmp_neq_f64_e64 s4, s[40:41], 0
	v_cmp_neq_f64_e64 s5, s[42:43], 0
	v_add_nc_u32_e32 v4, s0, v7
	v_cmp_neq_f64_e64 s3, s[36:37], 0
	v_dual_add_nc_u32 v22, 16, v2 :: v_dual_lshlrev_b32 v9, 4, v3
	v_ashrrev_i32_e32 v1, 31, v0
	s_delay_alu instid0(VALU_DEP_4) | instskip(NEXT) | instid1(VALU_DEP_3)
	v_dual_ashrrev_i32 v5, 31, v4 :: v_dual_ashrrev_i32 v3, 31, v2
	v_ashrrev_i32_e32 v23, 31, v22
	v_dual_lshlrev_b32 v18, 4, v6 :: v_dual_lshlrev_b32 v44, 4, v19
	s_delay_alu instid0(VALU_DEP_4) | instskip(NEXT) | instid1(VALU_DEP_4)
	v_mul_u64_e32 v[10:11], s[14:15], v[0:1]
	v_mul_u64_e32 v[12:13], s[20:21], v[4:5]
	v_mul_u64_e32 v[14:15], s[28:29], v[2:3]
	s_delay_alu instid0(VALU_DEP_4)
	v_lshl_or_b32 v1, v7, 7, v18
	v_add_nc_u32_e32 v18, s11, v19
	v_mul_u64_e32 v[16:17], s[28:29], v[22:23]
	v_cmp_gt_i64_e64 s33, s[8:9], 0
	s_wait_kmcnt 0x0
	v_cmp_gt_i32_e32 vcc_lo, s10, v4
	v_cmp_gt_i32_e64 s0, s10, v0
	v_dual_add_nc_u32 v20, 16, v18 :: v_dual_ashrrev_i32 v19, 31, v18
	v_cmp_le_i32_e64 s1, v2, v18
	v_cmp_le_i32_e64 s20, s10, v0
	v_lshl_or_b32 v7, v8, 9, v9
	v_add_nc_u32_e32 v9, 0x1000, v1
	v_lshl_add_u32 v45, v21, 7, 0x1000
	v_dual_ashrrev_i32 v21, 31, v20 :: v_dual_mov_b32 v1, 0
	s_or_b32 s34, s4, s5
	s_xor_b32 s4, s2, -1
	v_cmp_gt_i32_e64 s2, s10, v18
	s_or_b32 s21, s3, s4
	v_cmp_le_i32_e64 s3, v2, v20
	v_cmp_gt_i32_e64 s4, s10, v20
	v_cmp_le_i32_e64 s5, v22, v20
	s_and_b32 s25, s1, s2
	v_cmp_le_i32_e64 s1, v22, v18
	s_and_b32 s33, s34, s33
	s_and_b32 s28, s3, s4
	;; [unrolled: 1-line block ×3, first 2 shown]
	s_lshl_b64 s[4:5], s[16:17], 4
	s_and_b32 s1, s1, s2
	s_lshl_b64 s[2:3], s[22:23], 4
	s_xor_b32 s16, vcc_lo, -1
	s_lshl_b64 s[10:11], s[30:31], 4
                                        ; implicit-def: $vgpr22_vgpr23
	s_branch .LBB552_7
.LBB552_6:                              ;   in Loop: Header=BB552_7 Depth=1
	s_wait_xcnt 0x0
	s_or_b32 exec_lo, exec_lo, s14
	s_add_co_i32 s6, s6, 0x10000
	s_delay_alu instid0(SALU_CYCLE_1)
	s_cmp_lt_u32 s6, s24
	s_cbranch_scc0 .LBB552_42
.LBB552_7:                              ; =>This Loop Header: Depth=1
                                        ;     Child Loop BB552_10 Depth 2
	v_mov_b32_e32 v0, s6
	v_mov_b64_e32 v[40:41], 0
	s_and_not1_b32 vcc_lo, exec_lo, s33
	global_load_b64 v[4:5], v0, s[26:27] scale_offset
	s_cbranch_vccnz .LBB552_20
; %bb.8:                                ;   in Loop: Header=BB552_7 Depth=1
	s_lshl_b64 s[14:15], s[6:7], 3
	v_mov_b64_e32 v[24:25], 0
	s_add_nc_u64 s[22:23], s[12:13], s[14:15]
	s_add_nc_u64 s[14:15], s[18:19], s[14:15]
	s_clause 0x1
	global_load_b64 v[2:3], v1, s[22:23]
	global_load_b64 v[28:29], v1, s[14:15]
	v_mov_b64_e32 v[26:27], 0
	v_mov_b64_e32 v[34:35], 0
	;; [unrolled: 1-line block ×7, first 2 shown]
	s_wait_xcnt 0x0
	s_mov_b64 s[14:15], 0
	s_wait_loadcnt 0x1
	v_add_nc_u64_e32 v[2:3], s[4:5], v[2:3]
	s_wait_loadcnt 0x0
	v_add_nc_u64_e32 v[30:31], s[2:3], v[28:29]
	s_delay_alu instid0(VALU_DEP_2) | instskip(NEXT) | instid1(VALU_DEP_2)
	v_lshl_add_u64 v[28:29], v[10:11], 4, v[2:3]
	v_lshl_add_u64 v[30:31], v[12:13], 4, v[30:31]
	s_branch .LBB552_10
.LBB552_9:                              ;   in Loop: Header=BB552_10 Depth=2
	s_wait_xcnt 0x0
	s_or_b32 exec_lo, exec_lo, s17
	s_wait_dscnt 0x0
	s_barrier_signal -1
	s_barrier_wait -1
	ds_load_b128 v[46:49], v45
	ds_load_b128 v[50:53], v44
	ds_load_b128 v[54:57], v44 offset:256
	ds_load_b128 v[58:61], v45 offset:2048
	;; [unrolled: 1-line block ×10, first 2 shown]
	s_add_nc_u64 s[14:15], s[14:15], 8
	s_delay_alu instid0(SALU_CYCLE_1)
	v_cmp_gt_i64_e64 s17, s[8:9], s[14:15]
	s_and_b32 vcc_lo, exec_lo, s17
	s_wait_dscnt 0xa
	v_mul_f64_e32 v[2:3], v[48:49], v[52:53]
	v_mul_f64_e32 v[94:95], v[46:47], v[52:53]
	s_wait_dscnt 0x9
	v_mul_f64_e32 v[96:97], v[48:49], v[56:57]
	v_mul_f64_e32 v[98:99], v[46:47], v[56:57]
	s_wait_dscnt 0x8
	v_mul_f64_e32 v[100:101], v[60:61], v[52:53]
	v_mul_f64_e32 v[102:103], v[58:59], v[52:53]
	v_mul_f64_e32 v[52:53], v[60:61], v[56:57]
	v_mul_f64_e32 v[104:105], v[58:59], v[56:57]
	s_wait_dscnt 0x6
	v_mul_f64_e32 v[106:107], v[64:65], v[68:69]
	v_mul_f64_e32 v[108:109], v[62:63], v[68:69]
	s_wait_dscnt 0x5
	v_mul_f64_e32 v[110:111], v[64:65], v[72:73]
	v_mul_f64_e32 v[112:113], v[62:63], v[72:73]
	s_wait_dscnt 0x4
	v_mul_f64_e32 v[114:115], v[76:77], v[68:69]
	v_mul_f64_e32 v[68:69], v[74:75], v[68:69]
	v_mul_f64_e32 v[116:117], v[76:77], v[72:73]
	v_mul_f64_e32 v[72:73], v[74:75], v[72:73]
	;; [unrolled: 11-line block ×3, first 2 shown]
	v_fma_f64 v[2:3], v[46:47], v[50:51], -v[2:3]
	v_fmac_f64_e32 v[94:95], v[48:49], v[50:51]
	v_fma_f64 v[96:97], v[46:47], v[54:55], -v[96:97]
	v_fmac_f64_e32 v[98:99], v[48:49], v[54:55]
	;; [unrolled: 2-line block ×8, first 2 shown]
	ds_load_b128 v[46:49], v45 offset:48
	ds_load_b128 v[50:53], v45 offset:2096
	;; [unrolled: 1-line block ×4, first 2 shown]
	v_fma_f64 v[120:121], v[78:79], v[82:83], -v[120:121]
	v_fmac_f64_e32 v[122:123], v[80:81], v[82:83]
	v_fma_f64 v[78:79], v[78:79], v[86:87], -v[124:125]
	v_fmac_f64_e32 v[126:127], v[80:81], v[86:87]
	;; [unrolled: 2-line block ×4, first 2 shown]
	v_add_f64_e32 v[2:3], v[40:41], v[2:3]
	v_add_f64_e32 v[70:71], v[94:95], v[42:43]
	;; [unrolled: 1-line block ×8, first 2 shown]
	s_wait_dscnt 0x1
	v_mul_f64_e32 v[102:103], v[48:49], v[56:57]
	v_mul_f64_e32 v[104:105], v[46:47], v[56:57]
	s_wait_dscnt 0x0
	v_mul_f64_e32 v[110:111], v[48:49], v[60:61]
	v_mul_f64_e32 v[114:115], v[46:47], v[60:61]
	;; [unrolled: 1-line block ×6, first 2 shown]
	ds_load_b128 v[24:27], v45 offset:64
	ds_load_b128 v[32:35], v44 offset:2048
	;; [unrolled: 1-line block ×4, first 2 shown]
	v_add_f64_e32 v[2:3], v[2:3], v[106:107]
	v_add_f64_e32 v[86:87], v[108:109], v[70:71]
	;; [unrolled: 1-line block ×8, first 2 shown]
	s_wait_dscnt 0x2
	v_mul_f64_e32 v[100:101], v[26:27], v[34:35]
	v_mul_f64_e32 v[106:107], v[24:25], v[34:35]
	s_wait_dscnt 0x1
	v_mul_f64_e32 v[108:109], v[26:27], v[38:39]
	v_mul_f64_e32 v[112:113], v[24:25], v[38:39]
	;; [unrolled: 3-line block ×3, first 2 shown]
	v_mul_f64_e32 v[34:35], v[42:43], v[38:39]
	v_mul_f64_e32 v[130:131], v[40:41], v[38:39]
	v_fma_f64 v[38:39], v[46:47], v[54:55], -v[102:103]
	v_fmac_f64_e32 v[104:105], v[48:49], v[54:55]
	v_fma_f64 v[102:103], v[46:47], v[58:59], -v[110:111]
	v_fmac_f64_e32 v[114:115], v[48:49], v[58:59]
	;; [unrolled: 2-line block ×4, first 2 shown]
	ds_load_b128 v[60:63], v45 offset:80
	ds_load_b128 v[64:67], v45 offset:2128
	;; [unrolled: 1-line block ×4, first 2 shown]
	v_add_f64_e32 v[2:3], v[2:3], v[120:121]
	v_add_f64_e32 v[58:59], v[122:123], v[86:87]
	;; [unrolled: 1-line block ×8, first 2 shown]
	v_fma_f64 v[100:101], v[24:25], v[32:33], -v[100:101]
	v_fmac_f64_e32 v[106:107], v[26:27], v[32:33]
	v_fma_f64 v[108:109], v[24:25], v[36:37], -v[108:109]
	s_wait_dscnt 0x1
	v_mul_f64_e32 v[92:93], v[62:63], v[70:71]
	v_mul_f64_e32 v[94:95], v[60:61], v[70:71]
	s_wait_dscnt 0x0
	v_mul_f64_e32 v[96:97], v[62:63], v[74:75]
	v_mul_f64_e32 v[98:99], v[60:61], v[74:75]
	;; [unrolled: 1-line block ×6, first 2 shown]
	v_fmac_f64_e32 v[112:113], v[26:27], v[36:37]
	v_fma_f64 v[124:125], v[40:41], v[32:33], -v[124:125]
	v_fmac_f64_e32 v[128:129], v[42:43], v[32:33]
	v_fma_f64 v[126:127], v[40:41], v[36:37], -v[34:35]
	v_fmac_f64_e32 v[130:131], v[42:43], v[36:37]
	ds_load_b128 v[46:49], v45 offset:96
	ds_load_b128 v[50:53], v44 offset:3072
	;; [unrolled: 1-line block ×4, first 2 shown]
	v_add_f64_e32 v[2:3], v[2:3], v[38:39]
	v_add_f64_e32 v[58:59], v[104:105], v[58:59]
	;; [unrolled: 1-line block ×8, first 2 shown]
	ds_load_b128 v[24:27], v45 offset:112
	ds_load_b128 v[32:35], v45 offset:2160
	ds_load_b128 v[36:39], v44 offset:3584
	ds_load_b128 v[40:43], v44 offset:3840
	s_wait_dscnt 0x0
	v_mul_f64_e32 v[102:103], v[48:49], v[52:53]
	v_mul_f64_e32 v[104:105], v[46:47], v[52:53]
	;; [unrolled: 1-line block ×8, first 2 shown]
	v_fma_f64 v[92:93], v[60:61], v[68:69], -v[92:93]
	v_fmac_f64_e32 v[94:95], v[62:63], v[68:69]
	v_fma_f64 v[60:61], v[60:61], v[72:73], -v[96:97]
	v_fmac_f64_e32 v[98:99], v[62:63], v[72:73]
	;; [unrolled: 2-line block ×4, first 2 shown]
	s_barrier_signal -1
	s_barrier_wait -1
	v_mul_f64_e32 v[96:97], v[24:25], v[42:43]
	v_add_f64_e32 v[2:3], v[2:3], v[100:101]
	v_add_f64_e32 v[58:59], v[106:107], v[58:59]
	;; [unrolled: 1-line block ×8, first 2 shown]
	v_mul_f64_e32 v[86:87], v[26:27], v[38:39]
	v_mul_f64_e32 v[88:89], v[24:25], v[38:39]
	;; [unrolled: 1-line block ×7, first 2 shown]
	v_fma_f64 v[42:43], v[46:47], v[50:51], -v[102:103]
	v_fmac_f64_e32 v[104:105], v[48:49], v[50:51]
	v_fma_f64 v[46:47], v[46:47], v[54:55], -v[110:111]
	v_fmac_f64_e32 v[114:115], v[48:49], v[54:55]
	;; [unrolled: 2-line block ×4, first 2 shown]
	v_fmac_f64_e32 v[96:97], v[26:27], v[40:41]
	v_add_f64_e32 v[2:3], v[2:3], v[92:93]
	v_add_f64_e32 v[54:55], v[94:95], v[58:59]
	;; [unrolled: 1-line block ×8, first 2 shown]
	v_fma_f64 v[70:71], v[24:25], v[36:37], -v[86:87]
	v_fmac_f64_e32 v[88:89], v[26:27], v[36:37]
	v_fma_f64 v[24:25], v[24:25], v[40:41], -v[90:91]
	v_fma_f64 v[26:27], v[32:33], v[36:37], -v[100:101]
	v_fmac_f64_e32 v[106:107], v[34:35], v[36:37]
	v_fma_f64 v[72:73], v[32:33], v[40:41], -v[38:39]
	v_fmac_f64_e32 v[108:109], v[34:35], v[40:41]
	v_add_f64_e32 v[2:3], v[2:3], v[42:43]
	v_add_f64_e32 v[32:33], v[104:105], v[54:55]
	;; [unrolled: 1-line block ×16, first 2 shown]
	s_cbranch_vccz .LBB552_21
.LBB552_10:                             ;   Parent Loop BB552_7 Depth=1
                                        ; =>  This Inner Loop Header: Depth=2
	s_mov_b32 s17, 0
	s_mov_b32 s23, s20
	s_and_saveexec_b32 s22, s0
	s_cbranch_execnz .LBB552_18
; %bb.11:                               ;   in Loop: Header=BB552_10 Depth=2
	s_or_b32 exec_lo, exec_lo, s22
	s_and_saveexec_b32 s22, s23
	s_delay_alu instid0(SALU_CYCLE_1)
	s_xor_b32 s22, exec_lo, s22
	s_cbranch_execnz .LBB552_19
.LBB552_12:                             ;   in Loop: Header=BB552_10 Depth=2
	s_or_b32 exec_lo, exec_lo, s22
	s_and_saveexec_b32 s22, s17
	s_cbranch_execz .LBB552_14
.LBB552_13:                             ;   in Loop: Header=BB552_10 Depth=2
	v_lshl_add_u64 v[2:3], v[22:23], 4, v[28:29]
	flat_load_b128 v[46:49], v[2:3]
	s_wait_loadcnt_dscnt 0x0
	ds_store_2addr_b64 v7, v[46:47], v[48:49] offset1:1
.LBB552_14:                             ;   in Loop: Header=BB552_10 Depth=2
	s_wait_xcnt 0x0
	s_or_b32 exec_lo, exec_lo, s22
	v_add_nc_u32_e32 v0, s14, v6
	s_delay_alu instid0(VALU_DEP_1) | instskip(SKIP_1) | instid1(SALU_CYCLE_1)
	v_cmp_le_u64_e32 vcc_lo, s[8:9], v[0:1]
	s_or_b32 s17, vcc_lo, s16
	s_and_saveexec_b32 s22, s17
	s_delay_alu instid0(SALU_CYCLE_1)
	s_xor_b32 s17, exec_lo, s22
; %bb.15:                               ;   in Loop: Header=BB552_10 Depth=2
	v_dual_mov_b32 v0, v1 :: v_dual_mov_b32 v2, v1
	v_mov_b32_e32 v3, v1
	ds_store_b128 v9, v[0:3]
; %bb.16:                               ;   in Loop: Header=BB552_10 Depth=2
	s_and_not1_saveexec_b32 s17, s17
	s_cbranch_execz .LBB552_9
; %bb.17:                               ;   in Loop: Header=BB552_10 Depth=2
	v_lshl_add_u64 v[2:3], v[0:1], 4, v[30:31]
	flat_load_b128 v[46:49], v[2:3]
	s_wait_loadcnt_dscnt 0x0
	ds_store_2addr_b64 v9, v[46:47], v[48:49] offset1:1
	s_branch .LBB552_9
.LBB552_18:                             ;   in Loop: Header=BB552_10 Depth=2
	v_add_nc_u32_e32 v0, s14, v8
	s_and_not1_b32 s23, s20, exec_lo
	s_mov_b32 s17, exec_lo
	s_delay_alu instid0(VALU_DEP_1) | instskip(SKIP_2) | instid1(SALU_CYCLE_1)
	v_cmp_le_u64_e32 vcc_lo, s[8:9], v[0:1]
	v_mov_b64_e32 v[22:23], v[0:1]
	s_and_b32 s30, vcc_lo, exec_lo
	s_or_b32 s23, s23, s30
	s_or_b32 exec_lo, exec_lo, s22
	s_and_saveexec_b32 s22, s23
	s_delay_alu instid0(SALU_CYCLE_1)
	s_xor_b32 s22, exec_lo, s22
	s_cbranch_execz .LBB552_12
.LBB552_19:                             ;   in Loop: Header=BB552_10 Depth=2
	v_dual_mov_b32 v0, v1 :: v_dual_mov_b32 v2, v1
	v_mov_b32_e32 v3, v1
	s_and_not1_b32 s17, s17, exec_lo
	ds_store_b128 v7, v[0:3]
	s_or_b32 exec_lo, exec_lo, s22
	s_and_saveexec_b32 s22, s17
	s_cbranch_execnz .LBB552_13
	s_branch .LBB552_14
.LBB552_20:                             ;   in Loop: Header=BB552_7 Depth=1
	v_mov_b64_e32 v[42:43], 0
	v_mov_b64_e32 v[36:37], 0
	;; [unrolled: 1-line block ×7, first 2 shown]
.LBB552_21:                             ;   in Loop: Header=BB552_7 Depth=1
	s_wait_loadcnt 0x0
	v_add_nc_u64_e32 v[28:29], s[10:11], v[4:5]
	s_delay_alu instid0(VALU_DEP_1)
	v_lshl_add_u64 v[30:31], v[14:15], 4, v[28:29]
	s_wait_xcnt 0x0
	s_and_saveexec_b32 s14, s25
	s_cbranch_execz .LBB552_26
; %bb.22:                               ;   in Loop: Header=BB552_7 Depth=1
	v_mul_f64_e32 v[2:3], s[42:43], v[42:43]
	v_mul_f64_e32 v[4:5], s[40:41], v[42:43]
	s_and_b32 vcc_lo, exec_lo, s21
	s_mov_b32 s15, -1
	s_delay_alu instid0(VALU_DEP_2) | instskip(NEXT) | instid1(VALU_DEP_2)
	v_fma_f64 v[2:3], s[40:41], v[40:41], -v[2:3]
	v_fmac_f64_e32 v[4:5], s[42:43], v[40:41]
	v_lshl_add_u64 v[40:41], v[18:19], 4, v[30:31]
	s_cbranch_vccz .LBB552_24
; %bb.23:                               ;   in Loop: Header=BB552_7 Depth=1
	flat_load_b128 v[46:49], v[40:41]
	s_mov_b32 s15, 0
	s_wait_loadcnt_dscnt 0x0
	v_mul_f64_e32 v[42:43], s[38:39], v[48:49]
	v_mul_f64_e32 v[48:49], s[36:37], v[48:49]
	s_delay_alu instid0(VALU_DEP_2) | instskip(NEXT) | instid1(VALU_DEP_2)
	v_fma_f64 v[42:43], s[36:37], v[46:47], -v[42:43]
	v_fmac_f64_e32 v[48:49], s[38:39], v[46:47]
	s_delay_alu instid0(VALU_DEP_2) | instskip(NEXT) | instid1(VALU_DEP_2)
	v_add_f64_e32 v[46:47], v[2:3], v[42:43]
	v_add_f64_e32 v[48:49], v[4:5], v[48:49]
	flat_store_b128 v[40:41], v[46:49]
.LBB552_24:                             ;   in Loop: Header=BB552_7 Depth=1
	s_and_not1_b32 vcc_lo, exec_lo, s15
	s_cbranch_vccnz .LBB552_26
; %bb.25:                               ;   in Loop: Header=BB552_7 Depth=1
	flat_store_b128 v[40:41], v[2:5]
.LBB552_26:                             ;   in Loop: Header=BB552_7 Depth=1
	s_wait_xcnt 0x0
	s_or_b32 exec_lo, exec_lo, s14
	s_and_saveexec_b32 s14, s28
	s_cbranch_execz .LBB552_31
; %bb.27:                               ;   in Loop: Header=BB552_7 Depth=1
	v_mul_f64_e32 v[2:3], s[42:43], v[38:39]
	v_mul_f64_e32 v[4:5], s[40:41], v[38:39]
	v_lshl_add_u64 v[30:31], v[20:21], 4, v[30:31]
	s_and_not1_b32 vcc_lo, exec_lo, s21
	s_mov_b32 s15, -1
	s_delay_alu instid0(VALU_DEP_3) | instskip(NEXT) | instid1(VALU_DEP_3)
	v_fma_f64 v[2:3], s[40:41], v[36:37], -v[2:3]
	v_fmac_f64_e32 v[4:5], s[42:43], v[36:37]
	s_cbranch_vccnz .LBB552_29
; %bb.28:                               ;   in Loop: Header=BB552_7 Depth=1
	flat_load_b128 v[36:39], v[30:31]
	s_mov_b32 s15, 0
	s_wait_loadcnt_dscnt 0x0
	v_mul_f64_e32 v[40:41], s[38:39], v[38:39]
	v_mul_f64_e32 v[38:39], s[36:37], v[38:39]
	s_delay_alu instid0(VALU_DEP_2) | instskip(NEXT) | instid1(VALU_DEP_2)
	v_fma_f64 v[40:41], s[36:37], v[36:37], -v[40:41]
	v_fmac_f64_e32 v[38:39], s[38:39], v[36:37]
	s_delay_alu instid0(VALU_DEP_2) | instskip(NEXT) | instid1(VALU_DEP_2)
	v_add_f64_e32 v[36:37], v[2:3], v[40:41]
	v_add_f64_e32 v[38:39], v[4:5], v[38:39]
	flat_store_b128 v[30:31], v[36:39]
.LBB552_29:                             ;   in Loop: Header=BB552_7 Depth=1
	s_and_not1_b32 vcc_lo, exec_lo, s15
	s_cbranch_vccnz .LBB552_31
; %bb.30:                               ;   in Loop: Header=BB552_7 Depth=1
	flat_store_b128 v[30:31], v[2:5]
.LBB552_31:                             ;   in Loop: Header=BB552_7 Depth=1
	s_wait_xcnt 0x0
	s_or_b32 exec_lo, exec_lo, s14
	v_lshl_add_u64 v[28:29], v[16:17], 4, v[28:29]
	s_and_saveexec_b32 s14, s1
	s_cbranch_execz .LBB552_36
; %bb.32:                               ;   in Loop: Header=BB552_7 Depth=1
	v_mul_f64_e32 v[2:3], s[42:43], v[34:35]
	v_mul_f64_e32 v[4:5], s[40:41], v[34:35]
	v_lshl_add_u64 v[30:31], v[18:19], 4, v[28:29]
	s_and_not1_b32 vcc_lo, exec_lo, s21
	s_mov_b32 s15, -1
	s_delay_alu instid0(VALU_DEP_3) | instskip(NEXT) | instid1(VALU_DEP_3)
	v_fma_f64 v[2:3], s[40:41], v[32:33], -v[2:3]
	v_fmac_f64_e32 v[4:5], s[42:43], v[32:33]
	s_cbranch_vccnz .LBB552_34
; %bb.33:                               ;   in Loop: Header=BB552_7 Depth=1
	flat_load_b128 v[32:35], v[30:31]
	s_mov_b32 s15, 0
	s_wait_loadcnt_dscnt 0x0
	v_mul_f64_e32 v[36:37], s[38:39], v[34:35]
	v_mul_f64_e32 v[34:35], s[36:37], v[34:35]
	s_delay_alu instid0(VALU_DEP_2) | instskip(NEXT) | instid1(VALU_DEP_2)
	v_fma_f64 v[36:37], s[36:37], v[32:33], -v[36:37]
	v_fmac_f64_e32 v[34:35], s[38:39], v[32:33]
	s_delay_alu instid0(VALU_DEP_2) | instskip(NEXT) | instid1(VALU_DEP_2)
	v_add_f64_e32 v[32:33], v[2:3], v[36:37]
	v_add_f64_e32 v[34:35], v[4:5], v[34:35]
	flat_store_b128 v[30:31], v[32:35]
.LBB552_34:                             ;   in Loop: Header=BB552_7 Depth=1
	s_and_not1_b32 vcc_lo, exec_lo, s15
	s_cbranch_vccnz .LBB552_36
; %bb.35:                               ;   in Loop: Header=BB552_7 Depth=1
	flat_store_b128 v[30:31], v[2:5]
.LBB552_36:                             ;   in Loop: Header=BB552_7 Depth=1
	s_wait_xcnt 0x0
	s_or_b32 exec_lo, exec_lo, s14
	s_and_saveexec_b32 s14, s29
	s_cbranch_execz .LBB552_6
; %bb.37:                               ;   in Loop: Header=BB552_7 Depth=1
	s_delay_alu instid0(VALU_DEP_4) | instskip(SKIP_4) | instid1(VALU_DEP_3)
	v_mul_f64_e32 v[2:3], s[42:43], v[24:25]
	v_mul_f64_e32 v[4:5], s[40:41], v[24:25]
	v_lshl_add_u64 v[24:25], v[20:21], 4, v[28:29]
	s_and_not1_b32 vcc_lo, exec_lo, s21
	s_mov_b32 s15, -1
	v_fma_f64 v[2:3], s[40:41], v[26:27], -v[2:3]
	s_delay_alu instid0(VALU_DEP_3)
	v_fmac_f64_e32 v[4:5], s[42:43], v[26:27]
	s_cbranch_vccnz .LBB552_39
; %bb.38:                               ;   in Loop: Header=BB552_7 Depth=1
	flat_load_b128 v[26:29], v[24:25]
	s_mov_b32 s15, 0
	s_wait_loadcnt_dscnt 0x0
	v_mul_f64_e32 v[30:31], s[38:39], v[28:29]
	v_mul_f64_e32 v[28:29], s[36:37], v[28:29]
	s_delay_alu instid0(VALU_DEP_2) | instskip(NEXT) | instid1(VALU_DEP_2)
	v_fma_f64 v[30:31], s[36:37], v[26:27], -v[30:31]
	v_fmac_f64_e32 v[28:29], s[38:39], v[26:27]
	s_delay_alu instid0(VALU_DEP_2) | instskip(NEXT) | instid1(VALU_DEP_2)
	v_add_f64_e32 v[26:27], v[2:3], v[30:31]
	v_add_f64_e32 v[28:29], v[4:5], v[28:29]
	flat_store_b128 v[24:25], v[26:29]
.LBB552_39:                             ;   in Loop: Header=BB552_7 Depth=1
	s_and_not1_b32 vcc_lo, exec_lo, s15
	s_cbranch_vccnz .LBB552_6
; %bb.40:                               ;   in Loop: Header=BB552_7 Depth=1
	flat_store_b128 v[24:25], v[2:5]
	s_branch .LBB552_6
.LBB552_41:
.LBB552_42:
	s_sendmsg sendmsg(MSG_DEALLOC_VGPRS)
	s_endpgm
	.section	.rodata,"a",@progbits
	.p2align	6, 0x0
	.amdhsa_kernel _ZL29rocblas_internal_gemmt_kernelIlLi16ELi32ELi8ELc84ELc78ELc76ELb0ELb0E19rocblas_complex_numIdEPKS1_PKS3_PKPS1_EviT_T9_T10_S9_lSB_S9_lSA_T11_S9_li
		.amdhsa_group_segment_fixed_size 8192
		.amdhsa_private_segment_fixed_size 0
		.amdhsa_kernarg_size 108
		.amdhsa_user_sgpr_count 2
		.amdhsa_user_sgpr_dispatch_ptr 0
		.amdhsa_user_sgpr_queue_ptr 0
		.amdhsa_user_sgpr_kernarg_segment_ptr 1
		.amdhsa_user_sgpr_dispatch_id 0
		.amdhsa_user_sgpr_kernarg_preload_length 0
		.amdhsa_user_sgpr_kernarg_preload_offset 0
		.amdhsa_user_sgpr_private_segment_size 0
		.amdhsa_wavefront_size32 1
		.amdhsa_uses_dynamic_stack 0
		.amdhsa_enable_private_segment 0
		.amdhsa_system_sgpr_workgroup_id_x 1
		.amdhsa_system_sgpr_workgroup_id_y 1
		.amdhsa_system_sgpr_workgroup_id_z 1
		.amdhsa_system_sgpr_workgroup_info 0
		.amdhsa_system_vgpr_workitem_id 1
		.amdhsa_next_free_vgpr 134
		.amdhsa_next_free_sgpr 44
		.amdhsa_named_barrier_count 0
		.amdhsa_reserve_vcc 1
		.amdhsa_float_round_mode_32 0
		.amdhsa_float_round_mode_16_64 0
		.amdhsa_float_denorm_mode_32 3
		.amdhsa_float_denorm_mode_16_64 3
		.amdhsa_fp16_overflow 0
		.amdhsa_memory_ordered 1
		.amdhsa_forward_progress 1
		.amdhsa_inst_pref_size 24
		.amdhsa_round_robin_scheduling 0
		.amdhsa_exception_fp_ieee_invalid_op 0
		.amdhsa_exception_fp_denorm_src 0
		.amdhsa_exception_fp_ieee_div_zero 0
		.amdhsa_exception_fp_ieee_overflow 0
		.amdhsa_exception_fp_ieee_underflow 0
		.amdhsa_exception_fp_ieee_inexact 0
		.amdhsa_exception_int_div_zero 0
	.end_amdhsa_kernel
	.section	.text._ZL29rocblas_internal_gemmt_kernelIlLi16ELi32ELi8ELc84ELc78ELc76ELb0ELb0E19rocblas_complex_numIdEPKS1_PKS3_PKPS1_EviT_T9_T10_S9_lSB_S9_lSA_T11_S9_li,"axG",@progbits,_ZL29rocblas_internal_gemmt_kernelIlLi16ELi32ELi8ELc84ELc78ELc76ELb0ELb0E19rocblas_complex_numIdEPKS1_PKS3_PKPS1_EviT_T9_T10_S9_lSB_S9_lSA_T11_S9_li,comdat
.Lfunc_end552:
	.size	_ZL29rocblas_internal_gemmt_kernelIlLi16ELi32ELi8ELc84ELc78ELc76ELb0ELb0E19rocblas_complex_numIdEPKS1_PKS3_PKPS1_EviT_T9_T10_S9_lSB_S9_lSA_T11_S9_li, .Lfunc_end552-_ZL29rocblas_internal_gemmt_kernelIlLi16ELi32ELi8ELc84ELc78ELc76ELb0ELb0E19rocblas_complex_numIdEPKS1_PKS3_PKPS1_EviT_T9_T10_S9_lSB_S9_lSA_T11_S9_li
                                        ; -- End function
	.set _ZL29rocblas_internal_gemmt_kernelIlLi16ELi32ELi8ELc84ELc78ELc76ELb0ELb0E19rocblas_complex_numIdEPKS1_PKS3_PKPS1_EviT_T9_T10_S9_lSB_S9_lSA_T11_S9_li.num_vgpr, 134
	.set _ZL29rocblas_internal_gemmt_kernelIlLi16ELi32ELi8ELc84ELc78ELc76ELb0ELb0E19rocblas_complex_numIdEPKS1_PKS3_PKPS1_EviT_T9_T10_S9_lSB_S9_lSA_T11_S9_li.num_agpr, 0
	.set _ZL29rocblas_internal_gemmt_kernelIlLi16ELi32ELi8ELc84ELc78ELc76ELb0ELb0E19rocblas_complex_numIdEPKS1_PKS3_PKPS1_EviT_T9_T10_S9_lSB_S9_lSA_T11_S9_li.numbered_sgpr, 44
	.set _ZL29rocblas_internal_gemmt_kernelIlLi16ELi32ELi8ELc84ELc78ELc76ELb0ELb0E19rocblas_complex_numIdEPKS1_PKS3_PKPS1_EviT_T9_T10_S9_lSB_S9_lSA_T11_S9_li.num_named_barrier, 0
	.set _ZL29rocblas_internal_gemmt_kernelIlLi16ELi32ELi8ELc84ELc78ELc76ELb0ELb0E19rocblas_complex_numIdEPKS1_PKS3_PKPS1_EviT_T9_T10_S9_lSB_S9_lSA_T11_S9_li.private_seg_size, 0
	.set _ZL29rocblas_internal_gemmt_kernelIlLi16ELi32ELi8ELc84ELc78ELc76ELb0ELb0E19rocblas_complex_numIdEPKS1_PKS3_PKPS1_EviT_T9_T10_S9_lSB_S9_lSA_T11_S9_li.uses_vcc, 1
	.set _ZL29rocblas_internal_gemmt_kernelIlLi16ELi32ELi8ELc84ELc78ELc76ELb0ELb0E19rocblas_complex_numIdEPKS1_PKS3_PKPS1_EviT_T9_T10_S9_lSB_S9_lSA_T11_S9_li.uses_flat_scratch, 0
	.set _ZL29rocblas_internal_gemmt_kernelIlLi16ELi32ELi8ELc84ELc78ELc76ELb0ELb0E19rocblas_complex_numIdEPKS1_PKS3_PKPS1_EviT_T9_T10_S9_lSB_S9_lSA_T11_S9_li.has_dyn_sized_stack, 0
	.set _ZL29rocblas_internal_gemmt_kernelIlLi16ELi32ELi8ELc84ELc78ELc76ELb0ELb0E19rocblas_complex_numIdEPKS1_PKS3_PKPS1_EviT_T9_T10_S9_lSB_S9_lSA_T11_S9_li.has_recursion, 0
	.set _ZL29rocblas_internal_gemmt_kernelIlLi16ELi32ELi8ELc84ELc78ELc76ELb0ELb0E19rocblas_complex_numIdEPKS1_PKS3_PKPS1_EviT_T9_T10_S9_lSB_S9_lSA_T11_S9_li.has_indirect_call, 0
	.section	.AMDGPU.csdata,"",@progbits
; Kernel info:
; codeLenInByte = 3028
; TotalNumSgprs: 46
; NumVgprs: 134
; ScratchSize: 0
; MemoryBound: 0
; FloatMode: 240
; IeeeMode: 1
; LDSByteSize: 8192 bytes/workgroup (compile time only)
; SGPRBlocks: 0
; VGPRBlocks: 8
; NumSGPRsForWavesPerEU: 46
; NumVGPRsForWavesPerEU: 134
; NamedBarCnt: 0
; Occupancy: 7
; WaveLimiterHint : 1
; COMPUTE_PGM_RSRC2:SCRATCH_EN: 0
; COMPUTE_PGM_RSRC2:USER_SGPR: 2
; COMPUTE_PGM_RSRC2:TRAP_HANDLER: 0
; COMPUTE_PGM_RSRC2:TGID_X_EN: 1
; COMPUTE_PGM_RSRC2:TGID_Y_EN: 1
; COMPUTE_PGM_RSRC2:TGID_Z_EN: 1
; COMPUTE_PGM_RSRC2:TIDIG_COMP_CNT: 1
	.section	.text._ZL29rocblas_internal_gemmt_kernelIlLi16ELi32ELi8ELc84ELc84ELc76ELb0ELb0E19rocblas_complex_numIdEPKS1_PKS3_PKPS1_EviT_T9_T10_S9_lSB_S9_lSA_T11_S9_li,"axG",@progbits,_ZL29rocblas_internal_gemmt_kernelIlLi16ELi32ELi8ELc84ELc84ELc76ELb0ELb0E19rocblas_complex_numIdEPKS1_PKS3_PKPS1_EviT_T9_T10_S9_lSB_S9_lSA_T11_S9_li,comdat
	.globl	_ZL29rocblas_internal_gemmt_kernelIlLi16ELi32ELi8ELc84ELc84ELc76ELb0ELb0E19rocblas_complex_numIdEPKS1_PKS3_PKPS1_EviT_T9_T10_S9_lSB_S9_lSA_T11_S9_li ; -- Begin function _ZL29rocblas_internal_gemmt_kernelIlLi16ELi32ELi8ELc84ELc84ELc76ELb0ELb0E19rocblas_complex_numIdEPKS1_PKS3_PKPS1_EviT_T9_T10_S9_lSB_S9_lSA_T11_S9_li
	.p2align	8
	.type	_ZL29rocblas_internal_gemmt_kernelIlLi16ELi32ELi8ELc84ELc84ELc76ELb0ELb0E19rocblas_complex_numIdEPKS1_PKS3_PKPS1_EviT_T9_T10_S9_lSB_S9_lSA_T11_S9_li,@function
_ZL29rocblas_internal_gemmt_kernelIlLi16ELi32ELi8ELc84ELc84ELc76ELb0ELb0E19rocblas_complex_numIdEPKS1_PKS3_PKPS1_EviT_T9_T10_S9_lSB_S9_lSA_T11_S9_li: ; @_ZL29rocblas_internal_gemmt_kernelIlLi16ELi32ELi8ELc84ELc84ELc76ELb0ELb0E19rocblas_complex_numIdEPKS1_PKS3_PKPS1_EviT_T9_T10_S9_lSB_S9_lSA_T11_S9_li
; %bb.0:
	s_clause 0x1
	s_load_b256 s[24:31], s[0:1], 0x48
	s_load_b512 s[8:23], s[0:1], 0x8
	s_wait_kmcnt 0x0
	s_load_b128 s[36:39], s[24:25], 0x0
	s_load_b128 s[40:43], s[10:11], 0x0
	s_wait_kmcnt 0x0
	v_cmp_eq_f64_e64 s3, s[36:37], 1.0
	v_cmp_eq_f64_e64 s2, s[38:39], 0
	s_and_b32 s3, s3, s2
	s_delay_alu instid0(SALU_CYCLE_1)
	s_and_not1_b32 vcc_lo, exec_lo, s3
	s_mov_b32 s3, -1
	s_cbranch_vccnz .LBB553_3
; %bb.1:
	s_cmp_lg_u64 s[8:9], 0
	s_cbranch_scc0 .LBB553_41
; %bb.2:
	v_cmp_neq_f64_e64 s3, s[40:41], 0
	v_cmp_neq_f64_e64 s4, s[42:43], 0
	s_or_b32 s3, s3, s4
.LBB553_3:
	s_delay_alu instid0(SALU_CYCLE_1)
	s_and_b32 vcc_lo, exec_lo, s3
	s_cbranch_vccz .LBB553_42
; %bb.4:
	s_load_b32 s24, s[0:1], 0x68
	s_bfe_u32 s3, ttmp6, 0x40014
	s_lshr_b32 s4, ttmp7, 16
	s_add_co_i32 s3, s3, 1
	s_bfe_u32 s6, ttmp6, 0x40008
	s_mul_i32 s5, s4, s3
	s_getreg_b32 s3, hwreg(HW_REG_IB_STS2, 6, 4)
	s_add_co_i32 s6, s6, s5
	s_cmp_eq_u32 s3, 0
	s_mov_b32 s7, 0
	s_cselect_b32 s6, s4, s6
	s_wait_kmcnt 0x0
	s_cmp_ge_u32 s6, s24
	s_cbranch_scc1 .LBB553_42
; %bb.5:
	s_load_b32 s10, s[0:1], 0x0
	s_wait_xcnt 0x0
	s_bfe_u32 s1, ttmp6, 0x4000c
	s_bfe_u32 s25, ttmp6, 0x40010
	s_and_b32 s11, ttmp7, 0xffff
	s_add_co_i32 s1, s1, 1
	s_add_co_i32 s25, s25, 1
	v_and_b32_e32 v19, 0x3ff, v0
	v_bfe_u32 v21, v0, 10, 10
	s_and_b32 s0, ttmp6, 15
	s_bfe_u32 s33, ttmp6, 0x40004
	s_mul_i32 s1, ttmp9, s1
	s_mul_i32 s25, s11, s25
	s_add_co_i32 s0, s0, s1
	s_add_co_i32 s33, s33, s25
	s_cmp_eq_u32 s3, 0
	v_lshl_add_u32 v1, v21, 4, v19
	s_cselect_b32 s1, s11, s33
	s_cselect_b32 s0, ttmp9, s0
	s_lshl_b32 s1, s1, 5
	s_delay_alu instid0(VALU_DEP_1)
	v_dual_lshrrev_b32 v7, 3, v1 :: v_dual_bitop2_b32 v6, 7, v0 bitop3:0x40
	v_dual_lshrrev_b32 v8, 5, v1 :: v_dual_bitop2_b32 v9, 31, v1 bitop3:0x40
	v_add_nc_u32_e32 v0, s1, v21
	v_cmp_neq_f64_e64 s4, s[40:41], 0
	v_cmp_neq_f64_e64 s5, s[42:43], 0
	s_lshl_b32 s11, s0, 5
	s_delay_alu instid0(SALU_CYCLE_1) | instskip(SKIP_3) | instid1(VALU_DEP_3)
	v_dual_add_nc_u32 v10, s1, v7 :: v_dual_bitop2_b32 v2, s11, v9 bitop3:0x54
	v_add_nc_u32_e32 v4, 16, v0
	v_cmp_neq_f64_e64 s3, s[36:37], 0
	v_dual_lshlrev_b32 v11, 4, v6 :: v_dual_ashrrev_i32 v1, 31, v0
	v_dual_ashrrev_i32 v3, 31, v2 :: v_dual_ashrrev_i32 v5, 31, v4
	v_dual_lshlrev_b32 v9, 4, v9 :: v_dual_add_nc_u32 v18, s11, v19
	s_delay_alu instid0(VALU_DEP_3) | instskip(NEXT) | instid1(VALU_DEP_3)
	v_mul_u64_e32 v[14:15], s[28:29], v[0:1]
	v_mul_u64_e32 v[12:13], s[14:15], v[2:3]
	s_delay_alu instid0(VALU_DEP_4)
	v_mul_u64_e32 v[16:17], s[28:29], v[4:5]
	v_lshl_or_b32 v3, v7, 7, v11
	v_add_nc_u32_e32 v20, 16, v18
	v_cmp_le_i32_e64 s1, v0, v18
	v_cmp_gt_i64_e64 s35, s[8:9], 0
	s_wait_kmcnt 0x0
	v_cmp_gt_i32_e32 vcc_lo, s10, v10
	v_dual_ashrrev_i32 v11, 31, v10 :: v_dual_lshlrev_b32 v44, 4, v19
	v_ashrrev_i32_e32 v19, 31, v18
	v_cmp_gt_i32_e64 s0, s10, v2
	v_cmp_le_i32_e64 s25, s10, v2
	v_lshl_or_b32 v7, v8, 9, v9
	v_add_nc_u32_e32 v9, 0x1000, v3
	v_lshl_add_u32 v45, v21, 7, 0x1000
	v_dual_ashrrev_i32 v21, 31, v20 :: v_dual_mov_b32 v1, 0
                                        ; implicit-def: $vgpr22_vgpr23
	s_or_b32 s44, s4, s5
	s_xor_b32 s4, s2, -1
	v_cmp_gt_i32_e64 s2, s10, v18
	v_cmp_le_i32_e64 s5, v4, v20
	s_and_b32 s35, s44, s35
	s_or_b32 s28, s3, s4
	v_cmp_le_i32_e64 s3, v0, v20
	v_cmp_gt_i32_e64 s4, s10, v20
	s_and_b32 s29, s1, s2
	v_cmp_le_i32_e64 s1, v4, v18
	s_lshl_b64 s[10:11], s[30:31], 4
	s_and_b32 s33, s3, s4
	s_and_b32 s34, s5, s4
	;; [unrolled: 1-line block ×3, first 2 shown]
	s_lshl_b64 s[2:3], s[22:23], 4
	s_lshl_b64 s[4:5], s[16:17], 4
	s_xor_b32 s16, vcc_lo, -1
	s_branch .LBB553_7
.LBB553_6:                              ;   in Loop: Header=BB553_7 Depth=1
	s_wait_xcnt 0x0
	s_or_b32 exec_lo, exec_lo, s14
	s_add_co_i32 s6, s6, 0x10000
	s_delay_alu instid0(SALU_CYCLE_1)
	s_cmp_lt_u32 s6, s24
	s_cbranch_scc0 .LBB553_42
.LBB553_7:                              ; =>This Loop Header: Depth=1
                                        ;     Child Loop BB553_10 Depth 2
	v_mov_b32_e32 v0, s6
	v_mov_b64_e32 v[40:41], 0
	s_and_not1_b32 vcc_lo, exec_lo, s35
	global_load_b64 v[4:5], v0, s[26:27] scale_offset
	s_cbranch_vccnz .LBB553_20
; %bb.8:                                ;   in Loop: Header=BB553_7 Depth=1
	s_lshl_b64 s[14:15], s[6:7], 3
	v_mov_b64_e32 v[24:25], 0
	s_add_nc_u64 s[22:23], s[12:13], s[14:15]
	s_add_nc_u64 s[14:15], s[18:19], s[14:15]
	s_clause 0x1
	global_load_b64 v[2:3], v1, s[22:23]
	global_load_b64 v[28:29], v1, s[14:15]
	v_mov_b64_e32 v[26:27], 0
	v_mov_b64_e32 v[34:35], 0
	;; [unrolled: 1-line block ×7, first 2 shown]
	s_wait_xcnt 0x0
	s_mov_b64 s[14:15], 0
	s_wait_loadcnt 0x1
	v_add_nc_u64_e32 v[2:3], s[4:5], v[2:3]
	s_wait_loadcnt 0x0
	v_add_nc_u64_e32 v[30:31], s[2:3], v[28:29]
	s_delay_alu instid0(VALU_DEP_2) | instskip(NEXT) | instid1(VALU_DEP_2)
	v_lshl_add_u64 v[28:29], v[12:13], 4, v[2:3]
	v_lshl_add_u64 v[30:31], v[10:11], 4, v[30:31]
	s_branch .LBB553_10
.LBB553_9:                              ;   in Loop: Header=BB553_10 Depth=2
	s_wait_xcnt 0x0
	s_or_b32 exec_lo, exec_lo, s17
	s_wait_dscnt 0x0
	s_barrier_signal -1
	s_barrier_wait -1
	ds_load_b128 v[46:49], v45
	ds_load_b128 v[50:53], v44
	ds_load_b128 v[54:57], v44 offset:256
	ds_load_b128 v[58:61], v45 offset:2048
	;; [unrolled: 1-line block ×10, first 2 shown]
	s_add_nc_u64 s[14:15], s[14:15], 8
	s_delay_alu instid0(SALU_CYCLE_1)
	v_cmp_gt_i64_e64 s17, s[8:9], s[14:15]
	s_and_b32 vcc_lo, exec_lo, s17
	s_wait_dscnt 0xa
	v_mul_f64_e32 v[2:3], v[48:49], v[52:53]
	v_mul_f64_e32 v[94:95], v[46:47], v[52:53]
	s_wait_dscnt 0x9
	v_mul_f64_e32 v[96:97], v[48:49], v[56:57]
	v_mul_f64_e32 v[98:99], v[46:47], v[56:57]
	s_wait_dscnt 0x8
	v_mul_f64_e32 v[100:101], v[60:61], v[52:53]
	v_mul_f64_e32 v[102:103], v[58:59], v[52:53]
	v_mul_f64_e32 v[52:53], v[60:61], v[56:57]
	v_mul_f64_e32 v[104:105], v[58:59], v[56:57]
	s_wait_dscnt 0x6
	v_mul_f64_e32 v[106:107], v[64:65], v[68:69]
	v_mul_f64_e32 v[108:109], v[62:63], v[68:69]
	s_wait_dscnt 0x5
	v_mul_f64_e32 v[110:111], v[64:65], v[72:73]
	v_mul_f64_e32 v[112:113], v[62:63], v[72:73]
	s_wait_dscnt 0x4
	v_mul_f64_e32 v[114:115], v[76:77], v[68:69]
	v_mul_f64_e32 v[68:69], v[74:75], v[68:69]
	v_mul_f64_e32 v[116:117], v[76:77], v[72:73]
	v_mul_f64_e32 v[72:73], v[74:75], v[72:73]
	;; [unrolled: 11-line block ×3, first 2 shown]
	v_fma_f64 v[2:3], v[46:47], v[50:51], -v[2:3]
	v_fmac_f64_e32 v[94:95], v[48:49], v[50:51]
	v_fma_f64 v[96:97], v[46:47], v[54:55], -v[96:97]
	v_fmac_f64_e32 v[98:99], v[48:49], v[54:55]
	;; [unrolled: 2-line block ×8, first 2 shown]
	ds_load_b128 v[46:49], v45 offset:48
	ds_load_b128 v[50:53], v45 offset:2096
	;; [unrolled: 1-line block ×4, first 2 shown]
	v_fma_f64 v[120:121], v[78:79], v[82:83], -v[120:121]
	v_fmac_f64_e32 v[122:123], v[80:81], v[82:83]
	v_fma_f64 v[78:79], v[78:79], v[86:87], -v[124:125]
	v_fmac_f64_e32 v[126:127], v[80:81], v[86:87]
	;; [unrolled: 2-line block ×4, first 2 shown]
	v_add_f64_e32 v[2:3], v[40:41], v[2:3]
	v_add_f64_e32 v[70:71], v[94:95], v[42:43]
	;; [unrolled: 1-line block ×8, first 2 shown]
	s_wait_dscnt 0x1
	v_mul_f64_e32 v[102:103], v[48:49], v[56:57]
	v_mul_f64_e32 v[104:105], v[46:47], v[56:57]
	s_wait_dscnt 0x0
	v_mul_f64_e32 v[110:111], v[48:49], v[60:61]
	v_mul_f64_e32 v[114:115], v[46:47], v[60:61]
	v_mul_f64_e32 v[116:117], v[52:53], v[56:57]
	v_mul_f64_e32 v[118:119], v[50:51], v[56:57]
	v_mul_f64_e32 v[56:57], v[52:53], v[60:61]
	v_mul_f64_e32 v[132:133], v[50:51], v[60:61]
	ds_load_b128 v[24:27], v45 offset:64
	ds_load_b128 v[32:35], v44 offset:2048
	;; [unrolled: 1-line block ×4, first 2 shown]
	v_add_f64_e32 v[2:3], v[2:3], v[106:107]
	v_add_f64_e32 v[86:87], v[108:109], v[70:71]
	;; [unrolled: 1-line block ×8, first 2 shown]
	s_wait_dscnt 0x2
	v_mul_f64_e32 v[100:101], v[26:27], v[34:35]
	v_mul_f64_e32 v[106:107], v[24:25], v[34:35]
	s_wait_dscnt 0x1
	v_mul_f64_e32 v[108:109], v[26:27], v[38:39]
	v_mul_f64_e32 v[112:113], v[24:25], v[38:39]
	;; [unrolled: 3-line block ×3, first 2 shown]
	v_mul_f64_e32 v[34:35], v[42:43], v[38:39]
	v_mul_f64_e32 v[130:131], v[40:41], v[38:39]
	v_fma_f64 v[38:39], v[46:47], v[54:55], -v[102:103]
	v_fmac_f64_e32 v[104:105], v[48:49], v[54:55]
	v_fma_f64 v[102:103], v[46:47], v[58:59], -v[110:111]
	v_fmac_f64_e32 v[114:115], v[48:49], v[58:59]
	;; [unrolled: 2-line block ×4, first 2 shown]
	ds_load_b128 v[60:63], v45 offset:80
	ds_load_b128 v[64:67], v45 offset:2128
	;; [unrolled: 1-line block ×4, first 2 shown]
	v_add_f64_e32 v[2:3], v[2:3], v[120:121]
	v_add_f64_e32 v[58:59], v[122:123], v[86:87]
	;; [unrolled: 1-line block ×8, first 2 shown]
	v_fma_f64 v[100:101], v[24:25], v[32:33], -v[100:101]
	v_fmac_f64_e32 v[106:107], v[26:27], v[32:33]
	v_fma_f64 v[108:109], v[24:25], v[36:37], -v[108:109]
	s_wait_dscnt 0x1
	v_mul_f64_e32 v[92:93], v[62:63], v[70:71]
	v_mul_f64_e32 v[94:95], v[60:61], v[70:71]
	s_wait_dscnt 0x0
	v_mul_f64_e32 v[96:97], v[62:63], v[74:75]
	v_mul_f64_e32 v[98:99], v[60:61], v[74:75]
	;; [unrolled: 1-line block ×6, first 2 shown]
	v_fmac_f64_e32 v[112:113], v[26:27], v[36:37]
	v_fma_f64 v[124:125], v[40:41], v[32:33], -v[124:125]
	v_fmac_f64_e32 v[128:129], v[42:43], v[32:33]
	v_fma_f64 v[126:127], v[40:41], v[36:37], -v[34:35]
	v_fmac_f64_e32 v[130:131], v[42:43], v[36:37]
	ds_load_b128 v[46:49], v45 offset:96
	ds_load_b128 v[50:53], v44 offset:3072
	;; [unrolled: 1-line block ×4, first 2 shown]
	v_add_f64_e32 v[2:3], v[2:3], v[38:39]
	v_add_f64_e32 v[58:59], v[104:105], v[58:59]
	v_add_f64_e32 v[86:87], v[86:87], v[102:103]
	v_add_f64_e32 v[90:91], v[114:115], v[90:91]
	v_add_f64_e32 v[80:81], v[80:81], v[110:111]
	v_add_f64_e32 v[84:85], v[118:119], v[84:85]
	v_add_f64_e32 v[82:83], v[82:83], v[116:117]
	v_add_f64_e32 v[88:89], v[132:133], v[88:89]
	ds_load_b128 v[24:27], v45 offset:112
	ds_load_b128 v[32:35], v45 offset:2160
	;; [unrolled: 1-line block ×4, first 2 shown]
	s_wait_dscnt 0x0
	v_mul_f64_e32 v[102:103], v[48:49], v[52:53]
	v_mul_f64_e32 v[104:105], v[46:47], v[52:53]
	v_mul_f64_e32 v[110:111], v[48:49], v[56:57]
	v_mul_f64_e32 v[114:115], v[46:47], v[56:57]
	v_mul_f64_e32 v[116:117], v[78:79], v[52:53]
	v_mul_f64_e32 v[52:53], v[76:77], v[52:53]
	v_mul_f64_e32 v[118:119], v[78:79], v[56:57]
	v_mul_f64_e32 v[56:57], v[76:77], v[56:57]
	v_fma_f64 v[92:93], v[60:61], v[68:69], -v[92:93]
	v_fmac_f64_e32 v[94:95], v[62:63], v[68:69]
	v_fma_f64 v[60:61], v[60:61], v[72:73], -v[96:97]
	v_fmac_f64_e32 v[98:99], v[62:63], v[72:73]
	v_fma_f64 v[62:63], v[64:65], v[68:69], -v[120:121]
	v_fmac_f64_e32 v[70:71], v[66:67], v[68:69]
	v_fma_f64 v[64:65], v[64:65], v[72:73], -v[122:123]
	v_fmac_f64_e32 v[74:75], v[66:67], v[72:73]
	s_barrier_signal -1
	s_barrier_wait -1
	v_mul_f64_e32 v[96:97], v[24:25], v[42:43]
	v_add_f64_e32 v[2:3], v[2:3], v[100:101]
	v_add_f64_e32 v[58:59], v[106:107], v[58:59]
	;; [unrolled: 1-line block ×8, first 2 shown]
	v_mul_f64_e32 v[86:87], v[26:27], v[38:39]
	v_mul_f64_e32 v[88:89], v[24:25], v[38:39]
	;; [unrolled: 1-line block ×7, first 2 shown]
	v_fma_f64 v[42:43], v[46:47], v[50:51], -v[102:103]
	v_fmac_f64_e32 v[104:105], v[48:49], v[50:51]
	v_fma_f64 v[46:47], v[46:47], v[54:55], -v[110:111]
	v_fmac_f64_e32 v[114:115], v[48:49], v[54:55]
	;; [unrolled: 2-line block ×4, first 2 shown]
	v_fmac_f64_e32 v[96:97], v[26:27], v[40:41]
	v_add_f64_e32 v[2:3], v[2:3], v[92:93]
	v_add_f64_e32 v[54:55], v[94:95], v[58:59]
	;; [unrolled: 1-line block ×8, first 2 shown]
	v_fma_f64 v[70:71], v[24:25], v[36:37], -v[86:87]
	v_fmac_f64_e32 v[88:89], v[26:27], v[36:37]
	v_fma_f64 v[24:25], v[24:25], v[40:41], -v[90:91]
	v_fma_f64 v[26:27], v[32:33], v[36:37], -v[100:101]
	v_fmac_f64_e32 v[106:107], v[34:35], v[36:37]
	v_fma_f64 v[72:73], v[32:33], v[40:41], -v[38:39]
	v_fmac_f64_e32 v[108:109], v[34:35], v[40:41]
	v_add_f64_e32 v[2:3], v[2:3], v[42:43]
	v_add_f64_e32 v[32:33], v[104:105], v[54:55]
	;; [unrolled: 1-line block ×16, first 2 shown]
	s_cbranch_vccz .LBB553_21
.LBB553_10:                             ;   Parent Loop BB553_7 Depth=1
                                        ; =>  This Inner Loop Header: Depth=2
	s_mov_b32 s17, 0
	s_mov_b32 s23, s25
	s_and_saveexec_b32 s22, s0
	s_cbranch_execnz .LBB553_18
; %bb.11:                               ;   in Loop: Header=BB553_10 Depth=2
	s_or_b32 exec_lo, exec_lo, s22
	s_and_saveexec_b32 s22, s23
	s_delay_alu instid0(SALU_CYCLE_1)
	s_xor_b32 s22, exec_lo, s22
	s_cbranch_execnz .LBB553_19
.LBB553_12:                             ;   in Loop: Header=BB553_10 Depth=2
	s_or_b32 exec_lo, exec_lo, s22
	s_and_saveexec_b32 s22, s17
	s_cbranch_execz .LBB553_14
.LBB553_13:                             ;   in Loop: Header=BB553_10 Depth=2
	v_lshl_add_u64 v[2:3], v[22:23], 4, v[28:29]
	flat_load_b128 v[46:49], v[2:3]
	s_wait_loadcnt_dscnt 0x0
	ds_store_2addr_b64 v7, v[46:47], v[48:49] offset1:1
.LBB553_14:                             ;   in Loop: Header=BB553_10 Depth=2
	s_wait_xcnt 0x0
	s_or_b32 exec_lo, exec_lo, s22
	v_add_nc_u32_e32 v0, s14, v6
	s_delay_alu instid0(VALU_DEP_1) | instskip(SKIP_1) | instid1(SALU_CYCLE_1)
	v_cmp_le_u64_e32 vcc_lo, s[8:9], v[0:1]
	s_or_b32 s17, vcc_lo, s16
	s_and_saveexec_b32 s22, s17
	s_delay_alu instid0(SALU_CYCLE_1)
	s_xor_b32 s17, exec_lo, s22
; %bb.15:                               ;   in Loop: Header=BB553_10 Depth=2
	v_dual_mov_b32 v0, v1 :: v_dual_mov_b32 v2, v1
	v_mov_b32_e32 v3, v1
	ds_store_b128 v9, v[0:3]
; %bb.16:                               ;   in Loop: Header=BB553_10 Depth=2
	s_and_not1_saveexec_b32 s17, s17
	s_cbranch_execz .LBB553_9
; %bb.17:                               ;   in Loop: Header=BB553_10 Depth=2
	v_mul_u64_e32 v[2:3], s[20:21], v[0:1]
	s_delay_alu instid0(VALU_DEP_1)
	v_lshl_add_u64 v[2:3], v[2:3], 4, v[30:31]
	flat_load_b128 v[46:49], v[2:3]
	s_wait_loadcnt_dscnt 0x0
	ds_store_2addr_b64 v9, v[46:47], v[48:49] offset1:1
	s_branch .LBB553_9
.LBB553_18:                             ;   in Loop: Header=BB553_10 Depth=2
	v_add_nc_u32_e32 v0, s14, v8
	s_and_not1_b32 s23, s25, exec_lo
	s_mov_b32 s17, exec_lo
	s_delay_alu instid0(VALU_DEP_1) | instskip(SKIP_2) | instid1(SALU_CYCLE_1)
	v_cmp_le_u64_e32 vcc_lo, s[8:9], v[0:1]
	v_mov_b64_e32 v[22:23], v[0:1]
	s_and_b32 s30, vcc_lo, exec_lo
	s_or_b32 s23, s23, s30
	s_or_b32 exec_lo, exec_lo, s22
	s_and_saveexec_b32 s22, s23
	s_delay_alu instid0(SALU_CYCLE_1)
	s_xor_b32 s22, exec_lo, s22
	s_cbranch_execz .LBB553_12
.LBB553_19:                             ;   in Loop: Header=BB553_10 Depth=2
	v_dual_mov_b32 v0, v1 :: v_dual_mov_b32 v2, v1
	v_mov_b32_e32 v3, v1
	s_and_not1_b32 s17, s17, exec_lo
	ds_store_b128 v7, v[0:3]
	s_or_b32 exec_lo, exec_lo, s22
	s_and_saveexec_b32 s22, s17
	s_cbranch_execnz .LBB553_13
	s_branch .LBB553_14
.LBB553_20:                             ;   in Loop: Header=BB553_7 Depth=1
	v_mov_b64_e32 v[42:43], 0
	v_mov_b64_e32 v[36:37], 0
	;; [unrolled: 1-line block ×7, first 2 shown]
.LBB553_21:                             ;   in Loop: Header=BB553_7 Depth=1
	s_wait_loadcnt 0x0
	v_add_nc_u64_e32 v[28:29], s[10:11], v[4:5]
	s_delay_alu instid0(VALU_DEP_1)
	v_lshl_add_u64 v[30:31], v[14:15], 4, v[28:29]
	s_wait_xcnt 0x0
	s_and_saveexec_b32 s14, s29
	s_cbranch_execz .LBB553_26
; %bb.22:                               ;   in Loop: Header=BB553_7 Depth=1
	v_mul_f64_e32 v[2:3], s[42:43], v[42:43]
	v_mul_f64_e32 v[4:5], s[40:41], v[42:43]
	s_and_b32 vcc_lo, exec_lo, s28
	s_mov_b32 s15, -1
	s_delay_alu instid0(VALU_DEP_2) | instskip(NEXT) | instid1(VALU_DEP_2)
	v_fma_f64 v[2:3], s[40:41], v[40:41], -v[2:3]
	v_fmac_f64_e32 v[4:5], s[42:43], v[40:41]
	v_lshl_add_u64 v[40:41], v[18:19], 4, v[30:31]
	s_cbranch_vccz .LBB553_24
; %bb.23:                               ;   in Loop: Header=BB553_7 Depth=1
	flat_load_b128 v[46:49], v[40:41]
	s_mov_b32 s15, 0
	s_wait_loadcnt_dscnt 0x0
	v_mul_f64_e32 v[42:43], s[38:39], v[48:49]
	v_mul_f64_e32 v[48:49], s[36:37], v[48:49]
	s_delay_alu instid0(VALU_DEP_2) | instskip(NEXT) | instid1(VALU_DEP_2)
	v_fma_f64 v[42:43], s[36:37], v[46:47], -v[42:43]
	v_fmac_f64_e32 v[48:49], s[38:39], v[46:47]
	s_delay_alu instid0(VALU_DEP_2) | instskip(NEXT) | instid1(VALU_DEP_2)
	v_add_f64_e32 v[46:47], v[2:3], v[42:43]
	v_add_f64_e32 v[48:49], v[4:5], v[48:49]
	flat_store_b128 v[40:41], v[46:49]
.LBB553_24:                             ;   in Loop: Header=BB553_7 Depth=1
	s_and_not1_b32 vcc_lo, exec_lo, s15
	s_cbranch_vccnz .LBB553_26
; %bb.25:                               ;   in Loop: Header=BB553_7 Depth=1
	flat_store_b128 v[40:41], v[2:5]
.LBB553_26:                             ;   in Loop: Header=BB553_7 Depth=1
	s_wait_xcnt 0x0
	s_or_b32 exec_lo, exec_lo, s14
	s_and_saveexec_b32 s14, s33
	s_cbranch_execz .LBB553_31
; %bb.27:                               ;   in Loop: Header=BB553_7 Depth=1
	v_mul_f64_e32 v[2:3], s[42:43], v[38:39]
	v_mul_f64_e32 v[4:5], s[40:41], v[38:39]
	v_lshl_add_u64 v[30:31], v[20:21], 4, v[30:31]
	s_and_not1_b32 vcc_lo, exec_lo, s28
	s_mov_b32 s15, -1
	s_delay_alu instid0(VALU_DEP_3) | instskip(NEXT) | instid1(VALU_DEP_3)
	v_fma_f64 v[2:3], s[40:41], v[36:37], -v[2:3]
	v_fmac_f64_e32 v[4:5], s[42:43], v[36:37]
	s_cbranch_vccnz .LBB553_29
; %bb.28:                               ;   in Loop: Header=BB553_7 Depth=1
	flat_load_b128 v[36:39], v[30:31]
	s_mov_b32 s15, 0
	s_wait_loadcnt_dscnt 0x0
	v_mul_f64_e32 v[40:41], s[38:39], v[38:39]
	v_mul_f64_e32 v[38:39], s[36:37], v[38:39]
	s_delay_alu instid0(VALU_DEP_2) | instskip(NEXT) | instid1(VALU_DEP_2)
	v_fma_f64 v[40:41], s[36:37], v[36:37], -v[40:41]
	v_fmac_f64_e32 v[38:39], s[38:39], v[36:37]
	s_delay_alu instid0(VALU_DEP_2) | instskip(NEXT) | instid1(VALU_DEP_2)
	v_add_f64_e32 v[36:37], v[2:3], v[40:41]
	v_add_f64_e32 v[38:39], v[4:5], v[38:39]
	flat_store_b128 v[30:31], v[36:39]
.LBB553_29:                             ;   in Loop: Header=BB553_7 Depth=1
	s_and_not1_b32 vcc_lo, exec_lo, s15
	s_cbranch_vccnz .LBB553_31
; %bb.30:                               ;   in Loop: Header=BB553_7 Depth=1
	flat_store_b128 v[30:31], v[2:5]
.LBB553_31:                             ;   in Loop: Header=BB553_7 Depth=1
	s_wait_xcnt 0x0
	s_or_b32 exec_lo, exec_lo, s14
	v_lshl_add_u64 v[28:29], v[16:17], 4, v[28:29]
	s_and_saveexec_b32 s14, s1
	s_cbranch_execz .LBB553_36
; %bb.32:                               ;   in Loop: Header=BB553_7 Depth=1
	v_mul_f64_e32 v[2:3], s[42:43], v[34:35]
	v_mul_f64_e32 v[4:5], s[40:41], v[34:35]
	v_lshl_add_u64 v[30:31], v[18:19], 4, v[28:29]
	s_and_not1_b32 vcc_lo, exec_lo, s28
	s_mov_b32 s15, -1
	s_delay_alu instid0(VALU_DEP_3) | instskip(NEXT) | instid1(VALU_DEP_3)
	v_fma_f64 v[2:3], s[40:41], v[32:33], -v[2:3]
	v_fmac_f64_e32 v[4:5], s[42:43], v[32:33]
	s_cbranch_vccnz .LBB553_34
; %bb.33:                               ;   in Loop: Header=BB553_7 Depth=1
	flat_load_b128 v[32:35], v[30:31]
	s_mov_b32 s15, 0
	s_wait_loadcnt_dscnt 0x0
	v_mul_f64_e32 v[36:37], s[38:39], v[34:35]
	v_mul_f64_e32 v[34:35], s[36:37], v[34:35]
	s_delay_alu instid0(VALU_DEP_2) | instskip(NEXT) | instid1(VALU_DEP_2)
	v_fma_f64 v[36:37], s[36:37], v[32:33], -v[36:37]
	v_fmac_f64_e32 v[34:35], s[38:39], v[32:33]
	s_delay_alu instid0(VALU_DEP_2) | instskip(NEXT) | instid1(VALU_DEP_2)
	v_add_f64_e32 v[32:33], v[2:3], v[36:37]
	v_add_f64_e32 v[34:35], v[4:5], v[34:35]
	flat_store_b128 v[30:31], v[32:35]
.LBB553_34:                             ;   in Loop: Header=BB553_7 Depth=1
	s_and_not1_b32 vcc_lo, exec_lo, s15
	s_cbranch_vccnz .LBB553_36
; %bb.35:                               ;   in Loop: Header=BB553_7 Depth=1
	flat_store_b128 v[30:31], v[2:5]
.LBB553_36:                             ;   in Loop: Header=BB553_7 Depth=1
	s_wait_xcnt 0x0
	s_or_b32 exec_lo, exec_lo, s14
	s_and_saveexec_b32 s14, s34
	s_cbranch_execz .LBB553_6
; %bb.37:                               ;   in Loop: Header=BB553_7 Depth=1
	s_delay_alu instid0(VALU_DEP_4) | instskip(SKIP_4) | instid1(VALU_DEP_3)
	v_mul_f64_e32 v[2:3], s[42:43], v[24:25]
	v_mul_f64_e32 v[4:5], s[40:41], v[24:25]
	v_lshl_add_u64 v[24:25], v[20:21], 4, v[28:29]
	s_and_not1_b32 vcc_lo, exec_lo, s28
	s_mov_b32 s15, -1
	v_fma_f64 v[2:3], s[40:41], v[26:27], -v[2:3]
	s_delay_alu instid0(VALU_DEP_3)
	v_fmac_f64_e32 v[4:5], s[42:43], v[26:27]
	s_cbranch_vccnz .LBB553_39
; %bb.38:                               ;   in Loop: Header=BB553_7 Depth=1
	flat_load_b128 v[26:29], v[24:25]
	s_mov_b32 s15, 0
	s_wait_loadcnt_dscnt 0x0
	v_mul_f64_e32 v[30:31], s[38:39], v[28:29]
	v_mul_f64_e32 v[28:29], s[36:37], v[28:29]
	s_delay_alu instid0(VALU_DEP_2) | instskip(NEXT) | instid1(VALU_DEP_2)
	v_fma_f64 v[30:31], s[36:37], v[26:27], -v[30:31]
	v_fmac_f64_e32 v[28:29], s[38:39], v[26:27]
	s_delay_alu instid0(VALU_DEP_2) | instskip(NEXT) | instid1(VALU_DEP_2)
	v_add_f64_e32 v[26:27], v[2:3], v[30:31]
	v_add_f64_e32 v[28:29], v[4:5], v[28:29]
	flat_store_b128 v[24:25], v[26:29]
.LBB553_39:                             ;   in Loop: Header=BB553_7 Depth=1
	s_and_not1_b32 vcc_lo, exec_lo, s15
	s_cbranch_vccnz .LBB553_6
; %bb.40:                               ;   in Loop: Header=BB553_7 Depth=1
	flat_store_b128 v[24:25], v[2:5]
	s_branch .LBB553_6
.LBB553_41:
.LBB553_42:
	s_sendmsg sendmsg(MSG_DEALLOC_VGPRS)
	s_endpgm
	.section	.rodata,"a",@progbits
	.p2align	6, 0x0
	.amdhsa_kernel _ZL29rocblas_internal_gemmt_kernelIlLi16ELi32ELi8ELc84ELc84ELc76ELb0ELb0E19rocblas_complex_numIdEPKS1_PKS3_PKPS1_EviT_T9_T10_S9_lSB_S9_lSA_T11_S9_li
		.amdhsa_group_segment_fixed_size 8192
		.amdhsa_private_segment_fixed_size 0
		.amdhsa_kernarg_size 108
		.amdhsa_user_sgpr_count 2
		.amdhsa_user_sgpr_dispatch_ptr 0
		.amdhsa_user_sgpr_queue_ptr 0
		.amdhsa_user_sgpr_kernarg_segment_ptr 1
		.amdhsa_user_sgpr_dispatch_id 0
		.amdhsa_user_sgpr_kernarg_preload_length 0
		.amdhsa_user_sgpr_kernarg_preload_offset 0
		.amdhsa_user_sgpr_private_segment_size 0
		.amdhsa_wavefront_size32 1
		.amdhsa_uses_dynamic_stack 0
		.amdhsa_enable_private_segment 0
		.amdhsa_system_sgpr_workgroup_id_x 1
		.amdhsa_system_sgpr_workgroup_id_y 1
		.amdhsa_system_sgpr_workgroup_id_z 1
		.amdhsa_system_sgpr_workgroup_info 0
		.amdhsa_system_vgpr_workitem_id 1
		.amdhsa_next_free_vgpr 134
		.amdhsa_next_free_sgpr 45
		.amdhsa_named_barrier_count 0
		.amdhsa_reserve_vcc 1
		.amdhsa_float_round_mode_32 0
		.amdhsa_float_round_mode_16_64 0
		.amdhsa_float_denorm_mode_32 3
		.amdhsa_float_denorm_mode_16_64 3
		.amdhsa_fp16_overflow 0
		.amdhsa_memory_ordered 1
		.amdhsa_forward_progress 1
		.amdhsa_inst_pref_size 24
		.amdhsa_round_robin_scheduling 0
		.amdhsa_exception_fp_ieee_invalid_op 0
		.amdhsa_exception_fp_denorm_src 0
		.amdhsa_exception_fp_ieee_div_zero 0
		.amdhsa_exception_fp_ieee_overflow 0
		.amdhsa_exception_fp_ieee_underflow 0
		.amdhsa_exception_fp_ieee_inexact 0
		.amdhsa_exception_int_div_zero 0
	.end_amdhsa_kernel
	.section	.text._ZL29rocblas_internal_gemmt_kernelIlLi16ELi32ELi8ELc84ELc84ELc76ELb0ELb0E19rocblas_complex_numIdEPKS1_PKS3_PKPS1_EviT_T9_T10_S9_lSB_S9_lSA_T11_S9_li,"axG",@progbits,_ZL29rocblas_internal_gemmt_kernelIlLi16ELi32ELi8ELc84ELc84ELc76ELb0ELb0E19rocblas_complex_numIdEPKS1_PKS3_PKPS1_EviT_T9_T10_S9_lSB_S9_lSA_T11_S9_li,comdat
.Lfunc_end553:
	.size	_ZL29rocblas_internal_gemmt_kernelIlLi16ELi32ELi8ELc84ELc84ELc76ELb0ELb0E19rocblas_complex_numIdEPKS1_PKS3_PKPS1_EviT_T9_T10_S9_lSB_S9_lSA_T11_S9_li, .Lfunc_end553-_ZL29rocblas_internal_gemmt_kernelIlLi16ELi32ELi8ELc84ELc84ELc76ELb0ELb0E19rocblas_complex_numIdEPKS1_PKS3_PKPS1_EviT_T9_T10_S9_lSB_S9_lSA_T11_S9_li
                                        ; -- End function
	.set _ZL29rocblas_internal_gemmt_kernelIlLi16ELi32ELi8ELc84ELc84ELc76ELb0ELb0E19rocblas_complex_numIdEPKS1_PKS3_PKPS1_EviT_T9_T10_S9_lSB_S9_lSA_T11_S9_li.num_vgpr, 134
	.set _ZL29rocblas_internal_gemmt_kernelIlLi16ELi32ELi8ELc84ELc84ELc76ELb0ELb0E19rocblas_complex_numIdEPKS1_PKS3_PKPS1_EviT_T9_T10_S9_lSB_S9_lSA_T11_S9_li.num_agpr, 0
	.set _ZL29rocblas_internal_gemmt_kernelIlLi16ELi32ELi8ELc84ELc84ELc76ELb0ELb0E19rocblas_complex_numIdEPKS1_PKS3_PKPS1_EviT_T9_T10_S9_lSB_S9_lSA_T11_S9_li.numbered_sgpr, 45
	.set _ZL29rocblas_internal_gemmt_kernelIlLi16ELi32ELi8ELc84ELc84ELc76ELb0ELb0E19rocblas_complex_numIdEPKS1_PKS3_PKPS1_EviT_T9_T10_S9_lSB_S9_lSA_T11_S9_li.num_named_barrier, 0
	.set _ZL29rocblas_internal_gemmt_kernelIlLi16ELi32ELi8ELc84ELc84ELc76ELb0ELb0E19rocblas_complex_numIdEPKS1_PKS3_PKPS1_EviT_T9_T10_S9_lSB_S9_lSA_T11_S9_li.private_seg_size, 0
	.set _ZL29rocblas_internal_gemmt_kernelIlLi16ELi32ELi8ELc84ELc84ELc76ELb0ELb0E19rocblas_complex_numIdEPKS1_PKS3_PKPS1_EviT_T9_T10_S9_lSB_S9_lSA_T11_S9_li.uses_vcc, 1
	.set _ZL29rocblas_internal_gemmt_kernelIlLi16ELi32ELi8ELc84ELc84ELc76ELb0ELb0E19rocblas_complex_numIdEPKS1_PKS3_PKPS1_EviT_T9_T10_S9_lSB_S9_lSA_T11_S9_li.uses_flat_scratch, 0
	.set _ZL29rocblas_internal_gemmt_kernelIlLi16ELi32ELi8ELc84ELc84ELc76ELb0ELb0E19rocblas_complex_numIdEPKS1_PKS3_PKPS1_EviT_T9_T10_S9_lSB_S9_lSA_T11_S9_li.has_dyn_sized_stack, 0
	.set _ZL29rocblas_internal_gemmt_kernelIlLi16ELi32ELi8ELc84ELc84ELc76ELb0ELb0E19rocblas_complex_numIdEPKS1_PKS3_PKPS1_EviT_T9_T10_S9_lSB_S9_lSA_T11_S9_li.has_recursion, 0
	.set _ZL29rocblas_internal_gemmt_kernelIlLi16ELi32ELi8ELc84ELc84ELc76ELb0ELb0E19rocblas_complex_numIdEPKS1_PKS3_PKPS1_EviT_T9_T10_S9_lSB_S9_lSA_T11_S9_li.has_indirect_call, 0
	.section	.AMDGPU.csdata,"",@progbits
; Kernel info:
; codeLenInByte = 3032
; TotalNumSgprs: 47
; NumVgprs: 134
; ScratchSize: 0
; MemoryBound: 0
; FloatMode: 240
; IeeeMode: 1
; LDSByteSize: 8192 bytes/workgroup (compile time only)
; SGPRBlocks: 0
; VGPRBlocks: 8
; NumSGPRsForWavesPerEU: 47
; NumVGPRsForWavesPerEU: 134
; NamedBarCnt: 0
; Occupancy: 7
; WaveLimiterHint : 1
; COMPUTE_PGM_RSRC2:SCRATCH_EN: 0
; COMPUTE_PGM_RSRC2:USER_SGPR: 2
; COMPUTE_PGM_RSRC2:TRAP_HANDLER: 0
; COMPUTE_PGM_RSRC2:TGID_X_EN: 1
; COMPUTE_PGM_RSRC2:TGID_Y_EN: 1
; COMPUTE_PGM_RSRC2:TGID_Z_EN: 1
; COMPUTE_PGM_RSRC2:TIDIG_COMP_CNT: 1
	.section	.text._ZL29rocblas_internal_gemmt_kernelIlLi16ELi32ELi8ELc84ELc67ELc76ELb0ELb1E19rocblas_complex_numIdEPKS1_PKS3_PKPS1_EviT_T9_T10_S9_lSB_S9_lSA_T11_S9_li,"axG",@progbits,_ZL29rocblas_internal_gemmt_kernelIlLi16ELi32ELi8ELc84ELc67ELc76ELb0ELb1E19rocblas_complex_numIdEPKS1_PKS3_PKPS1_EviT_T9_T10_S9_lSB_S9_lSA_T11_S9_li,comdat
	.globl	_ZL29rocblas_internal_gemmt_kernelIlLi16ELi32ELi8ELc84ELc67ELc76ELb0ELb1E19rocblas_complex_numIdEPKS1_PKS3_PKPS1_EviT_T9_T10_S9_lSB_S9_lSA_T11_S9_li ; -- Begin function _ZL29rocblas_internal_gemmt_kernelIlLi16ELi32ELi8ELc84ELc67ELc76ELb0ELb1E19rocblas_complex_numIdEPKS1_PKS3_PKPS1_EviT_T9_T10_S9_lSB_S9_lSA_T11_S9_li
	.p2align	8
	.type	_ZL29rocblas_internal_gemmt_kernelIlLi16ELi32ELi8ELc84ELc67ELc76ELb0ELb1E19rocblas_complex_numIdEPKS1_PKS3_PKPS1_EviT_T9_T10_S9_lSB_S9_lSA_T11_S9_li,@function
_ZL29rocblas_internal_gemmt_kernelIlLi16ELi32ELi8ELc84ELc67ELc76ELb0ELb1E19rocblas_complex_numIdEPKS1_PKS3_PKPS1_EviT_T9_T10_S9_lSB_S9_lSA_T11_S9_li: ; @_ZL29rocblas_internal_gemmt_kernelIlLi16ELi32ELi8ELc84ELc67ELc76ELb0ELb1E19rocblas_complex_numIdEPKS1_PKS3_PKPS1_EviT_T9_T10_S9_lSB_S9_lSA_T11_S9_li
; %bb.0:
	s_clause 0x1
	s_load_b256 s[24:31], s[0:1], 0x48
	s_load_b512 s[8:23], s[0:1], 0x8
	s_wait_kmcnt 0x0
	s_load_b128 s[36:39], s[24:25], 0x0
	s_load_b128 s[40:43], s[10:11], 0x0
	s_wait_kmcnt 0x0
	v_cmp_eq_f64_e64 s3, s[36:37], 1.0
	v_cmp_eq_f64_e64 s2, s[38:39], 0
	s_and_b32 s3, s3, s2
	s_delay_alu instid0(SALU_CYCLE_1)
	s_and_not1_b32 vcc_lo, exec_lo, s3
	s_mov_b32 s3, -1
	s_cbranch_vccnz .LBB554_3
; %bb.1:
	s_cmp_lg_u64 s[8:9], 0
	s_cbranch_scc0 .LBB554_39
; %bb.2:
	v_cmp_neq_f64_e64 s3, s[40:41], 0
	v_cmp_neq_f64_e64 s4, s[42:43], 0
	s_or_b32 s3, s3, s4
.LBB554_3:
	s_delay_alu instid0(SALU_CYCLE_1)
	s_and_b32 vcc_lo, exec_lo, s3
	s_cbranch_vccz .LBB554_40
; %bb.4:
	s_load_b32 s24, s[0:1], 0x68
	s_bfe_u32 s3, ttmp6, 0x40014
	s_lshr_b32 s4, ttmp7, 16
	s_add_co_i32 s3, s3, 1
	s_bfe_u32 s6, ttmp6, 0x40008
	s_mul_i32 s5, s4, s3
	s_getreg_b32 s3, hwreg(HW_REG_IB_STS2, 6, 4)
	s_add_co_i32 s6, s6, s5
	s_cmp_eq_u32 s3, 0
	s_mov_b32 s7, 0
	s_cselect_b32 s6, s4, s6
	s_wait_kmcnt 0x0
	s_cmp_ge_u32 s6, s24
	s_cbranch_scc1 .LBB554_40
; %bb.5:
	s_load_b32 s10, s[0:1], 0x0
	s_wait_xcnt 0x0
	s_bfe_u32 s1, ttmp6, 0x4000c
	s_bfe_u32 s25, ttmp6, 0x40010
	s_and_b32 s11, ttmp7, 0xffff
	s_add_co_i32 s1, s1, 1
	s_add_co_i32 s25, s25, 1
	v_and_b32_e32 v19, 0x3ff, v0
	v_bfe_u32 v21, v0, 10, 10
	s_and_b32 s0, ttmp6, 15
	s_bfe_u32 s33, ttmp6, 0x40004
	s_mul_i32 s1, ttmp9, s1
	s_mul_i32 s25, s11, s25
	s_add_co_i32 s0, s0, s1
	s_add_co_i32 s33, s33, s25
	s_cmp_eq_u32 s3, 0
	v_lshl_add_u32 v1, v21, 4, v19
	s_cselect_b32 s1, s11, s33
	s_cselect_b32 s0, ttmp9, s0
	s_lshl_b32 s1, s1, 5
	s_delay_alu instid0(VALU_DEP_1)
	v_dual_lshrrev_b32 v7, 3, v1 :: v_dual_bitop2_b32 v6, 7, v0 bitop3:0x40
	v_dual_lshrrev_b32 v8, 5, v1 :: v_dual_bitop2_b32 v9, 31, v1 bitop3:0x40
	v_add_nc_u32_e32 v0, s1, v21
	v_cmp_neq_f64_e64 s4, s[40:41], 0
	v_cmp_neq_f64_e64 s5, s[42:43], 0
	s_lshl_b32 s11, s0, 5
	s_delay_alu instid0(SALU_CYCLE_1) | instskip(SKIP_3) | instid1(VALU_DEP_3)
	v_dual_add_nc_u32 v10, s1, v7 :: v_dual_bitop2_b32 v2, s11, v9 bitop3:0x54
	v_add_nc_u32_e32 v4, 16, v0
	v_cmp_neq_f64_e64 s3, s[36:37], 0
	v_dual_ashrrev_i32 v1, 31, v0 :: v_dual_lshlrev_b32 v11, 4, v6
	v_dual_ashrrev_i32 v3, 31, v2 :: v_dual_ashrrev_i32 v5, 31, v4
	v_dual_lshlrev_b32 v9, 4, v9 :: v_dual_add_nc_u32 v18, s11, v19
	s_delay_alu instid0(VALU_DEP_3) | instskip(NEXT) | instid1(VALU_DEP_3)
	v_mul_u64_e32 v[14:15], s[28:29], v[0:1]
	v_mul_u64_e32 v[12:13], s[14:15], v[2:3]
	s_delay_alu instid0(VALU_DEP_4)
	v_mul_u64_e32 v[16:17], s[28:29], v[4:5]
	v_lshl_or_b32 v1, v7, 7, v11
	v_add_nc_u32_e32 v20, 16, v18
	v_cmp_le_i32_e32 vcc_lo, v0, v18
	v_cmp_gt_i64_e64 s44, s[8:9], 0
	v_dual_ashrrev_i32 v11, 31, v10 :: v_dual_lshlrev_b32 v46, 4, v19
	v_ashrrev_i32_e32 v19, 31, v18
	s_wait_kmcnt 0x0
	v_cmp_gt_i32_e64 s0, s10, v2
	v_cmp_le_i32_e64 s25, s10, v2
	v_lshl_or_b32 v7, v8, 9, v9
	v_cmp_gt_i32_e64 s1, s10, v10
	v_add_nc_u32_e32 v9, 0x1000, v1
	v_lshl_add_u32 v47, v21, 7, 0x1000
	v_dual_ashrrev_i32 v21, 31, v20 :: v_dual_mov_b32 v1, 0
                                        ; implicit-def: $vgpr22_vgpr23
	s_or_b32 s45, s4, s5
	s_xor_b32 s4, s2, -1
	v_cmp_gt_i32_e64 s2, s10, v18
	v_cmp_le_i32_e64 s5, v4, v20
	s_and_b32 s44, s45, s44
	s_or_b32 s28, s3, s4
	v_cmp_le_i32_e64 s3, v0, v20
	v_cmp_gt_i32_e64 s4, s10, v20
	s_and_b32 s29, vcc_lo, s2
	v_cmp_le_i32_e32 vcc_lo, v4, v18
	s_lshl_b64 s[10:11], s[30:31], 4
	s_and_b32 s33, s3, s4
	s_and_b32 s35, s5, s4
	s_and_b32 s34, vcc_lo, s2
	s_lshl_b64 s[2:3], s[22:23], 4
	s_lshl_b64 s[4:5], s[16:17], 4
	s_branch .LBB554_7
.LBB554_6:                              ;   in Loop: Header=BB554_7 Depth=1
	s_wait_xcnt 0x0
	s_or_b32 exec_lo, exec_lo, s14
	s_add_co_i32 s6, s6, 0x10000
	s_delay_alu instid0(SALU_CYCLE_1)
	s_cmp_lt_u32 s6, s24
	s_cbranch_scc0 .LBB554_40
.LBB554_7:                              ; =>This Loop Header: Depth=1
                                        ;     Child Loop BB554_10 Depth 2
	v_mov_b32_e32 v0, s6
	v_mov_b64_e32 v[42:43], 0
	s_and_not1_b32 vcc_lo, exec_lo, s44
	global_load_b64 v[24:25], v0, s[26:27] scale_offset
	s_cbranch_vccnz .LBB554_18
; %bb.8:                                ;   in Loop: Header=BB554_7 Depth=1
	s_lshl_b64 s[14:15], s[6:7], 3
	v_mov_b64_e32 v[26:27], 0
	s_add_nc_u64 s[16:17], s[12:13], s[14:15]
	s_add_nc_u64 s[14:15], s[18:19], s[14:15]
	s_clause 0x1
	global_load_b64 v[2:3], v1, s[16:17]
	global_load_b64 v[4:5], v1, s[14:15]
	v_mov_b64_e32 v[28:29], 0
	v_mov_b64_e32 v[36:37], 0
	;; [unrolled: 1-line block ×7, first 2 shown]
	s_wait_xcnt 0x0
	s_mov_b64 s[14:15], 0
	s_wait_loadcnt 0x1
	v_add_nc_u64_e32 v[2:3], s[4:5], v[2:3]
	s_wait_loadcnt 0x0
	v_add_nc_u64_e32 v[4:5], s[2:3], v[4:5]
	s_delay_alu instid0(VALU_DEP_2) | instskip(NEXT) | instid1(VALU_DEP_2)
	v_lshl_add_u64 v[30:31], v[12:13], 4, v[2:3]
	v_lshl_add_u64 v[32:33], v[10:11], 4, v[4:5]
	s_branch .LBB554_10
.LBB554_9:                              ;   in Loop: Header=BB554_10 Depth=2
	s_wait_xcnt 0x0
	s_or_b32 exec_lo, exec_lo, s16
	ds_store_b128 v9, v[2:5]
	s_wait_dscnt 0x0
	s_barrier_signal -1
	s_barrier_wait -1
	ds_load_b128 v[2:5], v47
	ds_load_b128 v[48:51], v46
	ds_load_b128 v[52:55], v46 offset:256
	ds_load_b128 v[56:59], v47 offset:2048
	ds_load_b128 v[60:63], v47 offset:16
	ds_load_b128 v[64:67], v46 offset:512
	ds_load_b128 v[68:71], v46 offset:768
	ds_load_b128 v[72:75], v47 offset:2064
	ds_load_b128 v[76:79], v47 offset:32
	ds_load_b128 v[80:83], v46 offset:1024
	ds_load_b128 v[84:87], v46 offset:1280
	ds_load_b128 v[88:91], v47 offset:2080
	s_add_nc_u64 s[14:15], s[14:15], 8
	s_delay_alu instid0(SALU_CYCLE_1)
	v_cmp_gt_i64_e64 s16, s[8:9], s[14:15]
	s_and_b32 vcc_lo, exec_lo, s16
	s_wait_dscnt 0xa
	v_mul_f64_e32 v[92:93], v[4:5], v[50:51]
	v_mul_f64_e32 v[94:95], v[2:3], v[50:51]
	s_wait_dscnt 0x9
	v_mul_f64_e32 v[96:97], v[4:5], v[54:55]
	v_mul_f64_e32 v[98:99], v[2:3], v[54:55]
	s_wait_dscnt 0x8
	v_mul_f64_e32 v[100:101], v[58:59], v[50:51]
	v_mul_f64_e32 v[102:103], v[56:57], v[50:51]
	v_mul_f64_e32 v[50:51], v[58:59], v[54:55]
	v_mul_f64_e32 v[104:105], v[56:57], v[54:55]
	s_wait_dscnt 0x6
	v_mul_f64_e32 v[106:107], v[62:63], v[66:67]
	v_mul_f64_e32 v[108:109], v[60:61], v[66:67]
	s_wait_dscnt 0x5
	v_mul_f64_e32 v[110:111], v[62:63], v[70:71]
	v_mul_f64_e32 v[112:113], v[60:61], v[70:71]
	s_wait_dscnt 0x4
	v_mul_f64_e32 v[114:115], v[74:75], v[66:67]
	v_mul_f64_e32 v[66:67], v[72:73], v[66:67]
	v_mul_f64_e32 v[116:117], v[74:75], v[70:71]
	v_mul_f64_e32 v[70:71], v[72:73], v[70:71]
	;; [unrolled: 11-line block ×3, first 2 shown]
	v_fma_f64 v[92:93], v[2:3], v[48:49], -v[92:93]
	v_fmac_f64_e32 v[94:95], v[4:5], v[48:49]
	v_fma_f64 v[96:97], v[2:3], v[52:53], -v[96:97]
	v_fmac_f64_e32 v[98:99], v[4:5], v[52:53]
	;; [unrolled: 2-line block ×8, first 2 shown]
	ds_load_b128 v[2:5], v47 offset:48
	ds_load_b128 v[48:51], v47 offset:2096
	;; [unrolled: 1-line block ×4, first 2 shown]
	v_fma_f64 v[120:121], v[76:77], v[80:81], -v[120:121]
	v_fmac_f64_e32 v[122:123], v[78:79], v[80:81]
	v_fma_f64 v[76:77], v[76:77], v[84:85], -v[124:125]
	v_fmac_f64_e32 v[126:127], v[78:79], v[84:85]
	;; [unrolled: 2-line block ×4, first 2 shown]
	v_add_f64_e32 v[68:69], v[42:43], v[92:93]
	v_add_f64_e32 v[72:73], v[94:95], v[44:45]
	;; [unrolled: 1-line block ×8, first 2 shown]
	s_wait_dscnt 0x1
	v_mul_f64_e32 v[102:103], v[4:5], v[54:55]
	v_mul_f64_e32 v[104:105], v[2:3], v[54:55]
	s_wait_dscnt 0x0
	v_mul_f64_e32 v[110:111], v[4:5], v[58:59]
	v_mul_f64_e32 v[114:115], v[2:3], v[58:59]
	v_mul_f64_e32 v[116:117], v[50:51], v[54:55]
	v_mul_f64_e32 v[118:119], v[48:49], v[54:55]
	v_mul_f64_e32 v[54:55], v[50:51], v[58:59]
	v_mul_f64_e32 v[132:133], v[48:49], v[58:59]
	ds_load_b128 v[26:29], v47 offset:64
	ds_load_b128 v[34:37], v46 offset:2048
	;; [unrolled: 1-line block ×4, first 2 shown]
	v_add_f64_e32 v[84:85], v[68:69], v[106:107]
	v_add_f64_e32 v[88:89], v[108:109], v[72:73]
	;; [unrolled: 1-line block ×8, first 2 shown]
	s_wait_dscnt 0x2
	v_mul_f64_e32 v[100:101], v[28:29], v[36:37]
	v_mul_f64_e32 v[106:107], v[26:27], v[36:37]
	s_wait_dscnt 0x1
	v_mul_f64_e32 v[108:109], v[28:29], v[40:41]
	v_mul_f64_e32 v[112:113], v[26:27], v[40:41]
	;; [unrolled: 3-line block ×3, first 2 shown]
	v_mul_f64_e32 v[36:37], v[44:45], v[40:41]
	v_mul_f64_e32 v[130:131], v[42:43], v[40:41]
	v_fma_f64 v[40:41], v[2:3], v[52:53], -v[102:103]
	v_fmac_f64_e32 v[104:105], v[4:5], v[52:53]
	v_fma_f64 v[102:103], v[2:3], v[56:57], -v[110:111]
	v_fmac_f64_e32 v[114:115], v[4:5], v[56:57]
	;; [unrolled: 2-line block ×4, first 2 shown]
	ds_load_b128 v[58:61], v47 offset:80
	ds_load_b128 v[62:65], v47 offset:2128
	ds_load_b128 v[66:69], v46 offset:2560
	ds_load_b128 v[70:73], v46 offset:2816
	v_add_f64_e32 v[56:57], v[84:85], v[120:121]
	v_add_f64_e32 v[84:85], v[122:123], v[88:89]
	;; [unrolled: 1-line block ×8, first 2 shown]
	v_fma_f64 v[100:101], v[26:27], v[34:35], -v[100:101]
	v_fmac_f64_e32 v[106:107], v[28:29], v[34:35]
	v_fma_f64 v[108:109], v[26:27], v[38:39], -v[108:109]
	s_wait_dscnt 0x1
	v_mul_f64_e32 v[92:93], v[60:61], v[68:69]
	v_mul_f64_e32 v[94:95], v[58:59], v[68:69]
	s_wait_dscnt 0x0
	v_mul_f64_e32 v[96:97], v[60:61], v[72:73]
	v_mul_f64_e32 v[98:99], v[58:59], v[72:73]
	v_mul_f64_e32 v[120:121], v[64:65], v[68:69]
	v_mul_f64_e32 v[68:69], v[62:63], v[68:69]
	v_mul_f64_e32 v[122:123], v[64:65], v[72:73]
	v_mul_f64_e32 v[72:73], v[62:63], v[72:73]
	v_fmac_f64_e32 v[112:113], v[28:29], v[38:39]
	v_fma_f64 v[124:125], v[42:43], v[34:35], -v[124:125]
	v_fmac_f64_e32 v[128:129], v[44:45], v[34:35]
	v_fma_f64 v[126:127], v[42:43], v[38:39], -v[36:37]
	v_fmac_f64_e32 v[130:131], v[44:45], v[38:39]
	ds_load_b128 v[2:5], v47 offset:96
	ds_load_b128 v[48:51], v46 offset:3072
	;; [unrolled: 1-line block ×4, first 2 shown]
	v_add_f64_e32 v[56:57], v[56:57], v[40:41]
	v_add_f64_e32 v[84:85], v[104:105], v[84:85]
	;; [unrolled: 1-line block ×8, first 2 shown]
	ds_load_b128 v[26:29], v47 offset:112
	ds_load_b128 v[34:37], v47 offset:2160
	;; [unrolled: 1-line block ×4, first 2 shown]
	s_wait_dscnt 0x0
	v_mul_f64_e32 v[102:103], v[4:5], v[50:51]
	v_mul_f64_e32 v[104:105], v[2:3], v[50:51]
	;; [unrolled: 1-line block ×8, first 2 shown]
	v_fma_f64 v[92:93], v[58:59], v[66:67], -v[92:93]
	v_fmac_f64_e32 v[94:95], v[60:61], v[66:67]
	v_fma_f64 v[58:59], v[58:59], v[70:71], -v[96:97]
	v_fmac_f64_e32 v[98:99], v[60:61], v[70:71]
	;; [unrolled: 2-line block ×4, first 2 shown]
	s_barrier_signal -1
	s_barrier_wait -1
	v_mul_f64_e32 v[96:97], v[26:27], v[44:45]
	v_add_f64_e32 v[56:57], v[56:57], v[100:101]
	v_add_f64_e32 v[64:65], v[106:107], v[84:85]
	;; [unrolled: 1-line block ×8, first 2 shown]
	v_mul_f64_e32 v[86:87], v[28:29], v[40:41]
	v_mul_f64_e32 v[88:89], v[26:27], v[40:41]
	v_mul_f64_e32 v[90:91], v[28:29], v[44:45]
	v_mul_f64_e32 v[100:101], v[36:37], v[40:41]
	v_mul_f64_e32 v[106:107], v[34:35], v[40:41]
	v_mul_f64_e32 v[40:41], v[36:37], v[44:45]
	v_mul_f64_e32 v[108:109], v[34:35], v[44:45]
	v_fma_f64 v[44:45], v[2:3], v[48:49], -v[102:103]
	v_fmac_f64_e32 v[104:105], v[4:5], v[48:49]
	v_fma_f64 v[2:3], v[2:3], v[52:53], -v[110:111]
	v_fmac_f64_e32 v[114:115], v[4:5], v[52:53]
	;; [unrolled: 2-line block ×4, first 2 shown]
	v_fmac_f64_e32 v[96:97], v[28:29], v[42:43]
	v_add_f64_e32 v[52:53], v[56:57], v[92:93]
	v_add_f64_e32 v[56:57], v[94:95], v[64:65]
	;; [unrolled: 1-line block ×8, first 2 shown]
	v_fma_f64 v[70:71], v[26:27], v[38:39], -v[86:87]
	v_fmac_f64_e32 v[88:89], v[28:29], v[38:39]
	v_fma_f64 v[26:27], v[26:27], v[42:43], -v[90:91]
	v_fma_f64 v[28:29], v[34:35], v[38:39], -v[100:101]
	v_fmac_f64_e32 v[106:107], v[36:37], v[38:39]
	v_fma_f64 v[72:73], v[34:35], v[42:43], -v[40:41]
	v_fmac_f64_e32 v[108:109], v[36:37], v[42:43]
	v_add_f64_e32 v[34:35], v[52:53], v[44:45]
	v_add_f64_e32 v[36:37], v[104:105], v[56:57]
	;; [unrolled: 1-line block ×16, first 2 shown]
	s_cbranch_vccz .LBB554_19
.LBB554_10:                             ;   Parent Loop BB554_7 Depth=1
                                        ; =>  This Inner Loop Header: Depth=2
	s_mov_b32 s16, 0
	s_mov_b32 s22, s25
	s_and_saveexec_b32 s17, s0
	s_cbranch_execnz .LBB554_16
; %bb.11:                               ;   in Loop: Header=BB554_10 Depth=2
	s_or_b32 exec_lo, exec_lo, s17
	s_and_saveexec_b32 s17, s22
	s_delay_alu instid0(SALU_CYCLE_1)
	s_xor_b32 s17, exec_lo, s17
	s_cbranch_execnz .LBB554_17
.LBB554_12:                             ;   in Loop: Header=BB554_10 Depth=2
	s_or_b32 exec_lo, exec_lo, s17
	s_and_saveexec_b32 s17, s16
	s_cbranch_execz .LBB554_14
.LBB554_13:                             ;   in Loop: Header=BB554_10 Depth=2
	v_lshl_add_u64 v[2:3], v[22:23], 4, v[30:31]
	flat_load_b128 v[2:5], v[2:3]
	s_wait_loadcnt_dscnt 0x0
	ds_store_2addr_b64 v7, v[2:3], v[4:5] offset1:1
.LBB554_14:                             ;   in Loop: Header=BB554_10 Depth=2
	s_wait_xcnt 0x0
	s_or_b32 exec_lo, exec_lo, s17
	v_add_nc_u32_e32 v0, s14, v6
	v_mov_b64_e32 v[2:3], 0
	v_mov_b64_e32 v[4:5], 0
	s_delay_alu instid0(VALU_DEP_3) | instskip(SKIP_1) | instid1(SALU_CYCLE_1)
	v_cmp_gt_u64_e32 vcc_lo, s[8:9], v[0:1]
	s_and_b32 s17, vcc_lo, s1
	s_and_saveexec_b32 s16, s17
	s_cbranch_execz .LBB554_9
; %bb.15:                               ;   in Loop: Header=BB554_10 Depth=2
	v_mul_u64_e32 v[2:3], s[20:21], v[0:1]
	s_delay_alu instid0(VALU_DEP_1)
	v_lshl_add_u64 v[2:3], v[2:3], 4, v[32:33]
	flat_load_b128 v[2:5], v[2:3]
	s_wait_loadcnt_dscnt 0x0
	v_xor_b32_e32 v5, 0x80000000, v5
	s_branch .LBB554_9
.LBB554_16:                             ;   in Loop: Header=BB554_10 Depth=2
	v_add_nc_u32_e32 v0, s14, v8
	s_and_not1_b32 s22, s25, exec_lo
	s_mov_b32 s16, exec_lo
	s_delay_alu instid0(VALU_DEP_1) | instskip(SKIP_2) | instid1(SALU_CYCLE_1)
	v_cmp_le_u64_e32 vcc_lo, s[8:9], v[0:1]
	v_mov_b64_e32 v[22:23], v[0:1]
	s_and_b32 s23, vcc_lo, exec_lo
	s_or_b32 s22, s22, s23
	s_or_b32 exec_lo, exec_lo, s17
	s_and_saveexec_b32 s17, s22
	s_delay_alu instid0(SALU_CYCLE_1)
	s_xor_b32 s17, exec_lo, s17
	s_cbranch_execz .LBB554_12
.LBB554_17:                             ;   in Loop: Header=BB554_10 Depth=2
	v_dual_mov_b32 v0, v1 :: v_dual_mov_b32 v2, v1
	v_mov_b32_e32 v3, v1
	s_and_not1_b32 s16, s16, exec_lo
	ds_store_b128 v7, v[0:3]
	s_or_b32 exec_lo, exec_lo, s17
	s_and_saveexec_b32 s17, s16
	s_cbranch_execnz .LBB554_13
	s_branch .LBB554_14
.LBB554_18:                             ;   in Loop: Header=BB554_7 Depth=1
	v_mov_b64_e32 v[44:45], 0
	v_mov_b64_e32 v[38:39], 0
	;; [unrolled: 1-line block ×7, first 2 shown]
.LBB554_19:                             ;   in Loop: Header=BB554_7 Depth=1
	s_wait_loadcnt 0x0
	v_add_nc_u64_e32 v[24:25], s[10:11], v[24:25]
	s_delay_alu instid0(VALU_DEP_1)
	v_lshl_add_u64 v[30:31], v[14:15], 4, v[24:25]
	s_wait_xcnt 0x0
	s_and_saveexec_b32 s14, s29
	s_cbranch_execz .LBB554_24
; %bb.20:                               ;   in Loop: Header=BB554_7 Depth=1
	v_mul_f64_e32 v[2:3], s[42:43], v[44:45]
	v_mul_f64_e32 v[4:5], s[40:41], v[44:45]
	v_lshl_add_u64 v[32:33], v[18:19], 4, v[30:31]
	s_and_b32 vcc_lo, exec_lo, s28
	s_mov_b32 s15, -1
	s_delay_alu instid0(VALU_DEP_3) | instskip(NEXT) | instid1(VALU_DEP_3)
	v_fma_f64 v[2:3], s[40:41], v[42:43], -v[2:3]
	v_fmac_f64_e32 v[4:5], s[42:43], v[42:43]
	s_cbranch_vccz .LBB554_22
; %bb.21:                               ;   in Loop: Header=BB554_7 Depth=1
	flat_load_b128 v[42:45], v[32:33]
	s_mov_b32 s15, 0
	s_wait_loadcnt_dscnt 0x0
	v_mul_f64_e32 v[48:49], s[38:39], v[44:45]
	v_mul_f64_e32 v[44:45], s[36:37], v[44:45]
	s_delay_alu instid0(VALU_DEP_2) | instskip(NEXT) | instid1(VALU_DEP_2)
	v_fma_f64 v[48:49], s[36:37], v[42:43], -v[48:49]
	v_fmac_f64_e32 v[44:45], s[38:39], v[42:43]
	s_delay_alu instid0(VALU_DEP_2) | instskip(NEXT) | instid1(VALU_DEP_2)
	v_add_f64_e32 v[42:43], v[2:3], v[48:49]
	v_add_f64_e32 v[44:45], v[4:5], v[44:45]
	flat_store_b128 v[32:33], v[42:45]
.LBB554_22:                             ;   in Loop: Header=BB554_7 Depth=1
	s_and_not1_b32 vcc_lo, exec_lo, s15
	s_cbranch_vccnz .LBB554_24
; %bb.23:                               ;   in Loop: Header=BB554_7 Depth=1
	flat_store_b128 v[32:33], v[2:5]
.LBB554_24:                             ;   in Loop: Header=BB554_7 Depth=1
	s_wait_xcnt 0x0
	s_or_b32 exec_lo, exec_lo, s14
	s_and_saveexec_b32 s14, s33
	s_cbranch_execz .LBB554_29
; %bb.25:                               ;   in Loop: Header=BB554_7 Depth=1
	v_mul_f64_e32 v[2:3], s[42:43], v[40:41]
	v_mul_f64_e32 v[4:5], s[40:41], v[40:41]
	v_lshl_add_u64 v[30:31], v[20:21], 4, v[30:31]
	s_and_not1_b32 vcc_lo, exec_lo, s28
	s_mov_b32 s15, -1
	s_delay_alu instid0(VALU_DEP_3) | instskip(NEXT) | instid1(VALU_DEP_3)
	v_fma_f64 v[2:3], s[40:41], v[38:39], -v[2:3]
	v_fmac_f64_e32 v[4:5], s[42:43], v[38:39]
	s_cbranch_vccnz .LBB554_27
; %bb.26:                               ;   in Loop: Header=BB554_7 Depth=1
	flat_load_b128 v[38:41], v[30:31]
	s_mov_b32 s15, 0
	s_wait_loadcnt_dscnt 0x0
	v_mul_f64_e32 v[32:33], s[38:39], v[40:41]
	v_mul_f64_e32 v[40:41], s[36:37], v[40:41]
	s_delay_alu instid0(VALU_DEP_2) | instskip(NEXT) | instid1(VALU_DEP_2)
	v_fma_f64 v[32:33], s[36:37], v[38:39], -v[32:33]
	v_fmac_f64_e32 v[40:41], s[38:39], v[38:39]
	s_delay_alu instid0(VALU_DEP_2) | instskip(NEXT) | instid1(VALU_DEP_2)
	v_add_f64_e32 v[38:39], v[2:3], v[32:33]
	v_add_f64_e32 v[40:41], v[4:5], v[40:41]
	flat_store_b128 v[30:31], v[38:41]
.LBB554_27:                             ;   in Loop: Header=BB554_7 Depth=1
	s_and_not1_b32 vcc_lo, exec_lo, s15
	s_cbranch_vccnz .LBB554_29
; %bb.28:                               ;   in Loop: Header=BB554_7 Depth=1
	flat_store_b128 v[30:31], v[2:5]
.LBB554_29:                             ;   in Loop: Header=BB554_7 Depth=1
	s_wait_xcnt 0x0
	s_or_b32 exec_lo, exec_lo, s14
	v_lshl_add_u64 v[24:25], v[16:17], 4, v[24:25]
	s_and_saveexec_b32 s14, s34
	s_cbranch_execz .LBB554_34
; %bb.30:                               ;   in Loop: Header=BB554_7 Depth=1
	v_mul_f64_e32 v[2:3], s[42:43], v[36:37]
	v_mul_f64_e32 v[4:5], s[40:41], v[36:37]
	v_lshl_add_u64 v[30:31], v[18:19], 4, v[24:25]
	s_and_not1_b32 vcc_lo, exec_lo, s28
	s_mov_b32 s15, -1
	s_delay_alu instid0(VALU_DEP_3) | instskip(NEXT) | instid1(VALU_DEP_3)
	v_fma_f64 v[2:3], s[40:41], v[34:35], -v[2:3]
	v_fmac_f64_e32 v[4:5], s[42:43], v[34:35]
	s_cbranch_vccnz .LBB554_32
; %bb.31:                               ;   in Loop: Header=BB554_7 Depth=1
	flat_load_b128 v[32:35], v[30:31]
	s_mov_b32 s15, 0
	s_wait_loadcnt_dscnt 0x0
	v_mul_f64_e32 v[36:37], s[38:39], v[34:35]
	v_mul_f64_e32 v[34:35], s[36:37], v[34:35]
	s_delay_alu instid0(VALU_DEP_2) | instskip(NEXT) | instid1(VALU_DEP_2)
	v_fma_f64 v[36:37], s[36:37], v[32:33], -v[36:37]
	v_fmac_f64_e32 v[34:35], s[38:39], v[32:33]
	s_delay_alu instid0(VALU_DEP_2) | instskip(NEXT) | instid1(VALU_DEP_2)
	v_add_f64_e32 v[32:33], v[2:3], v[36:37]
	v_add_f64_e32 v[34:35], v[4:5], v[34:35]
	flat_store_b128 v[30:31], v[32:35]
.LBB554_32:                             ;   in Loop: Header=BB554_7 Depth=1
	s_and_not1_b32 vcc_lo, exec_lo, s15
	s_cbranch_vccnz .LBB554_34
; %bb.33:                               ;   in Loop: Header=BB554_7 Depth=1
	flat_store_b128 v[30:31], v[2:5]
.LBB554_34:                             ;   in Loop: Header=BB554_7 Depth=1
	s_wait_xcnt 0x0
	s_or_b32 exec_lo, exec_lo, s14
	s_and_saveexec_b32 s14, s35
	s_cbranch_execz .LBB554_6
; %bb.35:                               ;   in Loop: Header=BB554_7 Depth=1
	s_delay_alu instid0(VALU_DEP_4) | instskip(SKIP_4) | instid1(VALU_DEP_3)
	v_mul_f64_e32 v[2:3], s[42:43], v[26:27]
	v_mul_f64_e32 v[4:5], s[40:41], v[26:27]
	v_lshl_add_u64 v[24:25], v[20:21], 4, v[24:25]
	s_and_not1_b32 vcc_lo, exec_lo, s28
	s_mov_b32 s15, -1
	v_fma_f64 v[2:3], s[40:41], v[28:29], -v[2:3]
	s_delay_alu instid0(VALU_DEP_3)
	v_fmac_f64_e32 v[4:5], s[42:43], v[28:29]
	s_cbranch_vccnz .LBB554_37
; %bb.36:                               ;   in Loop: Header=BB554_7 Depth=1
	flat_load_b128 v[26:29], v[24:25]
	s_mov_b32 s15, 0
	s_wait_loadcnt_dscnt 0x0
	v_mul_f64_e32 v[30:31], s[38:39], v[28:29]
	v_mul_f64_e32 v[28:29], s[36:37], v[28:29]
	s_delay_alu instid0(VALU_DEP_2) | instskip(NEXT) | instid1(VALU_DEP_2)
	v_fma_f64 v[30:31], s[36:37], v[26:27], -v[30:31]
	v_fmac_f64_e32 v[28:29], s[38:39], v[26:27]
	s_delay_alu instid0(VALU_DEP_2) | instskip(NEXT) | instid1(VALU_DEP_2)
	v_add_f64_e32 v[26:27], v[2:3], v[30:31]
	v_add_f64_e32 v[28:29], v[4:5], v[28:29]
	flat_store_b128 v[24:25], v[26:29]
.LBB554_37:                             ;   in Loop: Header=BB554_7 Depth=1
	s_and_not1_b32 vcc_lo, exec_lo, s15
	s_cbranch_vccnz .LBB554_6
; %bb.38:                               ;   in Loop: Header=BB554_7 Depth=1
	flat_store_b128 v[24:25], v[2:5]
	s_branch .LBB554_6
.LBB554_39:
.LBB554_40:
	s_sendmsg sendmsg(MSG_DEALLOC_VGPRS)
	s_endpgm
	.section	.rodata,"a",@progbits
	.p2align	6, 0x0
	.amdhsa_kernel _ZL29rocblas_internal_gemmt_kernelIlLi16ELi32ELi8ELc84ELc67ELc76ELb0ELb1E19rocblas_complex_numIdEPKS1_PKS3_PKPS1_EviT_T9_T10_S9_lSB_S9_lSA_T11_S9_li
		.amdhsa_group_segment_fixed_size 8192
		.amdhsa_private_segment_fixed_size 0
		.amdhsa_kernarg_size 108
		.amdhsa_user_sgpr_count 2
		.amdhsa_user_sgpr_dispatch_ptr 0
		.amdhsa_user_sgpr_queue_ptr 0
		.amdhsa_user_sgpr_kernarg_segment_ptr 1
		.amdhsa_user_sgpr_dispatch_id 0
		.amdhsa_user_sgpr_kernarg_preload_length 0
		.amdhsa_user_sgpr_kernarg_preload_offset 0
		.amdhsa_user_sgpr_private_segment_size 0
		.amdhsa_wavefront_size32 1
		.amdhsa_uses_dynamic_stack 0
		.amdhsa_enable_private_segment 0
		.amdhsa_system_sgpr_workgroup_id_x 1
		.amdhsa_system_sgpr_workgroup_id_y 1
		.amdhsa_system_sgpr_workgroup_id_z 1
		.amdhsa_system_sgpr_workgroup_info 0
		.amdhsa_system_vgpr_workitem_id 1
		.amdhsa_next_free_vgpr 134
		.amdhsa_next_free_sgpr 46
		.amdhsa_named_barrier_count 0
		.amdhsa_reserve_vcc 1
		.amdhsa_float_round_mode_32 0
		.amdhsa_float_round_mode_16_64 0
		.amdhsa_float_denorm_mode_32 3
		.amdhsa_float_denorm_mode_16_64 3
		.amdhsa_fp16_overflow 0
		.amdhsa_memory_ordered 1
		.amdhsa_forward_progress 1
		.amdhsa_inst_pref_size 24
		.amdhsa_round_robin_scheduling 0
		.amdhsa_exception_fp_ieee_invalid_op 0
		.amdhsa_exception_fp_denorm_src 0
		.amdhsa_exception_fp_ieee_div_zero 0
		.amdhsa_exception_fp_ieee_overflow 0
		.amdhsa_exception_fp_ieee_underflow 0
		.amdhsa_exception_fp_ieee_inexact 0
		.amdhsa_exception_int_div_zero 0
	.end_amdhsa_kernel
	.section	.text._ZL29rocblas_internal_gemmt_kernelIlLi16ELi32ELi8ELc84ELc67ELc76ELb0ELb1E19rocblas_complex_numIdEPKS1_PKS3_PKPS1_EviT_T9_T10_S9_lSB_S9_lSA_T11_S9_li,"axG",@progbits,_ZL29rocblas_internal_gemmt_kernelIlLi16ELi32ELi8ELc84ELc67ELc76ELb0ELb1E19rocblas_complex_numIdEPKS1_PKS3_PKPS1_EviT_T9_T10_S9_lSB_S9_lSA_T11_S9_li,comdat
.Lfunc_end554:
	.size	_ZL29rocblas_internal_gemmt_kernelIlLi16ELi32ELi8ELc84ELc67ELc76ELb0ELb1E19rocblas_complex_numIdEPKS1_PKS3_PKPS1_EviT_T9_T10_S9_lSB_S9_lSA_T11_S9_li, .Lfunc_end554-_ZL29rocblas_internal_gemmt_kernelIlLi16ELi32ELi8ELc84ELc67ELc76ELb0ELb1E19rocblas_complex_numIdEPKS1_PKS3_PKPS1_EviT_T9_T10_S9_lSB_S9_lSA_T11_S9_li
                                        ; -- End function
	.set _ZL29rocblas_internal_gemmt_kernelIlLi16ELi32ELi8ELc84ELc67ELc76ELb0ELb1E19rocblas_complex_numIdEPKS1_PKS3_PKPS1_EviT_T9_T10_S9_lSB_S9_lSA_T11_S9_li.num_vgpr, 134
	.set _ZL29rocblas_internal_gemmt_kernelIlLi16ELi32ELi8ELc84ELc67ELc76ELb0ELb1E19rocblas_complex_numIdEPKS1_PKS3_PKPS1_EviT_T9_T10_S9_lSB_S9_lSA_T11_S9_li.num_agpr, 0
	.set _ZL29rocblas_internal_gemmt_kernelIlLi16ELi32ELi8ELc84ELc67ELc76ELb0ELb1E19rocblas_complex_numIdEPKS1_PKS3_PKPS1_EviT_T9_T10_S9_lSB_S9_lSA_T11_S9_li.numbered_sgpr, 46
	.set _ZL29rocblas_internal_gemmt_kernelIlLi16ELi32ELi8ELc84ELc67ELc76ELb0ELb1E19rocblas_complex_numIdEPKS1_PKS3_PKPS1_EviT_T9_T10_S9_lSB_S9_lSA_T11_S9_li.num_named_barrier, 0
	.set _ZL29rocblas_internal_gemmt_kernelIlLi16ELi32ELi8ELc84ELc67ELc76ELb0ELb1E19rocblas_complex_numIdEPKS1_PKS3_PKPS1_EviT_T9_T10_S9_lSB_S9_lSA_T11_S9_li.private_seg_size, 0
	.set _ZL29rocblas_internal_gemmt_kernelIlLi16ELi32ELi8ELc84ELc67ELc76ELb0ELb1E19rocblas_complex_numIdEPKS1_PKS3_PKPS1_EviT_T9_T10_S9_lSB_S9_lSA_T11_S9_li.uses_vcc, 1
	.set _ZL29rocblas_internal_gemmt_kernelIlLi16ELi32ELi8ELc84ELc67ELc76ELb0ELb1E19rocblas_complex_numIdEPKS1_PKS3_PKPS1_EviT_T9_T10_S9_lSB_S9_lSA_T11_S9_li.uses_flat_scratch, 0
	.set _ZL29rocblas_internal_gemmt_kernelIlLi16ELi32ELi8ELc84ELc67ELc76ELb0ELb1E19rocblas_complex_numIdEPKS1_PKS3_PKPS1_EviT_T9_T10_S9_lSB_S9_lSA_T11_S9_li.has_dyn_sized_stack, 0
	.set _ZL29rocblas_internal_gemmt_kernelIlLi16ELi32ELi8ELc84ELc67ELc76ELb0ELb1E19rocblas_complex_numIdEPKS1_PKS3_PKPS1_EviT_T9_T10_S9_lSB_S9_lSA_T11_S9_li.has_recursion, 0
	.set _ZL29rocblas_internal_gemmt_kernelIlLi16ELi32ELi8ELc84ELc67ELc76ELb0ELb1E19rocblas_complex_numIdEPKS1_PKS3_PKPS1_EviT_T9_T10_S9_lSB_S9_lSA_T11_S9_li.has_indirect_call, 0
	.section	.AMDGPU.csdata,"",@progbits
; Kernel info:
; codeLenInByte = 3004
; TotalNumSgprs: 48
; NumVgprs: 134
; ScratchSize: 0
; MemoryBound: 1
; FloatMode: 240
; IeeeMode: 1
; LDSByteSize: 8192 bytes/workgroup (compile time only)
; SGPRBlocks: 0
; VGPRBlocks: 8
; NumSGPRsForWavesPerEU: 48
; NumVGPRsForWavesPerEU: 134
; NamedBarCnt: 0
; Occupancy: 7
; WaveLimiterHint : 1
; COMPUTE_PGM_RSRC2:SCRATCH_EN: 0
; COMPUTE_PGM_RSRC2:USER_SGPR: 2
; COMPUTE_PGM_RSRC2:TRAP_HANDLER: 0
; COMPUTE_PGM_RSRC2:TGID_X_EN: 1
; COMPUTE_PGM_RSRC2:TGID_Y_EN: 1
; COMPUTE_PGM_RSRC2:TGID_Z_EN: 1
; COMPUTE_PGM_RSRC2:TIDIG_COMP_CNT: 1
	.section	.text._ZL29rocblas_internal_gemmt_kernelIlLi16ELi32ELi8ELc67ELc78ELc76ELb1ELb0E19rocblas_complex_numIdEPKS1_PKS3_PKPS1_EviT_T9_T10_S9_lSB_S9_lSA_T11_S9_li,"axG",@progbits,_ZL29rocblas_internal_gemmt_kernelIlLi16ELi32ELi8ELc67ELc78ELc76ELb1ELb0E19rocblas_complex_numIdEPKS1_PKS3_PKPS1_EviT_T9_T10_S9_lSB_S9_lSA_T11_S9_li,comdat
	.globl	_ZL29rocblas_internal_gemmt_kernelIlLi16ELi32ELi8ELc67ELc78ELc76ELb1ELb0E19rocblas_complex_numIdEPKS1_PKS3_PKPS1_EviT_T9_T10_S9_lSB_S9_lSA_T11_S9_li ; -- Begin function _ZL29rocblas_internal_gemmt_kernelIlLi16ELi32ELi8ELc67ELc78ELc76ELb1ELb0E19rocblas_complex_numIdEPKS1_PKS3_PKPS1_EviT_T9_T10_S9_lSB_S9_lSA_T11_S9_li
	.p2align	8
	.type	_ZL29rocblas_internal_gemmt_kernelIlLi16ELi32ELi8ELc67ELc78ELc76ELb1ELb0E19rocblas_complex_numIdEPKS1_PKS3_PKPS1_EviT_T9_T10_S9_lSB_S9_lSA_T11_S9_li,@function
_ZL29rocblas_internal_gemmt_kernelIlLi16ELi32ELi8ELc67ELc78ELc76ELb1ELb0E19rocblas_complex_numIdEPKS1_PKS3_PKPS1_EviT_T9_T10_S9_lSB_S9_lSA_T11_S9_li: ; @_ZL29rocblas_internal_gemmt_kernelIlLi16ELi32ELi8ELc67ELc78ELc76ELb1ELb0E19rocblas_complex_numIdEPKS1_PKS3_PKPS1_EviT_T9_T10_S9_lSB_S9_lSA_T11_S9_li
; %bb.0:
	s_clause 0x1
	s_load_b256 s[24:31], s[0:1], 0x48
	s_load_b512 s[8:23], s[0:1], 0x8
	s_wait_kmcnt 0x0
	s_load_b128 s[36:39], s[24:25], 0x0
	s_load_b128 s[40:43], s[10:11], 0x0
	s_wait_kmcnt 0x0
	v_cmp_eq_f64_e64 s3, s[36:37], 1.0
	v_cmp_eq_f64_e64 s2, s[38:39], 0
	s_and_b32 s3, s3, s2
	s_delay_alu instid0(SALU_CYCLE_1)
	s_and_not1_b32 vcc_lo, exec_lo, s3
	s_mov_b32 s3, -1
	s_cbranch_vccnz .LBB555_3
; %bb.1:
	s_cmp_lg_u64 s[8:9], 0
	s_cbranch_scc0 .LBB555_38
; %bb.2:
	v_cmp_neq_f64_e64 s3, s[40:41], 0
	v_cmp_neq_f64_e64 s4, s[42:43], 0
	s_or_b32 s3, s3, s4
.LBB555_3:
	s_delay_alu instid0(SALU_CYCLE_1)
	s_and_b32 vcc_lo, exec_lo, s3
	s_cbranch_vccz .LBB555_39
; %bb.4:
	s_load_b32 s24, s[0:1], 0x68
	s_bfe_u32 s3, ttmp6, 0x40014
	s_lshr_b32 s4, ttmp7, 16
	s_add_co_i32 s3, s3, 1
	s_bfe_u32 s6, ttmp6, 0x40008
	s_mul_i32 s5, s4, s3
	s_getreg_b32 s3, hwreg(HW_REG_IB_STS2, 6, 4)
	s_add_co_i32 s6, s6, s5
	s_cmp_eq_u32 s3, 0
	s_mov_b32 s7, 0
	s_cselect_b32 s6, s4, s6
	s_wait_kmcnt 0x0
	s_cmp_ge_u32 s6, s24
	s_cbranch_scc1 .LBB555_39
; %bb.5:
	s_load_b32 s10, s[0:1], 0x0
	s_wait_xcnt 0x0
	s_bfe_u32 s1, ttmp6, 0x4000c
	s_bfe_u32 s25, ttmp6, 0x40010
	s_and_b32 s11, ttmp7, 0xffff
	s_add_co_i32 s1, s1, 1
	s_add_co_i32 s25, s25, 1
	v_and_b32_e32 v19, 0x3ff, v0
	v_bfe_u32 v21, v0, 10, 10
	s_and_b32 s0, ttmp6, 15
	s_bfe_u32 s33, ttmp6, 0x40004
	s_mul_i32 s1, ttmp9, s1
	s_mul_i32 s25, s11, s25
	s_add_co_i32 s0, s0, s1
	s_add_co_i32 s33, s33, s25
	s_cmp_eq_u32 s3, 0
	v_lshl_add_u32 v1, v21, 4, v19
	s_cselect_b32 s1, s11, s33
	s_cselect_b32 s0, ttmp9, s0
	s_lshl_b32 s1, s1, 5
	s_delay_alu instid0(VALU_DEP_1)
	v_dual_lshrrev_b32 v7, 3, v1 :: v_dual_bitop2_b32 v6, 7, v0 bitop3:0x40
	v_dual_lshrrev_b32 v8, 5, v1 :: v_dual_bitop2_b32 v3, 31, v1 bitop3:0x40
	s_lshl_b32 s11, s0, 5
	v_add_nc_u32_e32 v0, s1, v21
	v_cmp_neq_f64_e64 s4, s[40:41], 0
	v_cmp_neq_f64_e64 s5, s[42:43], 0
	v_or_b32_e32 v2, s11, v3
	s_delay_alu instid0(VALU_DEP_4) | instskip(SKIP_1) | instid1(VALU_DEP_3)
	v_dual_add_nc_u32 v4, s1, v7 :: v_dual_add_nc_u32 v22, 16, v0
	v_cmp_neq_f64_e64 s3, s[36:37], 0
	v_dual_lshlrev_b32 v9, 4, v3 :: v_dual_ashrrev_i32 v3, 31, v2
	s_delay_alu instid0(VALU_DEP_3) | instskip(SKIP_1) | instid1(VALU_DEP_3)
	v_dual_ashrrev_i32 v5, 31, v4 :: v_dual_ashrrev_i32 v23, 31, v22
	v_dual_ashrrev_i32 v1, 31, v0 :: v_dual_lshlrev_b32 v18, 4, v6
	v_mul_u64_e32 v[10:11], s[14:15], v[2:3]
	s_delay_alu instid0(VALU_DEP_3) | instskip(NEXT) | instid1(VALU_DEP_4)
	v_mul_u64_e32 v[12:13], s[20:21], v[4:5]
	v_mul_u64_e32 v[16:17], s[28:29], v[22:23]
	s_delay_alu instid0(VALU_DEP_4)
	v_mul_u64_e32 v[14:15], s[28:29], v[0:1]
	v_lshl_or_b32 v1, v7, 7, v18
	v_dual_add_nc_u32 v18, s11, v19 :: v_dual_lshlrev_b32 v44, 4, v19
	v_cmp_gt_i64_e64 s34, s[8:9], 0
	s_wait_kmcnt 0x0
	v_cmp_gt_i32_e32 vcc_lo, s10, v4
	v_cmp_gt_i32_e64 s0, s10, v2
	v_dual_add_nc_u32 v20, 16, v18 :: v_dual_ashrrev_i32 v19, 31, v18
	v_cmp_le_i32_e64 s1, v0, v18
	v_lshl_or_b32 v7, v8, 9, v9
	v_add_nc_u32_e32 v9, 0x1000, v1
	v_lshl_add_u32 v45, v21, 7, 0x1000
	v_dual_ashrrev_i32 v21, 31, v20 :: v_dual_mov_b32 v1, 0
	s_or_b32 s33, s4, s5
	s_xor_b32 s4, s2, -1
	v_cmp_gt_i32_e64 s2, s10, v18
	v_cmp_le_i32_e64 s5, v22, v20
	s_or_b32 s20, s3, s4
	v_cmp_le_i32_e64 s3, v0, v20
	v_cmp_gt_i32_e64 s4, s10, v20
	s_and_b32 s21, s1, s2
	v_cmp_le_i32_e64 s1, v22, v18
	s_and_b32 s29, s33, s34
	s_lshl_b64 s[10:11], s[30:31], 4
	s_and_b32 s25, s3, s4
	s_and_b32 s28, s5, s4
	;; [unrolled: 1-line block ×3, first 2 shown]
	s_lshl_b64 s[2:3], s[22:23], 4
	s_lshl_b64 s[4:5], s[16:17], 4
	s_xor_b32 s16, vcc_lo, -1
	s_branch .LBB555_7
.LBB555_6:                              ;   in Loop: Header=BB555_7 Depth=1
	s_wait_xcnt 0x0
	s_or_b32 exec_lo, exec_lo, s14
	s_add_co_i32 s6, s6, 0x10000
	s_delay_alu instid0(SALU_CYCLE_1)
	s_cmp_lt_u32 s6, s24
	s_cbranch_scc0 .LBB555_39
.LBB555_7:                              ; =>This Loop Header: Depth=1
                                        ;     Child Loop BB555_10 Depth 2
	v_mov_b32_e32 v0, s6
	v_mov_b64_e32 v[40:41], 0
	v_mov_b64_e32 v[42:43], 0
	;; [unrolled: 1-line block ×4, first 2 shown]
	global_load_b64 v[22:23], v0, s[26:27] scale_offset
	v_mov_b64_e32 v[32:33], 0
	v_mov_b64_e32 v[34:35], 0
	;; [unrolled: 1-line block ×4, first 2 shown]
	s_and_not1_b32 vcc_lo, exec_lo, s29
	s_cbranch_vccnz .LBB555_18
; %bb.8:                                ;   in Loop: Header=BB555_7 Depth=1
	s_lshl_b64 s[14:15], s[6:7], 3
	v_mov_b64_e32 v[26:27], 0
	s_add_nc_u64 s[22:23], s[12:13], s[14:15]
	s_add_nc_u64 s[14:15], s[18:19], s[14:15]
	s_clause 0x1
	global_load_b64 v[2:3], v1, s[22:23]
	global_load_b64 v[4:5], v1, s[14:15]
	v_mov_b64_e32 v[24:25], 0
	v_mov_b64_e32 v[34:35], 0
	;; [unrolled: 1-line block ×7, first 2 shown]
	s_wait_xcnt 0x0
	s_mov_b64 s[14:15], 0
	s_wait_loadcnt 0x1
	v_add_nc_u64_e32 v[2:3], s[4:5], v[2:3]
	s_wait_loadcnt 0x0
	v_add_nc_u64_e32 v[4:5], s[2:3], v[4:5]
	s_delay_alu instid0(VALU_DEP_2) | instskip(NEXT) | instid1(VALU_DEP_2)
	v_lshl_add_u64 v[28:29], v[10:11], 4, v[2:3]
	v_lshl_add_u64 v[30:31], v[12:13], 4, v[4:5]
	s_branch .LBB555_10
.LBB555_9:                              ;   in Loop: Header=BB555_10 Depth=2
	s_wait_xcnt 0x0
	s_or_b32 exec_lo, exec_lo, s17
	s_wait_dscnt 0x0
	s_barrier_signal -1
	s_barrier_wait -1
	ds_load_b128 v[2:5], v45
	ds_load_b128 v[46:49], v44
	ds_load_b128 v[50:53], v44 offset:256
	ds_load_b128 v[54:57], v45 offset:2048
	;; [unrolled: 1-line block ×10, first 2 shown]
	s_add_nc_u64 s[14:15], s[14:15], 8
	s_delay_alu instid0(SALU_CYCLE_1)
	v_cmp_gt_i64_e64 s17, s[8:9], s[14:15]
	s_and_b32 vcc_lo, exec_lo, s17
	s_wait_dscnt 0xa
	v_mul_f64_e32 v[90:91], v[4:5], v[48:49]
	v_mul_f64_e32 v[92:93], v[2:3], v[48:49]
	s_wait_dscnt 0x9
	v_mul_f64_e32 v[94:95], v[4:5], v[52:53]
	v_mul_f64_e32 v[96:97], v[2:3], v[52:53]
	s_wait_dscnt 0x8
	v_mul_f64_e32 v[98:99], v[56:57], v[48:49]
	v_mul_f64_e32 v[100:101], v[54:55], v[48:49]
	v_mul_f64_e32 v[48:49], v[56:57], v[52:53]
	v_mul_f64_e32 v[102:103], v[54:55], v[52:53]
	s_wait_dscnt 0x6
	v_mul_f64_e32 v[104:105], v[60:61], v[64:65]
	v_mul_f64_e32 v[106:107], v[58:59], v[64:65]
	s_wait_dscnt 0x5
	v_mul_f64_e32 v[108:109], v[60:61], v[68:69]
	v_mul_f64_e32 v[110:111], v[58:59], v[68:69]
	s_wait_dscnt 0x4
	v_mul_f64_e32 v[112:113], v[72:73], v[64:65]
	v_mul_f64_e32 v[64:65], v[70:71], v[64:65]
	v_mul_f64_e32 v[114:115], v[72:73], v[68:69]
	v_mul_f64_e32 v[68:69], v[70:71], v[68:69]
	;; [unrolled: 11-line block ×3, first 2 shown]
	v_fma_f64 v[90:91], v[2:3], v[46:47], -v[90:91]
	v_fmac_f64_e32 v[92:93], v[4:5], v[46:47]
	v_fma_f64 v[94:95], v[2:3], v[50:51], -v[94:95]
	v_fmac_f64_e32 v[96:97], v[4:5], v[50:51]
	;; [unrolled: 2-line block ×8, first 2 shown]
	ds_load_b128 v[2:5], v45 offset:48
	ds_load_b128 v[46:49], v45 offset:2096
	;; [unrolled: 1-line block ×4, first 2 shown]
	v_fma_f64 v[118:119], v[74:75], v[78:79], -v[118:119]
	v_fmac_f64_e32 v[120:121], v[76:77], v[78:79]
	v_fma_f64 v[74:75], v[74:75], v[82:83], -v[122:123]
	v_fmac_f64_e32 v[124:125], v[76:77], v[82:83]
	;; [unrolled: 2-line block ×4, first 2 shown]
	v_add_f64_e32 v[66:67], v[40:41], v[90:91]
	v_add_f64_e32 v[70:71], v[92:93], v[42:43]
	;; [unrolled: 1-line block ×8, first 2 shown]
	s_wait_dscnt 0x1
	v_mul_f64_e32 v[100:101], v[4:5], v[52:53]
	v_mul_f64_e32 v[102:103], v[2:3], v[52:53]
	s_wait_dscnt 0x0
	v_mul_f64_e32 v[108:109], v[4:5], v[56:57]
	v_mul_f64_e32 v[112:113], v[2:3], v[56:57]
	;; [unrolled: 1-line block ×6, first 2 shown]
	ds_load_b128 v[24:27], v45 offset:64
	ds_load_b128 v[32:35], v44 offset:2048
	;; [unrolled: 1-line block ×4, first 2 shown]
	v_add_f64_e32 v[82:83], v[66:67], v[104:105]
	v_add_f64_e32 v[86:87], v[106:107], v[70:71]
	;; [unrolled: 1-line block ×8, first 2 shown]
	s_wait_dscnt 0x2
	v_mul_f64_e32 v[98:99], v[26:27], v[34:35]
	v_mul_f64_e32 v[104:105], v[24:25], v[34:35]
	s_wait_dscnt 0x1
	v_mul_f64_e32 v[106:107], v[26:27], v[38:39]
	v_mul_f64_e32 v[110:111], v[24:25], v[38:39]
	;; [unrolled: 3-line block ×3, first 2 shown]
	v_mul_f64_e32 v[34:35], v[42:43], v[38:39]
	v_mul_f64_e32 v[128:129], v[40:41], v[38:39]
	v_fma_f64 v[38:39], v[2:3], v[50:51], -v[100:101]
	v_fmac_f64_e32 v[102:103], v[4:5], v[50:51]
	v_fma_f64 v[100:101], v[2:3], v[54:55], -v[108:109]
	v_fmac_f64_e32 v[112:113], v[4:5], v[54:55]
	;; [unrolled: 2-line block ×4, first 2 shown]
	ds_load_b128 v[56:59], v45 offset:80
	ds_load_b128 v[60:63], v45 offset:2128
	;; [unrolled: 1-line block ×4, first 2 shown]
	v_add_f64_e32 v[54:55], v[82:83], v[118:119]
	v_add_f64_e32 v[82:83], v[120:121], v[86:87]
	;; [unrolled: 1-line block ×8, first 2 shown]
	v_fma_f64 v[98:99], v[24:25], v[32:33], -v[98:99]
	v_fmac_f64_e32 v[104:105], v[26:27], v[32:33]
	v_fma_f64 v[106:107], v[24:25], v[36:37], -v[106:107]
	s_wait_dscnt 0x1
	v_mul_f64_e32 v[90:91], v[58:59], v[66:67]
	v_mul_f64_e32 v[92:93], v[56:57], v[66:67]
	s_wait_dscnt 0x0
	v_mul_f64_e32 v[94:95], v[58:59], v[70:71]
	v_mul_f64_e32 v[96:97], v[56:57], v[70:71]
	;; [unrolled: 1-line block ×6, first 2 shown]
	v_fmac_f64_e32 v[110:111], v[26:27], v[36:37]
	v_fma_f64 v[122:123], v[40:41], v[32:33], -v[122:123]
	v_fmac_f64_e32 v[126:127], v[42:43], v[32:33]
	v_fma_f64 v[124:125], v[40:41], v[36:37], -v[34:35]
	v_fmac_f64_e32 v[128:129], v[42:43], v[36:37]
	ds_load_b128 v[2:5], v45 offset:96
	ds_load_b128 v[46:49], v44 offset:3072
	;; [unrolled: 1-line block ×4, first 2 shown]
	v_add_f64_e32 v[54:55], v[54:55], v[38:39]
	v_add_f64_e32 v[82:83], v[102:103], v[82:83]
	;; [unrolled: 1-line block ×8, first 2 shown]
	ds_load_b128 v[24:27], v45 offset:112
	ds_load_b128 v[32:35], v45 offset:2160
	;; [unrolled: 1-line block ×4, first 2 shown]
	s_wait_dscnt 0x0
	v_mul_f64_e32 v[100:101], v[4:5], v[48:49]
	v_mul_f64_e32 v[102:103], v[2:3], v[48:49]
	;; [unrolled: 1-line block ×8, first 2 shown]
	v_fma_f64 v[90:91], v[56:57], v[64:65], -v[90:91]
	v_fmac_f64_e32 v[92:93], v[58:59], v[64:65]
	v_fma_f64 v[56:57], v[56:57], v[68:69], -v[94:95]
	v_fmac_f64_e32 v[96:97], v[58:59], v[68:69]
	;; [unrolled: 2-line block ×4, first 2 shown]
	s_barrier_signal -1
	s_barrier_wait -1
	v_mul_f64_e32 v[94:95], v[24:25], v[42:43]
	v_add_f64_e32 v[54:55], v[54:55], v[98:99]
	v_add_f64_e32 v[62:63], v[104:105], v[82:83]
	;; [unrolled: 1-line block ×8, first 2 shown]
	v_mul_f64_e32 v[84:85], v[26:27], v[38:39]
	v_mul_f64_e32 v[86:87], v[24:25], v[38:39]
	;; [unrolled: 1-line block ×7, first 2 shown]
	v_fma_f64 v[42:43], v[2:3], v[46:47], -v[100:101]
	v_fmac_f64_e32 v[102:103], v[4:5], v[46:47]
	v_fma_f64 v[2:3], v[2:3], v[50:51], -v[108:109]
	v_fmac_f64_e32 v[112:113], v[4:5], v[50:51]
	;; [unrolled: 2-line block ×4, first 2 shown]
	v_fmac_f64_e32 v[94:95], v[26:27], v[40:41]
	v_add_f64_e32 v[50:51], v[54:55], v[90:91]
	v_add_f64_e32 v[54:55], v[92:93], v[62:63]
	;; [unrolled: 1-line block ×8, first 2 shown]
	v_fma_f64 v[68:69], v[24:25], v[36:37], -v[84:85]
	v_fmac_f64_e32 v[86:87], v[26:27], v[36:37]
	v_fma_f64 v[24:25], v[24:25], v[40:41], -v[88:89]
	v_fma_f64 v[26:27], v[32:33], v[36:37], -v[98:99]
	v_fmac_f64_e32 v[104:105], v[34:35], v[36:37]
	v_fma_f64 v[70:71], v[32:33], v[40:41], -v[38:39]
	v_fmac_f64_e32 v[106:107], v[34:35], v[40:41]
	v_add_f64_e32 v[32:33], v[50:51], v[42:43]
	v_add_f64_e32 v[34:35], v[102:103], v[54:55]
	;; [unrolled: 1-line block ×16, first 2 shown]
	s_cbranch_vccz .LBB555_18
.LBB555_10:                             ;   Parent Loop BB555_7 Depth=1
                                        ; =>  This Inner Loop Header: Depth=2
	v_mov_b64_e32 v[2:3], 0
	v_mov_b64_e32 v[4:5], 0
	s_and_saveexec_b32 s17, s0
	s_cbranch_execz .LBB555_14
; %bb.11:                               ;   in Loop: Header=BB555_10 Depth=2
	v_mov_b64_e32 v[4:5], 0
	v_mov_b64_e32 v[2:3], 0
	v_add_nc_u32_e32 v0, s14, v8
	s_mov_b32 s22, exec_lo
	s_delay_alu instid0(VALU_DEP_1)
	v_cmpx_gt_u64_e64 s[8:9], v[0:1]
	s_cbranch_execz .LBB555_13
; %bb.12:                               ;   in Loop: Header=BB555_10 Depth=2
	v_lshl_add_u64 v[2:3], v[0:1], 4, v[28:29]
	flat_load_b128 v[2:5], v[2:3]
	s_wait_loadcnt_dscnt 0x0
	v_xor_b32_e32 v5, 0x80000000, v5
.LBB555_13:                             ;   in Loop: Header=BB555_10 Depth=2
	s_wait_xcnt 0x0
	s_or_b32 exec_lo, exec_lo, s22
.LBB555_14:                             ;   in Loop: Header=BB555_10 Depth=2
	s_delay_alu instid0(SALU_CYCLE_1) | instskip(SKIP_4) | instid1(SALU_CYCLE_1)
	s_or_b32 exec_lo, exec_lo, s17
	v_add_nc_u32_e32 v0, s14, v6
	ds_store_b128 v7, v[2:5]
	v_cmp_le_u64_e32 vcc_lo, s[8:9], v[0:1]
	s_or_b32 s17, vcc_lo, s16
	s_and_saveexec_b32 s22, s17
	s_delay_alu instid0(SALU_CYCLE_1)
	s_xor_b32 s17, exec_lo, s22
; %bb.15:                               ;   in Loop: Header=BB555_10 Depth=2
	v_dual_mov_b32 v0, v1 :: v_dual_mov_b32 v2, v1
	v_mov_b32_e32 v3, v1
	ds_store_b128 v9, v[0:3]
; %bb.16:                               ;   in Loop: Header=BB555_10 Depth=2
	s_and_not1_saveexec_b32 s17, s17
	s_cbranch_execz .LBB555_9
; %bb.17:                               ;   in Loop: Header=BB555_10 Depth=2
	v_lshl_add_u64 v[2:3], v[0:1], 4, v[30:31]
	flat_load_b128 v[2:5], v[2:3]
	s_wait_loadcnt_dscnt 0x0
	ds_store_2addr_b64 v9, v[2:3], v[4:5] offset1:1
	s_branch .LBB555_9
.LBB555_18:                             ;   in Loop: Header=BB555_7 Depth=1
	s_wait_loadcnt 0x0
	v_add_nc_u64_e32 v[22:23], s[10:11], v[22:23]
	s_delay_alu instid0(VALU_DEP_1)
	v_lshl_add_u64 v[28:29], v[14:15], 4, v[22:23]
	s_wait_xcnt 0x0
	s_and_saveexec_b32 s14, s21
	s_cbranch_execz .LBB555_23
; %bb.19:                               ;   in Loop: Header=BB555_7 Depth=1
	v_mul_f64_e32 v[2:3], s[42:43], v[42:43]
	v_mul_f64_e32 v[4:5], s[40:41], v[42:43]
	v_lshl_add_u64 v[30:31], v[18:19], 4, v[28:29]
	s_and_b32 vcc_lo, exec_lo, s20
	s_mov_b32 s15, -1
	s_delay_alu instid0(VALU_DEP_3) | instskip(NEXT) | instid1(VALU_DEP_3)
	v_fma_f64 v[2:3], s[40:41], v[40:41], -v[2:3]
	v_fmac_f64_e32 v[4:5], s[42:43], v[40:41]
	s_cbranch_vccz .LBB555_21
; %bb.20:                               ;   in Loop: Header=BB555_7 Depth=1
	flat_load_b128 v[40:43], v[30:31]
	s_mov_b32 s15, 0
	s_wait_loadcnt_dscnt 0x0
	v_mul_f64_e32 v[46:47], s[38:39], v[42:43]
	v_mul_f64_e32 v[42:43], s[36:37], v[42:43]
	s_delay_alu instid0(VALU_DEP_2) | instskip(NEXT) | instid1(VALU_DEP_2)
	v_fma_f64 v[46:47], s[36:37], v[40:41], -v[46:47]
	v_fmac_f64_e32 v[42:43], s[38:39], v[40:41]
	s_delay_alu instid0(VALU_DEP_2) | instskip(NEXT) | instid1(VALU_DEP_2)
	v_add_f64_e32 v[40:41], v[2:3], v[46:47]
	v_add_f64_e32 v[42:43], v[4:5], v[42:43]
	flat_store_b128 v[30:31], v[40:43]
.LBB555_21:                             ;   in Loop: Header=BB555_7 Depth=1
	s_and_not1_b32 vcc_lo, exec_lo, s15
	s_cbranch_vccnz .LBB555_23
; %bb.22:                               ;   in Loop: Header=BB555_7 Depth=1
	flat_store_b128 v[30:31], v[2:5]
.LBB555_23:                             ;   in Loop: Header=BB555_7 Depth=1
	s_wait_xcnt 0x0
	s_or_b32 exec_lo, exec_lo, s14
	s_and_saveexec_b32 s14, s25
	s_cbranch_execz .LBB555_28
; %bb.24:                               ;   in Loop: Header=BB555_7 Depth=1
	v_mul_f64_e32 v[2:3], s[42:43], v[38:39]
	v_mul_f64_e32 v[4:5], s[40:41], v[38:39]
	v_lshl_add_u64 v[28:29], v[20:21], 4, v[28:29]
	s_and_not1_b32 vcc_lo, exec_lo, s20
	s_mov_b32 s15, -1
	s_delay_alu instid0(VALU_DEP_3) | instskip(NEXT) | instid1(VALU_DEP_3)
	v_fma_f64 v[2:3], s[40:41], v[36:37], -v[2:3]
	v_fmac_f64_e32 v[4:5], s[42:43], v[36:37]
	s_cbranch_vccnz .LBB555_26
; %bb.25:                               ;   in Loop: Header=BB555_7 Depth=1
	flat_load_b128 v[36:39], v[28:29]
	s_mov_b32 s15, 0
	s_wait_loadcnt_dscnt 0x0
	v_mul_f64_e32 v[30:31], s[38:39], v[38:39]
	v_mul_f64_e32 v[38:39], s[36:37], v[38:39]
	s_delay_alu instid0(VALU_DEP_2) | instskip(NEXT) | instid1(VALU_DEP_2)
	v_fma_f64 v[30:31], s[36:37], v[36:37], -v[30:31]
	v_fmac_f64_e32 v[38:39], s[38:39], v[36:37]
	s_delay_alu instid0(VALU_DEP_2) | instskip(NEXT) | instid1(VALU_DEP_2)
	v_add_f64_e32 v[36:37], v[2:3], v[30:31]
	v_add_f64_e32 v[38:39], v[4:5], v[38:39]
	flat_store_b128 v[28:29], v[36:39]
.LBB555_26:                             ;   in Loop: Header=BB555_7 Depth=1
	s_and_not1_b32 vcc_lo, exec_lo, s15
	s_cbranch_vccnz .LBB555_28
; %bb.27:                               ;   in Loop: Header=BB555_7 Depth=1
	flat_store_b128 v[28:29], v[2:5]
.LBB555_28:                             ;   in Loop: Header=BB555_7 Depth=1
	s_wait_xcnt 0x0
	s_or_b32 exec_lo, exec_lo, s14
	v_lshl_add_u64 v[22:23], v[16:17], 4, v[22:23]
	s_and_saveexec_b32 s14, s1
	s_cbranch_execz .LBB555_33
; %bb.29:                               ;   in Loop: Header=BB555_7 Depth=1
	v_mul_f64_e32 v[2:3], s[42:43], v[34:35]
	v_mul_f64_e32 v[4:5], s[40:41], v[34:35]
	v_lshl_add_u64 v[28:29], v[18:19], 4, v[22:23]
	s_and_not1_b32 vcc_lo, exec_lo, s20
	s_mov_b32 s15, -1
	s_delay_alu instid0(VALU_DEP_3) | instskip(NEXT) | instid1(VALU_DEP_3)
	v_fma_f64 v[2:3], s[40:41], v[32:33], -v[2:3]
	v_fmac_f64_e32 v[4:5], s[42:43], v[32:33]
	s_cbranch_vccnz .LBB555_31
; %bb.30:                               ;   in Loop: Header=BB555_7 Depth=1
	flat_load_b128 v[30:33], v[28:29]
	s_mov_b32 s15, 0
	s_wait_loadcnt_dscnt 0x0
	v_mul_f64_e32 v[34:35], s[38:39], v[32:33]
	v_mul_f64_e32 v[32:33], s[36:37], v[32:33]
	s_delay_alu instid0(VALU_DEP_2) | instskip(NEXT) | instid1(VALU_DEP_2)
	v_fma_f64 v[34:35], s[36:37], v[30:31], -v[34:35]
	v_fmac_f64_e32 v[32:33], s[38:39], v[30:31]
	s_delay_alu instid0(VALU_DEP_2) | instskip(NEXT) | instid1(VALU_DEP_2)
	v_add_f64_e32 v[30:31], v[2:3], v[34:35]
	v_add_f64_e32 v[32:33], v[4:5], v[32:33]
	flat_store_b128 v[28:29], v[30:33]
.LBB555_31:                             ;   in Loop: Header=BB555_7 Depth=1
	s_and_not1_b32 vcc_lo, exec_lo, s15
	s_cbranch_vccnz .LBB555_33
; %bb.32:                               ;   in Loop: Header=BB555_7 Depth=1
	flat_store_b128 v[28:29], v[2:5]
.LBB555_33:                             ;   in Loop: Header=BB555_7 Depth=1
	s_wait_xcnt 0x0
	s_or_b32 exec_lo, exec_lo, s14
	s_and_saveexec_b32 s14, s28
	s_cbranch_execz .LBB555_6
; %bb.34:                               ;   in Loop: Header=BB555_7 Depth=1
	s_delay_alu instid0(VALU_DEP_4) | instskip(SKIP_4) | instid1(VALU_DEP_3)
	v_mul_f64_e32 v[2:3], s[42:43], v[26:27]
	v_mul_f64_e32 v[4:5], s[40:41], v[26:27]
	v_lshl_add_u64 v[22:23], v[20:21], 4, v[22:23]
	s_and_not1_b32 vcc_lo, exec_lo, s20
	s_mov_b32 s15, -1
	v_fma_f64 v[2:3], s[40:41], v[24:25], -v[2:3]
	s_delay_alu instid0(VALU_DEP_3)
	v_fmac_f64_e32 v[4:5], s[42:43], v[24:25]
	s_cbranch_vccnz .LBB555_36
; %bb.35:                               ;   in Loop: Header=BB555_7 Depth=1
	flat_load_b128 v[24:27], v[22:23]
	s_mov_b32 s15, 0
	s_wait_loadcnt_dscnt 0x0
	v_mul_f64_e32 v[28:29], s[38:39], v[26:27]
	v_mul_f64_e32 v[26:27], s[36:37], v[26:27]
	s_delay_alu instid0(VALU_DEP_2) | instskip(NEXT) | instid1(VALU_DEP_2)
	v_fma_f64 v[28:29], s[36:37], v[24:25], -v[28:29]
	v_fmac_f64_e32 v[26:27], s[38:39], v[24:25]
	s_delay_alu instid0(VALU_DEP_2) | instskip(NEXT) | instid1(VALU_DEP_2)
	v_add_f64_e32 v[24:25], v[2:3], v[28:29]
	v_add_f64_e32 v[26:27], v[4:5], v[26:27]
	flat_store_b128 v[22:23], v[24:27]
.LBB555_36:                             ;   in Loop: Header=BB555_7 Depth=1
	s_and_not1_b32 vcc_lo, exec_lo, s15
	s_cbranch_vccnz .LBB555_6
; %bb.37:                               ;   in Loop: Header=BB555_7 Depth=1
	flat_store_b128 v[22:23], v[2:5]
	s_branch .LBB555_6
.LBB555_38:
.LBB555_39:
	s_sendmsg sendmsg(MSG_DEALLOC_VGPRS)
	s_endpgm
	.section	.rodata,"a",@progbits
	.p2align	6, 0x0
	.amdhsa_kernel _ZL29rocblas_internal_gemmt_kernelIlLi16ELi32ELi8ELc67ELc78ELc76ELb1ELb0E19rocblas_complex_numIdEPKS1_PKS3_PKPS1_EviT_T9_T10_S9_lSB_S9_lSA_T11_S9_li
		.amdhsa_group_segment_fixed_size 8192
		.amdhsa_private_segment_fixed_size 0
		.amdhsa_kernarg_size 108
		.amdhsa_user_sgpr_count 2
		.amdhsa_user_sgpr_dispatch_ptr 0
		.amdhsa_user_sgpr_queue_ptr 0
		.amdhsa_user_sgpr_kernarg_segment_ptr 1
		.amdhsa_user_sgpr_dispatch_id 0
		.amdhsa_user_sgpr_kernarg_preload_length 0
		.amdhsa_user_sgpr_kernarg_preload_offset 0
		.amdhsa_user_sgpr_private_segment_size 0
		.amdhsa_wavefront_size32 1
		.amdhsa_uses_dynamic_stack 0
		.amdhsa_enable_private_segment 0
		.amdhsa_system_sgpr_workgroup_id_x 1
		.amdhsa_system_sgpr_workgroup_id_y 1
		.amdhsa_system_sgpr_workgroup_id_z 1
		.amdhsa_system_sgpr_workgroup_info 0
		.amdhsa_system_vgpr_workitem_id 1
		.amdhsa_next_free_vgpr 132
		.amdhsa_next_free_sgpr 44
		.amdhsa_named_barrier_count 0
		.amdhsa_reserve_vcc 1
		.amdhsa_float_round_mode_32 0
		.amdhsa_float_round_mode_16_64 0
		.amdhsa_float_denorm_mode_32 3
		.amdhsa_float_denorm_mode_16_64 3
		.amdhsa_fp16_overflow 0
		.amdhsa_memory_ordered 1
		.amdhsa_forward_progress 1
		.amdhsa_inst_pref_size 23
		.amdhsa_round_robin_scheduling 0
		.amdhsa_exception_fp_ieee_invalid_op 0
		.amdhsa_exception_fp_denorm_src 0
		.amdhsa_exception_fp_ieee_div_zero 0
		.amdhsa_exception_fp_ieee_overflow 0
		.amdhsa_exception_fp_ieee_underflow 0
		.amdhsa_exception_fp_ieee_inexact 0
		.amdhsa_exception_int_div_zero 0
	.end_amdhsa_kernel
	.section	.text._ZL29rocblas_internal_gemmt_kernelIlLi16ELi32ELi8ELc67ELc78ELc76ELb1ELb0E19rocblas_complex_numIdEPKS1_PKS3_PKPS1_EviT_T9_T10_S9_lSB_S9_lSA_T11_S9_li,"axG",@progbits,_ZL29rocblas_internal_gemmt_kernelIlLi16ELi32ELi8ELc67ELc78ELc76ELb1ELb0E19rocblas_complex_numIdEPKS1_PKS3_PKPS1_EviT_T9_T10_S9_lSB_S9_lSA_T11_S9_li,comdat
.Lfunc_end555:
	.size	_ZL29rocblas_internal_gemmt_kernelIlLi16ELi32ELi8ELc67ELc78ELc76ELb1ELb0E19rocblas_complex_numIdEPKS1_PKS3_PKPS1_EviT_T9_T10_S9_lSB_S9_lSA_T11_S9_li, .Lfunc_end555-_ZL29rocblas_internal_gemmt_kernelIlLi16ELi32ELi8ELc67ELc78ELc76ELb1ELb0E19rocblas_complex_numIdEPKS1_PKS3_PKPS1_EviT_T9_T10_S9_lSB_S9_lSA_T11_S9_li
                                        ; -- End function
	.set _ZL29rocblas_internal_gemmt_kernelIlLi16ELi32ELi8ELc67ELc78ELc76ELb1ELb0E19rocblas_complex_numIdEPKS1_PKS3_PKPS1_EviT_T9_T10_S9_lSB_S9_lSA_T11_S9_li.num_vgpr, 132
	.set _ZL29rocblas_internal_gemmt_kernelIlLi16ELi32ELi8ELc67ELc78ELc76ELb1ELb0E19rocblas_complex_numIdEPKS1_PKS3_PKPS1_EviT_T9_T10_S9_lSB_S9_lSA_T11_S9_li.num_agpr, 0
	.set _ZL29rocblas_internal_gemmt_kernelIlLi16ELi32ELi8ELc67ELc78ELc76ELb1ELb0E19rocblas_complex_numIdEPKS1_PKS3_PKPS1_EviT_T9_T10_S9_lSB_S9_lSA_T11_S9_li.numbered_sgpr, 44
	.set _ZL29rocblas_internal_gemmt_kernelIlLi16ELi32ELi8ELc67ELc78ELc76ELb1ELb0E19rocblas_complex_numIdEPKS1_PKS3_PKPS1_EviT_T9_T10_S9_lSB_S9_lSA_T11_S9_li.num_named_barrier, 0
	.set _ZL29rocblas_internal_gemmt_kernelIlLi16ELi32ELi8ELc67ELc78ELc76ELb1ELb0E19rocblas_complex_numIdEPKS1_PKS3_PKPS1_EviT_T9_T10_S9_lSB_S9_lSA_T11_S9_li.private_seg_size, 0
	.set _ZL29rocblas_internal_gemmt_kernelIlLi16ELi32ELi8ELc67ELc78ELc76ELb1ELb0E19rocblas_complex_numIdEPKS1_PKS3_PKPS1_EviT_T9_T10_S9_lSB_S9_lSA_T11_S9_li.uses_vcc, 1
	.set _ZL29rocblas_internal_gemmt_kernelIlLi16ELi32ELi8ELc67ELc78ELc76ELb1ELb0E19rocblas_complex_numIdEPKS1_PKS3_PKPS1_EviT_T9_T10_S9_lSB_S9_lSA_T11_S9_li.uses_flat_scratch, 0
	.set _ZL29rocblas_internal_gemmt_kernelIlLi16ELi32ELi8ELc67ELc78ELc76ELb1ELb0E19rocblas_complex_numIdEPKS1_PKS3_PKPS1_EviT_T9_T10_S9_lSB_S9_lSA_T11_S9_li.has_dyn_sized_stack, 0
	.set _ZL29rocblas_internal_gemmt_kernelIlLi16ELi32ELi8ELc67ELc78ELc76ELb1ELb0E19rocblas_complex_numIdEPKS1_PKS3_PKPS1_EviT_T9_T10_S9_lSB_S9_lSA_T11_S9_li.has_recursion, 0
	.set _ZL29rocblas_internal_gemmt_kernelIlLi16ELi32ELi8ELc67ELc78ELc76ELb1ELb0E19rocblas_complex_numIdEPKS1_PKS3_PKPS1_EviT_T9_T10_S9_lSB_S9_lSA_T11_S9_li.has_indirect_call, 0
	.section	.AMDGPU.csdata,"",@progbits
; Kernel info:
; codeLenInByte = 2944
; TotalNumSgprs: 46
; NumVgprs: 132
; ScratchSize: 0
; MemoryBound: 1
; FloatMode: 240
; IeeeMode: 1
; LDSByteSize: 8192 bytes/workgroup (compile time only)
; SGPRBlocks: 0
; VGPRBlocks: 8
; NumSGPRsForWavesPerEU: 46
; NumVGPRsForWavesPerEU: 132
; NamedBarCnt: 0
; Occupancy: 7
; WaveLimiterHint : 1
; COMPUTE_PGM_RSRC2:SCRATCH_EN: 0
; COMPUTE_PGM_RSRC2:USER_SGPR: 2
; COMPUTE_PGM_RSRC2:TRAP_HANDLER: 0
; COMPUTE_PGM_RSRC2:TGID_X_EN: 1
; COMPUTE_PGM_RSRC2:TGID_Y_EN: 1
; COMPUTE_PGM_RSRC2:TGID_Z_EN: 1
; COMPUTE_PGM_RSRC2:TIDIG_COMP_CNT: 1
	.section	.text._ZL29rocblas_internal_gemmt_kernelIlLi16ELi32ELi8ELc67ELc84ELc76ELb1ELb0E19rocblas_complex_numIdEPKS1_PKS3_PKPS1_EviT_T9_T10_S9_lSB_S9_lSA_T11_S9_li,"axG",@progbits,_ZL29rocblas_internal_gemmt_kernelIlLi16ELi32ELi8ELc67ELc84ELc76ELb1ELb0E19rocblas_complex_numIdEPKS1_PKS3_PKPS1_EviT_T9_T10_S9_lSB_S9_lSA_T11_S9_li,comdat
	.globl	_ZL29rocblas_internal_gemmt_kernelIlLi16ELi32ELi8ELc67ELc84ELc76ELb1ELb0E19rocblas_complex_numIdEPKS1_PKS3_PKPS1_EviT_T9_T10_S9_lSB_S9_lSA_T11_S9_li ; -- Begin function _ZL29rocblas_internal_gemmt_kernelIlLi16ELi32ELi8ELc67ELc84ELc76ELb1ELb0E19rocblas_complex_numIdEPKS1_PKS3_PKPS1_EviT_T9_T10_S9_lSB_S9_lSA_T11_S9_li
	.p2align	8
	.type	_ZL29rocblas_internal_gemmt_kernelIlLi16ELi32ELi8ELc67ELc84ELc76ELb1ELb0E19rocblas_complex_numIdEPKS1_PKS3_PKPS1_EviT_T9_T10_S9_lSB_S9_lSA_T11_S9_li,@function
_ZL29rocblas_internal_gemmt_kernelIlLi16ELi32ELi8ELc67ELc84ELc76ELb1ELb0E19rocblas_complex_numIdEPKS1_PKS3_PKPS1_EviT_T9_T10_S9_lSB_S9_lSA_T11_S9_li: ; @_ZL29rocblas_internal_gemmt_kernelIlLi16ELi32ELi8ELc67ELc84ELc76ELb1ELb0E19rocblas_complex_numIdEPKS1_PKS3_PKPS1_EviT_T9_T10_S9_lSB_S9_lSA_T11_S9_li
; %bb.0:
	s_clause 0x1
	s_load_b256 s[24:31], s[0:1], 0x48
	s_load_b512 s[8:23], s[0:1], 0x8
	s_wait_kmcnt 0x0
	s_load_b128 s[36:39], s[24:25], 0x0
	s_load_b128 s[40:43], s[10:11], 0x0
	s_wait_kmcnt 0x0
	v_cmp_eq_f64_e64 s3, s[36:37], 1.0
	v_cmp_eq_f64_e64 s2, s[38:39], 0
	s_and_b32 s3, s3, s2
	s_delay_alu instid0(SALU_CYCLE_1)
	s_and_not1_b32 vcc_lo, exec_lo, s3
	s_mov_b32 s3, -1
	s_cbranch_vccnz .LBB556_3
; %bb.1:
	s_cmp_lg_u64 s[8:9], 0
	s_cbranch_scc0 .LBB556_38
; %bb.2:
	v_cmp_neq_f64_e64 s3, s[40:41], 0
	v_cmp_neq_f64_e64 s4, s[42:43], 0
	s_or_b32 s3, s3, s4
.LBB556_3:
	s_delay_alu instid0(SALU_CYCLE_1)
	s_and_b32 vcc_lo, exec_lo, s3
	s_cbranch_vccz .LBB556_39
; %bb.4:
	s_load_b32 s24, s[0:1], 0x68
	s_bfe_u32 s3, ttmp6, 0x40014
	s_lshr_b32 s4, ttmp7, 16
	s_add_co_i32 s3, s3, 1
	s_bfe_u32 s6, ttmp6, 0x40008
	s_mul_i32 s5, s4, s3
	s_getreg_b32 s3, hwreg(HW_REG_IB_STS2, 6, 4)
	s_add_co_i32 s6, s6, s5
	s_cmp_eq_u32 s3, 0
	s_mov_b32 s7, 0
	s_cselect_b32 s6, s4, s6
	s_wait_kmcnt 0x0
	s_cmp_ge_u32 s6, s24
	s_cbranch_scc1 .LBB556_39
; %bb.5:
	s_load_b32 s10, s[0:1], 0x0
	s_wait_xcnt 0x0
	s_bfe_u32 s1, ttmp6, 0x4000c
	s_bfe_u32 s25, ttmp6, 0x40010
	s_and_b32 s11, ttmp7, 0xffff
	s_add_co_i32 s1, s1, 1
	s_add_co_i32 s25, s25, 1
	v_and_b32_e32 v19, 0x3ff, v0
	v_bfe_u32 v21, v0, 10, 10
	s_and_b32 s0, ttmp6, 15
	s_bfe_u32 s33, ttmp6, 0x40004
	s_mul_i32 s1, ttmp9, s1
	s_mul_i32 s25, s11, s25
	s_add_co_i32 s0, s0, s1
	s_add_co_i32 s33, s33, s25
	s_cmp_eq_u32 s3, 0
	v_lshl_add_u32 v1, v21, 4, v19
	s_cselect_b32 s1, s11, s33
	s_cselect_b32 s0, ttmp9, s0
	s_lshl_b32 s1, s1, 5
	s_delay_alu instid0(VALU_DEP_1)
	v_dual_lshrrev_b32 v7, 3, v1 :: v_dual_bitop2_b32 v6, 7, v0 bitop3:0x40
	v_dual_lshrrev_b32 v8, 5, v1 :: v_dual_bitop2_b32 v9, 31, v1 bitop3:0x40
	v_add_nc_u32_e32 v0, s1, v21
	v_cmp_neq_f64_e64 s4, s[40:41], 0
	v_cmp_neq_f64_e64 s5, s[42:43], 0
	s_lshl_b32 s11, s0, 5
	s_delay_alu instid0(SALU_CYCLE_1) | instskip(SKIP_3) | instid1(VALU_DEP_3)
	v_dual_add_nc_u32 v10, s1, v7 :: v_dual_bitop2_b32 v2, s11, v9 bitop3:0x54
	v_add_nc_u32_e32 v4, 16, v0
	v_cmp_neq_f64_e64 s3, s[36:37], 0
	v_dual_lshlrev_b32 v11, 4, v6 :: v_dual_ashrrev_i32 v1, 31, v0
	v_dual_ashrrev_i32 v3, 31, v2 :: v_dual_ashrrev_i32 v5, 31, v4
	v_dual_lshlrev_b32 v9, 4, v9 :: v_dual_add_nc_u32 v18, s11, v19
	s_delay_alu instid0(VALU_DEP_3) | instskip(NEXT) | instid1(VALU_DEP_3)
	v_mul_u64_e32 v[14:15], s[28:29], v[0:1]
	v_mul_u64_e32 v[12:13], s[14:15], v[2:3]
	s_delay_alu instid0(VALU_DEP_4)
	v_mul_u64_e32 v[16:17], s[28:29], v[4:5]
	v_lshl_or_b32 v3, v7, 7, v11
	v_add_nc_u32_e32 v20, 16, v18
	v_cmp_le_i32_e64 s1, v0, v18
	v_cmp_gt_i64_e64 s34, s[8:9], 0
	s_wait_kmcnt 0x0
	v_cmp_gt_i32_e32 vcc_lo, s10, v10
	v_dual_ashrrev_i32 v11, 31, v10 :: v_dual_lshlrev_b32 v44, 4, v19
	v_ashrrev_i32_e32 v19, 31, v18
	v_cmp_gt_i32_e64 s0, s10, v2
	v_lshl_or_b32 v7, v8, 9, v9
	v_add_nc_u32_e32 v9, 0x1000, v3
	v_lshl_add_u32 v45, v21, 7, 0x1000
	v_dual_ashrrev_i32 v21, 31, v20 :: v_dual_mov_b32 v1, 0
	s_or_b32 s35, s4, s5
	s_xor_b32 s4, s2, -1
	v_cmp_gt_i32_e64 s2, s10, v18
	v_cmp_le_i32_e64 s5, v4, v20
	s_and_b32 s34, s35, s34
	s_or_b32 s25, s3, s4
	v_cmp_le_i32_e64 s3, v0, v20
	v_cmp_gt_i32_e64 s4, s10, v20
	s_and_b32 s28, s1, s2
	v_cmp_le_i32_e64 s1, v4, v18
	s_lshl_b64 s[10:11], s[30:31], 4
	s_and_b32 s29, s3, s4
	s_and_b32 s33, s5, s4
	;; [unrolled: 1-line block ×3, first 2 shown]
	s_lshl_b64 s[2:3], s[22:23], 4
	s_lshl_b64 s[4:5], s[16:17], 4
	s_xor_b32 s16, vcc_lo, -1
	s_branch .LBB556_7
.LBB556_6:                              ;   in Loop: Header=BB556_7 Depth=1
	s_wait_xcnt 0x0
	s_or_b32 exec_lo, exec_lo, s14
	s_add_co_i32 s6, s6, 0x10000
	s_delay_alu instid0(SALU_CYCLE_1)
	s_cmp_lt_u32 s6, s24
	s_cbranch_scc0 .LBB556_39
.LBB556_7:                              ; =>This Loop Header: Depth=1
                                        ;     Child Loop BB556_10 Depth 2
	v_mov_b32_e32 v0, s6
	v_mov_b64_e32 v[40:41], 0
	v_mov_b64_e32 v[42:43], 0
	;; [unrolled: 1-line block ×4, first 2 shown]
	global_load_b64 v[22:23], v0, s[26:27] scale_offset
	v_mov_b64_e32 v[32:33], 0
	v_mov_b64_e32 v[34:35], 0
	;; [unrolled: 1-line block ×4, first 2 shown]
	s_and_not1_b32 vcc_lo, exec_lo, s34
	s_cbranch_vccnz .LBB556_18
; %bb.8:                                ;   in Loop: Header=BB556_7 Depth=1
	s_lshl_b64 s[14:15], s[6:7], 3
	v_mov_b64_e32 v[26:27], 0
	s_add_nc_u64 s[22:23], s[12:13], s[14:15]
	s_add_nc_u64 s[14:15], s[18:19], s[14:15]
	s_clause 0x1
	global_load_b64 v[2:3], v1, s[22:23]
	global_load_b64 v[4:5], v1, s[14:15]
	v_mov_b64_e32 v[24:25], 0
	v_mov_b64_e32 v[34:35], 0
	;; [unrolled: 1-line block ×7, first 2 shown]
	s_wait_xcnt 0x0
	s_mov_b64 s[14:15], 0
	s_wait_loadcnt 0x1
	v_add_nc_u64_e32 v[2:3], s[4:5], v[2:3]
	s_wait_loadcnt 0x0
	v_add_nc_u64_e32 v[4:5], s[2:3], v[4:5]
	s_delay_alu instid0(VALU_DEP_2) | instskip(NEXT) | instid1(VALU_DEP_2)
	v_lshl_add_u64 v[28:29], v[12:13], 4, v[2:3]
	v_lshl_add_u64 v[30:31], v[10:11], 4, v[4:5]
	s_branch .LBB556_10
.LBB556_9:                              ;   in Loop: Header=BB556_10 Depth=2
	s_wait_xcnt 0x0
	s_or_b32 exec_lo, exec_lo, s17
	s_wait_dscnt 0x0
	s_barrier_signal -1
	s_barrier_wait -1
	ds_load_b128 v[2:5], v45
	ds_load_b128 v[46:49], v44
	ds_load_b128 v[50:53], v44 offset:256
	ds_load_b128 v[54:57], v45 offset:2048
	;; [unrolled: 1-line block ×10, first 2 shown]
	s_add_nc_u64 s[14:15], s[14:15], 8
	s_delay_alu instid0(SALU_CYCLE_1)
	v_cmp_gt_i64_e64 s17, s[8:9], s[14:15]
	s_and_b32 vcc_lo, exec_lo, s17
	s_wait_dscnt 0xa
	v_mul_f64_e32 v[90:91], v[4:5], v[48:49]
	v_mul_f64_e32 v[92:93], v[2:3], v[48:49]
	s_wait_dscnt 0x9
	v_mul_f64_e32 v[94:95], v[4:5], v[52:53]
	v_mul_f64_e32 v[96:97], v[2:3], v[52:53]
	s_wait_dscnt 0x8
	v_mul_f64_e32 v[98:99], v[56:57], v[48:49]
	v_mul_f64_e32 v[100:101], v[54:55], v[48:49]
	v_mul_f64_e32 v[48:49], v[56:57], v[52:53]
	v_mul_f64_e32 v[102:103], v[54:55], v[52:53]
	s_wait_dscnt 0x6
	v_mul_f64_e32 v[104:105], v[60:61], v[64:65]
	v_mul_f64_e32 v[106:107], v[58:59], v[64:65]
	s_wait_dscnt 0x5
	v_mul_f64_e32 v[108:109], v[60:61], v[68:69]
	v_mul_f64_e32 v[110:111], v[58:59], v[68:69]
	s_wait_dscnt 0x4
	v_mul_f64_e32 v[112:113], v[72:73], v[64:65]
	v_mul_f64_e32 v[64:65], v[70:71], v[64:65]
	v_mul_f64_e32 v[114:115], v[72:73], v[68:69]
	v_mul_f64_e32 v[68:69], v[70:71], v[68:69]
	;; [unrolled: 11-line block ×3, first 2 shown]
	v_fma_f64 v[90:91], v[2:3], v[46:47], -v[90:91]
	v_fmac_f64_e32 v[92:93], v[4:5], v[46:47]
	v_fma_f64 v[94:95], v[2:3], v[50:51], -v[94:95]
	v_fmac_f64_e32 v[96:97], v[4:5], v[50:51]
	;; [unrolled: 2-line block ×8, first 2 shown]
	ds_load_b128 v[2:5], v45 offset:48
	ds_load_b128 v[46:49], v45 offset:2096
	;; [unrolled: 1-line block ×4, first 2 shown]
	v_fma_f64 v[118:119], v[74:75], v[78:79], -v[118:119]
	v_fmac_f64_e32 v[120:121], v[76:77], v[78:79]
	v_fma_f64 v[74:75], v[74:75], v[82:83], -v[122:123]
	v_fmac_f64_e32 v[124:125], v[76:77], v[82:83]
	;; [unrolled: 2-line block ×4, first 2 shown]
	v_add_f64_e32 v[66:67], v[40:41], v[90:91]
	v_add_f64_e32 v[70:71], v[92:93], v[42:43]
	;; [unrolled: 1-line block ×8, first 2 shown]
	s_wait_dscnt 0x1
	v_mul_f64_e32 v[100:101], v[4:5], v[52:53]
	v_mul_f64_e32 v[102:103], v[2:3], v[52:53]
	s_wait_dscnt 0x0
	v_mul_f64_e32 v[108:109], v[4:5], v[56:57]
	v_mul_f64_e32 v[112:113], v[2:3], v[56:57]
	;; [unrolled: 1-line block ×6, first 2 shown]
	ds_load_b128 v[24:27], v45 offset:64
	ds_load_b128 v[32:35], v44 offset:2048
	;; [unrolled: 1-line block ×4, first 2 shown]
	v_add_f64_e32 v[82:83], v[66:67], v[104:105]
	v_add_f64_e32 v[86:87], v[106:107], v[70:71]
	;; [unrolled: 1-line block ×8, first 2 shown]
	s_wait_dscnt 0x2
	v_mul_f64_e32 v[98:99], v[26:27], v[34:35]
	v_mul_f64_e32 v[104:105], v[24:25], v[34:35]
	s_wait_dscnt 0x1
	v_mul_f64_e32 v[106:107], v[26:27], v[38:39]
	v_mul_f64_e32 v[110:111], v[24:25], v[38:39]
	s_wait_dscnt 0x0
	v_mul_f64_e32 v[122:123], v[42:43], v[34:35]
	v_mul_f64_e32 v[126:127], v[40:41], v[34:35]
	v_mul_f64_e32 v[34:35], v[42:43], v[38:39]
	v_mul_f64_e32 v[128:129], v[40:41], v[38:39]
	v_fma_f64 v[38:39], v[2:3], v[50:51], -v[100:101]
	v_fmac_f64_e32 v[102:103], v[4:5], v[50:51]
	v_fma_f64 v[100:101], v[2:3], v[54:55], -v[108:109]
	v_fmac_f64_e32 v[112:113], v[4:5], v[54:55]
	;; [unrolled: 2-line block ×4, first 2 shown]
	ds_load_b128 v[56:59], v45 offset:80
	ds_load_b128 v[60:63], v45 offset:2128
	;; [unrolled: 1-line block ×4, first 2 shown]
	v_add_f64_e32 v[54:55], v[82:83], v[118:119]
	v_add_f64_e32 v[82:83], v[120:121], v[86:87]
	;; [unrolled: 1-line block ×8, first 2 shown]
	v_fma_f64 v[98:99], v[24:25], v[32:33], -v[98:99]
	v_fmac_f64_e32 v[104:105], v[26:27], v[32:33]
	v_fma_f64 v[106:107], v[24:25], v[36:37], -v[106:107]
	s_wait_dscnt 0x1
	v_mul_f64_e32 v[90:91], v[58:59], v[66:67]
	v_mul_f64_e32 v[92:93], v[56:57], v[66:67]
	s_wait_dscnt 0x0
	v_mul_f64_e32 v[94:95], v[58:59], v[70:71]
	v_mul_f64_e32 v[96:97], v[56:57], v[70:71]
	v_mul_f64_e32 v[118:119], v[62:63], v[66:67]
	v_mul_f64_e32 v[66:67], v[60:61], v[66:67]
	v_mul_f64_e32 v[120:121], v[62:63], v[70:71]
	v_mul_f64_e32 v[70:71], v[60:61], v[70:71]
	v_fmac_f64_e32 v[110:111], v[26:27], v[36:37]
	v_fma_f64 v[122:123], v[40:41], v[32:33], -v[122:123]
	v_fmac_f64_e32 v[126:127], v[42:43], v[32:33]
	v_fma_f64 v[124:125], v[40:41], v[36:37], -v[34:35]
	v_fmac_f64_e32 v[128:129], v[42:43], v[36:37]
	ds_load_b128 v[2:5], v45 offset:96
	ds_load_b128 v[46:49], v44 offset:3072
	;; [unrolled: 1-line block ×4, first 2 shown]
	v_add_f64_e32 v[54:55], v[54:55], v[38:39]
	v_add_f64_e32 v[82:83], v[102:103], v[82:83]
	;; [unrolled: 1-line block ×8, first 2 shown]
	ds_load_b128 v[24:27], v45 offset:112
	ds_load_b128 v[32:35], v45 offset:2160
	;; [unrolled: 1-line block ×4, first 2 shown]
	s_wait_dscnt 0x0
	v_mul_f64_e32 v[100:101], v[4:5], v[48:49]
	v_mul_f64_e32 v[102:103], v[2:3], v[48:49]
	;; [unrolled: 1-line block ×8, first 2 shown]
	v_fma_f64 v[90:91], v[56:57], v[64:65], -v[90:91]
	v_fmac_f64_e32 v[92:93], v[58:59], v[64:65]
	v_fma_f64 v[56:57], v[56:57], v[68:69], -v[94:95]
	v_fmac_f64_e32 v[96:97], v[58:59], v[68:69]
	;; [unrolled: 2-line block ×4, first 2 shown]
	s_barrier_signal -1
	s_barrier_wait -1
	v_mul_f64_e32 v[94:95], v[24:25], v[42:43]
	v_add_f64_e32 v[54:55], v[54:55], v[98:99]
	v_add_f64_e32 v[62:63], v[104:105], v[82:83]
	v_add_f64_e32 v[64:65], v[86:87], v[106:107]
	v_add_f64_e32 v[68:69], v[110:111], v[88:89]
	v_add_f64_e32 v[76:77], v[76:77], v[122:123]
	v_add_f64_e32 v[80:81], v[126:127], v[80:81]
	v_add_f64_e32 v[78:79], v[78:79], v[124:125]
	v_add_f64_e32 v[82:83], v[128:129], v[84:85]
	v_mul_f64_e32 v[84:85], v[26:27], v[38:39]
	v_mul_f64_e32 v[86:87], v[24:25], v[38:39]
	;; [unrolled: 1-line block ×7, first 2 shown]
	v_fma_f64 v[42:43], v[2:3], v[46:47], -v[100:101]
	v_fmac_f64_e32 v[102:103], v[4:5], v[46:47]
	v_fma_f64 v[2:3], v[2:3], v[50:51], -v[108:109]
	v_fmac_f64_e32 v[112:113], v[4:5], v[50:51]
	;; [unrolled: 2-line block ×4, first 2 shown]
	v_fmac_f64_e32 v[94:95], v[26:27], v[40:41]
	v_add_f64_e32 v[50:51], v[54:55], v[90:91]
	v_add_f64_e32 v[54:55], v[92:93], v[62:63]
	;; [unrolled: 1-line block ×8, first 2 shown]
	v_fma_f64 v[68:69], v[24:25], v[36:37], -v[84:85]
	v_fmac_f64_e32 v[86:87], v[26:27], v[36:37]
	v_fma_f64 v[24:25], v[24:25], v[40:41], -v[88:89]
	v_fma_f64 v[26:27], v[32:33], v[36:37], -v[98:99]
	v_fmac_f64_e32 v[104:105], v[34:35], v[36:37]
	v_fma_f64 v[70:71], v[32:33], v[40:41], -v[38:39]
	v_fmac_f64_e32 v[106:107], v[34:35], v[40:41]
	v_add_f64_e32 v[32:33], v[50:51], v[42:43]
	v_add_f64_e32 v[34:35], v[102:103], v[54:55]
	;; [unrolled: 1-line block ×16, first 2 shown]
	s_cbranch_vccz .LBB556_18
.LBB556_10:                             ;   Parent Loop BB556_7 Depth=1
                                        ; =>  This Inner Loop Header: Depth=2
	v_mov_b64_e32 v[2:3], 0
	v_mov_b64_e32 v[4:5], 0
	s_and_saveexec_b32 s17, s0
	s_cbranch_execz .LBB556_14
; %bb.11:                               ;   in Loop: Header=BB556_10 Depth=2
	v_mov_b64_e32 v[4:5], 0
	v_mov_b64_e32 v[2:3], 0
	v_add_nc_u32_e32 v0, s14, v8
	s_mov_b32 s22, exec_lo
	s_delay_alu instid0(VALU_DEP_1)
	v_cmpx_gt_u64_e64 s[8:9], v[0:1]
	s_cbranch_execz .LBB556_13
; %bb.12:                               ;   in Loop: Header=BB556_10 Depth=2
	v_lshl_add_u64 v[2:3], v[0:1], 4, v[28:29]
	flat_load_b128 v[2:5], v[2:3]
	s_wait_loadcnt_dscnt 0x0
	v_xor_b32_e32 v5, 0x80000000, v5
.LBB556_13:                             ;   in Loop: Header=BB556_10 Depth=2
	s_wait_xcnt 0x0
	s_or_b32 exec_lo, exec_lo, s22
.LBB556_14:                             ;   in Loop: Header=BB556_10 Depth=2
	s_delay_alu instid0(SALU_CYCLE_1) | instskip(SKIP_4) | instid1(SALU_CYCLE_1)
	s_or_b32 exec_lo, exec_lo, s17
	v_add_nc_u32_e32 v0, s14, v6
	ds_store_b128 v7, v[2:5]
	v_cmp_le_u64_e32 vcc_lo, s[8:9], v[0:1]
	s_or_b32 s17, vcc_lo, s16
	s_and_saveexec_b32 s22, s17
	s_delay_alu instid0(SALU_CYCLE_1)
	s_xor_b32 s17, exec_lo, s22
; %bb.15:                               ;   in Loop: Header=BB556_10 Depth=2
	v_dual_mov_b32 v0, v1 :: v_dual_mov_b32 v2, v1
	v_mov_b32_e32 v3, v1
	ds_store_b128 v9, v[0:3]
; %bb.16:                               ;   in Loop: Header=BB556_10 Depth=2
	s_and_not1_saveexec_b32 s17, s17
	s_cbranch_execz .LBB556_9
; %bb.17:                               ;   in Loop: Header=BB556_10 Depth=2
	v_mul_u64_e32 v[2:3], s[20:21], v[0:1]
	s_delay_alu instid0(VALU_DEP_1)
	v_lshl_add_u64 v[2:3], v[2:3], 4, v[30:31]
	flat_load_b128 v[2:5], v[2:3]
	s_wait_loadcnt_dscnt 0x0
	ds_store_2addr_b64 v9, v[2:3], v[4:5] offset1:1
	s_branch .LBB556_9
.LBB556_18:                             ;   in Loop: Header=BB556_7 Depth=1
	s_wait_loadcnt 0x0
	v_add_nc_u64_e32 v[22:23], s[10:11], v[22:23]
	s_delay_alu instid0(VALU_DEP_1)
	v_lshl_add_u64 v[28:29], v[14:15], 4, v[22:23]
	s_wait_xcnt 0x0
	s_and_saveexec_b32 s14, s28
	s_cbranch_execz .LBB556_23
; %bb.19:                               ;   in Loop: Header=BB556_7 Depth=1
	v_mul_f64_e32 v[2:3], s[42:43], v[42:43]
	v_mul_f64_e32 v[4:5], s[40:41], v[42:43]
	v_lshl_add_u64 v[30:31], v[18:19], 4, v[28:29]
	s_and_b32 vcc_lo, exec_lo, s25
	s_mov_b32 s15, -1
	s_delay_alu instid0(VALU_DEP_3) | instskip(NEXT) | instid1(VALU_DEP_3)
	v_fma_f64 v[2:3], s[40:41], v[40:41], -v[2:3]
	v_fmac_f64_e32 v[4:5], s[42:43], v[40:41]
	s_cbranch_vccz .LBB556_21
; %bb.20:                               ;   in Loop: Header=BB556_7 Depth=1
	flat_load_b128 v[40:43], v[30:31]
	s_mov_b32 s15, 0
	s_wait_loadcnt_dscnt 0x0
	v_mul_f64_e32 v[46:47], s[38:39], v[42:43]
	v_mul_f64_e32 v[42:43], s[36:37], v[42:43]
	s_delay_alu instid0(VALU_DEP_2) | instskip(NEXT) | instid1(VALU_DEP_2)
	v_fma_f64 v[46:47], s[36:37], v[40:41], -v[46:47]
	v_fmac_f64_e32 v[42:43], s[38:39], v[40:41]
	s_delay_alu instid0(VALU_DEP_2) | instskip(NEXT) | instid1(VALU_DEP_2)
	v_add_f64_e32 v[40:41], v[2:3], v[46:47]
	v_add_f64_e32 v[42:43], v[4:5], v[42:43]
	flat_store_b128 v[30:31], v[40:43]
.LBB556_21:                             ;   in Loop: Header=BB556_7 Depth=1
	s_and_not1_b32 vcc_lo, exec_lo, s15
	s_cbranch_vccnz .LBB556_23
; %bb.22:                               ;   in Loop: Header=BB556_7 Depth=1
	flat_store_b128 v[30:31], v[2:5]
.LBB556_23:                             ;   in Loop: Header=BB556_7 Depth=1
	s_wait_xcnt 0x0
	s_or_b32 exec_lo, exec_lo, s14
	s_and_saveexec_b32 s14, s29
	s_cbranch_execz .LBB556_28
; %bb.24:                               ;   in Loop: Header=BB556_7 Depth=1
	v_mul_f64_e32 v[2:3], s[42:43], v[38:39]
	v_mul_f64_e32 v[4:5], s[40:41], v[38:39]
	v_lshl_add_u64 v[28:29], v[20:21], 4, v[28:29]
	s_and_not1_b32 vcc_lo, exec_lo, s25
	s_mov_b32 s15, -1
	s_delay_alu instid0(VALU_DEP_3) | instskip(NEXT) | instid1(VALU_DEP_3)
	v_fma_f64 v[2:3], s[40:41], v[36:37], -v[2:3]
	v_fmac_f64_e32 v[4:5], s[42:43], v[36:37]
	s_cbranch_vccnz .LBB556_26
; %bb.25:                               ;   in Loop: Header=BB556_7 Depth=1
	flat_load_b128 v[36:39], v[28:29]
	s_mov_b32 s15, 0
	s_wait_loadcnt_dscnt 0x0
	v_mul_f64_e32 v[30:31], s[38:39], v[38:39]
	v_mul_f64_e32 v[38:39], s[36:37], v[38:39]
	s_delay_alu instid0(VALU_DEP_2) | instskip(NEXT) | instid1(VALU_DEP_2)
	v_fma_f64 v[30:31], s[36:37], v[36:37], -v[30:31]
	v_fmac_f64_e32 v[38:39], s[38:39], v[36:37]
	s_delay_alu instid0(VALU_DEP_2) | instskip(NEXT) | instid1(VALU_DEP_2)
	v_add_f64_e32 v[36:37], v[2:3], v[30:31]
	v_add_f64_e32 v[38:39], v[4:5], v[38:39]
	flat_store_b128 v[28:29], v[36:39]
.LBB556_26:                             ;   in Loop: Header=BB556_7 Depth=1
	s_and_not1_b32 vcc_lo, exec_lo, s15
	s_cbranch_vccnz .LBB556_28
; %bb.27:                               ;   in Loop: Header=BB556_7 Depth=1
	flat_store_b128 v[28:29], v[2:5]
.LBB556_28:                             ;   in Loop: Header=BB556_7 Depth=1
	s_wait_xcnt 0x0
	s_or_b32 exec_lo, exec_lo, s14
	v_lshl_add_u64 v[22:23], v[16:17], 4, v[22:23]
	s_and_saveexec_b32 s14, s1
	s_cbranch_execz .LBB556_33
; %bb.29:                               ;   in Loop: Header=BB556_7 Depth=1
	v_mul_f64_e32 v[2:3], s[42:43], v[34:35]
	v_mul_f64_e32 v[4:5], s[40:41], v[34:35]
	v_lshl_add_u64 v[28:29], v[18:19], 4, v[22:23]
	s_and_not1_b32 vcc_lo, exec_lo, s25
	s_mov_b32 s15, -1
	s_delay_alu instid0(VALU_DEP_3) | instskip(NEXT) | instid1(VALU_DEP_3)
	v_fma_f64 v[2:3], s[40:41], v[32:33], -v[2:3]
	v_fmac_f64_e32 v[4:5], s[42:43], v[32:33]
	s_cbranch_vccnz .LBB556_31
; %bb.30:                               ;   in Loop: Header=BB556_7 Depth=1
	flat_load_b128 v[30:33], v[28:29]
	s_mov_b32 s15, 0
	s_wait_loadcnt_dscnt 0x0
	v_mul_f64_e32 v[34:35], s[38:39], v[32:33]
	v_mul_f64_e32 v[32:33], s[36:37], v[32:33]
	s_delay_alu instid0(VALU_DEP_2) | instskip(NEXT) | instid1(VALU_DEP_2)
	v_fma_f64 v[34:35], s[36:37], v[30:31], -v[34:35]
	v_fmac_f64_e32 v[32:33], s[38:39], v[30:31]
	s_delay_alu instid0(VALU_DEP_2) | instskip(NEXT) | instid1(VALU_DEP_2)
	v_add_f64_e32 v[30:31], v[2:3], v[34:35]
	v_add_f64_e32 v[32:33], v[4:5], v[32:33]
	flat_store_b128 v[28:29], v[30:33]
.LBB556_31:                             ;   in Loop: Header=BB556_7 Depth=1
	s_and_not1_b32 vcc_lo, exec_lo, s15
	s_cbranch_vccnz .LBB556_33
; %bb.32:                               ;   in Loop: Header=BB556_7 Depth=1
	flat_store_b128 v[28:29], v[2:5]
.LBB556_33:                             ;   in Loop: Header=BB556_7 Depth=1
	s_wait_xcnt 0x0
	s_or_b32 exec_lo, exec_lo, s14
	s_and_saveexec_b32 s14, s33
	s_cbranch_execz .LBB556_6
; %bb.34:                               ;   in Loop: Header=BB556_7 Depth=1
	s_delay_alu instid0(VALU_DEP_4) | instskip(SKIP_4) | instid1(VALU_DEP_3)
	v_mul_f64_e32 v[2:3], s[42:43], v[26:27]
	v_mul_f64_e32 v[4:5], s[40:41], v[26:27]
	v_lshl_add_u64 v[22:23], v[20:21], 4, v[22:23]
	s_and_not1_b32 vcc_lo, exec_lo, s25
	s_mov_b32 s15, -1
	v_fma_f64 v[2:3], s[40:41], v[24:25], -v[2:3]
	s_delay_alu instid0(VALU_DEP_3)
	v_fmac_f64_e32 v[4:5], s[42:43], v[24:25]
	s_cbranch_vccnz .LBB556_36
; %bb.35:                               ;   in Loop: Header=BB556_7 Depth=1
	flat_load_b128 v[24:27], v[22:23]
	s_mov_b32 s15, 0
	s_wait_loadcnt_dscnt 0x0
	v_mul_f64_e32 v[28:29], s[38:39], v[26:27]
	v_mul_f64_e32 v[26:27], s[36:37], v[26:27]
	s_delay_alu instid0(VALU_DEP_2) | instskip(NEXT) | instid1(VALU_DEP_2)
	v_fma_f64 v[28:29], s[36:37], v[24:25], -v[28:29]
	v_fmac_f64_e32 v[26:27], s[38:39], v[24:25]
	s_delay_alu instid0(VALU_DEP_2) | instskip(NEXT) | instid1(VALU_DEP_2)
	v_add_f64_e32 v[24:25], v[2:3], v[28:29]
	v_add_f64_e32 v[26:27], v[4:5], v[26:27]
	flat_store_b128 v[22:23], v[24:27]
.LBB556_36:                             ;   in Loop: Header=BB556_7 Depth=1
	s_and_not1_b32 vcc_lo, exec_lo, s15
	s_cbranch_vccnz .LBB556_6
; %bb.37:                               ;   in Loop: Header=BB556_7 Depth=1
	flat_store_b128 v[22:23], v[2:5]
	s_branch .LBB556_6
.LBB556_38:
.LBB556_39:
	s_sendmsg sendmsg(MSG_DEALLOC_VGPRS)
	s_endpgm
	.section	.rodata,"a",@progbits
	.p2align	6, 0x0
	.amdhsa_kernel _ZL29rocblas_internal_gemmt_kernelIlLi16ELi32ELi8ELc67ELc84ELc76ELb1ELb0E19rocblas_complex_numIdEPKS1_PKS3_PKPS1_EviT_T9_T10_S9_lSB_S9_lSA_T11_S9_li
		.amdhsa_group_segment_fixed_size 8192
		.amdhsa_private_segment_fixed_size 0
		.amdhsa_kernarg_size 108
		.amdhsa_user_sgpr_count 2
		.amdhsa_user_sgpr_dispatch_ptr 0
		.amdhsa_user_sgpr_queue_ptr 0
		.amdhsa_user_sgpr_kernarg_segment_ptr 1
		.amdhsa_user_sgpr_dispatch_id 0
		.amdhsa_user_sgpr_kernarg_preload_length 0
		.amdhsa_user_sgpr_kernarg_preload_offset 0
		.amdhsa_user_sgpr_private_segment_size 0
		.amdhsa_wavefront_size32 1
		.amdhsa_uses_dynamic_stack 0
		.amdhsa_enable_private_segment 0
		.amdhsa_system_sgpr_workgroup_id_x 1
		.amdhsa_system_sgpr_workgroup_id_y 1
		.amdhsa_system_sgpr_workgroup_id_z 1
		.amdhsa_system_sgpr_workgroup_info 0
		.amdhsa_system_vgpr_workitem_id 1
		.amdhsa_next_free_vgpr 132
		.amdhsa_next_free_sgpr 44
		.amdhsa_named_barrier_count 0
		.amdhsa_reserve_vcc 1
		.amdhsa_float_round_mode_32 0
		.amdhsa_float_round_mode_16_64 0
		.amdhsa_float_denorm_mode_32 3
		.amdhsa_float_denorm_mode_16_64 3
		.amdhsa_fp16_overflow 0
		.amdhsa_memory_ordered 1
		.amdhsa_forward_progress 1
		.amdhsa_inst_pref_size 23
		.amdhsa_round_robin_scheduling 0
		.amdhsa_exception_fp_ieee_invalid_op 0
		.amdhsa_exception_fp_denorm_src 0
		.amdhsa_exception_fp_ieee_div_zero 0
		.amdhsa_exception_fp_ieee_overflow 0
		.amdhsa_exception_fp_ieee_underflow 0
		.amdhsa_exception_fp_ieee_inexact 0
		.amdhsa_exception_int_div_zero 0
	.end_amdhsa_kernel
	.section	.text._ZL29rocblas_internal_gemmt_kernelIlLi16ELi32ELi8ELc67ELc84ELc76ELb1ELb0E19rocblas_complex_numIdEPKS1_PKS3_PKPS1_EviT_T9_T10_S9_lSB_S9_lSA_T11_S9_li,"axG",@progbits,_ZL29rocblas_internal_gemmt_kernelIlLi16ELi32ELi8ELc67ELc84ELc76ELb1ELb0E19rocblas_complex_numIdEPKS1_PKS3_PKPS1_EviT_T9_T10_S9_lSB_S9_lSA_T11_S9_li,comdat
.Lfunc_end556:
	.size	_ZL29rocblas_internal_gemmt_kernelIlLi16ELi32ELi8ELc67ELc84ELc76ELb1ELb0E19rocblas_complex_numIdEPKS1_PKS3_PKPS1_EviT_T9_T10_S9_lSB_S9_lSA_T11_S9_li, .Lfunc_end556-_ZL29rocblas_internal_gemmt_kernelIlLi16ELi32ELi8ELc67ELc84ELc76ELb1ELb0E19rocblas_complex_numIdEPKS1_PKS3_PKPS1_EviT_T9_T10_S9_lSB_S9_lSA_T11_S9_li
                                        ; -- End function
	.set _ZL29rocblas_internal_gemmt_kernelIlLi16ELi32ELi8ELc67ELc84ELc76ELb1ELb0E19rocblas_complex_numIdEPKS1_PKS3_PKPS1_EviT_T9_T10_S9_lSB_S9_lSA_T11_S9_li.num_vgpr, 132
	.set _ZL29rocblas_internal_gemmt_kernelIlLi16ELi32ELi8ELc67ELc84ELc76ELb1ELb0E19rocblas_complex_numIdEPKS1_PKS3_PKPS1_EviT_T9_T10_S9_lSB_S9_lSA_T11_S9_li.num_agpr, 0
	.set _ZL29rocblas_internal_gemmt_kernelIlLi16ELi32ELi8ELc67ELc84ELc76ELb1ELb0E19rocblas_complex_numIdEPKS1_PKS3_PKPS1_EviT_T9_T10_S9_lSB_S9_lSA_T11_S9_li.numbered_sgpr, 44
	.set _ZL29rocblas_internal_gemmt_kernelIlLi16ELi32ELi8ELc67ELc84ELc76ELb1ELb0E19rocblas_complex_numIdEPKS1_PKS3_PKPS1_EviT_T9_T10_S9_lSB_S9_lSA_T11_S9_li.num_named_barrier, 0
	.set _ZL29rocblas_internal_gemmt_kernelIlLi16ELi32ELi8ELc67ELc84ELc76ELb1ELb0E19rocblas_complex_numIdEPKS1_PKS3_PKPS1_EviT_T9_T10_S9_lSB_S9_lSA_T11_S9_li.private_seg_size, 0
	.set _ZL29rocblas_internal_gemmt_kernelIlLi16ELi32ELi8ELc67ELc84ELc76ELb1ELb0E19rocblas_complex_numIdEPKS1_PKS3_PKPS1_EviT_T9_T10_S9_lSB_S9_lSA_T11_S9_li.uses_vcc, 1
	.set _ZL29rocblas_internal_gemmt_kernelIlLi16ELi32ELi8ELc67ELc84ELc76ELb1ELb0E19rocblas_complex_numIdEPKS1_PKS3_PKPS1_EviT_T9_T10_S9_lSB_S9_lSA_T11_S9_li.uses_flat_scratch, 0
	.set _ZL29rocblas_internal_gemmt_kernelIlLi16ELi32ELi8ELc67ELc84ELc76ELb1ELb0E19rocblas_complex_numIdEPKS1_PKS3_PKPS1_EviT_T9_T10_S9_lSB_S9_lSA_T11_S9_li.has_dyn_sized_stack, 0
	.set _ZL29rocblas_internal_gemmt_kernelIlLi16ELi32ELi8ELc67ELc84ELc76ELb1ELb0E19rocblas_complex_numIdEPKS1_PKS3_PKPS1_EviT_T9_T10_S9_lSB_S9_lSA_T11_S9_li.has_recursion, 0
	.set _ZL29rocblas_internal_gemmt_kernelIlLi16ELi32ELi8ELc67ELc84ELc76ELb1ELb0E19rocblas_complex_numIdEPKS1_PKS3_PKPS1_EviT_T9_T10_S9_lSB_S9_lSA_T11_S9_li.has_indirect_call, 0
	.section	.AMDGPU.csdata,"",@progbits
; Kernel info:
; codeLenInByte = 2940
; TotalNumSgprs: 46
; NumVgprs: 132
; ScratchSize: 0
; MemoryBound: 1
; FloatMode: 240
; IeeeMode: 1
; LDSByteSize: 8192 bytes/workgroup (compile time only)
; SGPRBlocks: 0
; VGPRBlocks: 8
; NumSGPRsForWavesPerEU: 46
; NumVGPRsForWavesPerEU: 132
; NamedBarCnt: 0
; Occupancy: 7
; WaveLimiterHint : 1
; COMPUTE_PGM_RSRC2:SCRATCH_EN: 0
; COMPUTE_PGM_RSRC2:USER_SGPR: 2
; COMPUTE_PGM_RSRC2:TRAP_HANDLER: 0
; COMPUTE_PGM_RSRC2:TGID_X_EN: 1
; COMPUTE_PGM_RSRC2:TGID_Y_EN: 1
; COMPUTE_PGM_RSRC2:TGID_Z_EN: 1
; COMPUTE_PGM_RSRC2:TIDIG_COMP_CNT: 1
	.section	.text._ZL29rocblas_internal_gemmt_kernelIlLi16ELi32ELi8ELc67ELc67ELc76ELb1ELb1E19rocblas_complex_numIdEPKS1_PKS3_PKPS1_EviT_T9_T10_S9_lSB_S9_lSA_T11_S9_li,"axG",@progbits,_ZL29rocblas_internal_gemmt_kernelIlLi16ELi32ELi8ELc67ELc67ELc76ELb1ELb1E19rocblas_complex_numIdEPKS1_PKS3_PKPS1_EviT_T9_T10_S9_lSB_S9_lSA_T11_S9_li,comdat
	.globl	_ZL29rocblas_internal_gemmt_kernelIlLi16ELi32ELi8ELc67ELc67ELc76ELb1ELb1E19rocblas_complex_numIdEPKS1_PKS3_PKPS1_EviT_T9_T10_S9_lSB_S9_lSA_T11_S9_li ; -- Begin function _ZL29rocblas_internal_gemmt_kernelIlLi16ELi32ELi8ELc67ELc67ELc76ELb1ELb1E19rocblas_complex_numIdEPKS1_PKS3_PKPS1_EviT_T9_T10_S9_lSB_S9_lSA_T11_S9_li
	.p2align	8
	.type	_ZL29rocblas_internal_gemmt_kernelIlLi16ELi32ELi8ELc67ELc67ELc76ELb1ELb1E19rocblas_complex_numIdEPKS1_PKS3_PKPS1_EviT_T9_T10_S9_lSB_S9_lSA_T11_S9_li,@function
_ZL29rocblas_internal_gemmt_kernelIlLi16ELi32ELi8ELc67ELc67ELc76ELb1ELb1E19rocblas_complex_numIdEPKS1_PKS3_PKPS1_EviT_T9_T10_S9_lSB_S9_lSA_T11_S9_li: ; @_ZL29rocblas_internal_gemmt_kernelIlLi16ELi32ELi8ELc67ELc67ELc76ELb1ELb1E19rocblas_complex_numIdEPKS1_PKS3_PKPS1_EviT_T9_T10_S9_lSB_S9_lSA_T11_S9_li
; %bb.0:
	s_clause 0x1
	s_load_b256 s[24:31], s[0:1], 0x48
	s_load_b512 s[8:23], s[0:1], 0x8
	s_wait_kmcnt 0x0
	s_load_b128 s[36:39], s[24:25], 0x0
	s_load_b128 s[40:43], s[10:11], 0x0
	s_wait_kmcnt 0x0
	v_cmp_eq_f64_e64 s3, s[36:37], 1.0
	v_cmp_eq_f64_e64 s2, s[38:39], 0
	s_and_b32 s3, s3, s2
	s_delay_alu instid0(SALU_CYCLE_1)
	s_and_not1_b32 vcc_lo, exec_lo, s3
	s_mov_b32 s3, -1
	s_cbranch_vccnz .LBB557_3
; %bb.1:
	s_cmp_lg_u64 s[8:9], 0
	s_cbranch_scc0 .LBB557_36
; %bb.2:
	v_cmp_neq_f64_e64 s3, s[40:41], 0
	v_cmp_neq_f64_e64 s4, s[42:43], 0
	s_or_b32 s3, s3, s4
.LBB557_3:
	s_delay_alu instid0(SALU_CYCLE_1)
	s_and_b32 vcc_lo, exec_lo, s3
	s_cbranch_vccz .LBB557_37
; %bb.4:
	s_load_b32 s24, s[0:1], 0x68
	s_bfe_u32 s3, ttmp6, 0x40014
	s_lshr_b32 s4, ttmp7, 16
	s_add_co_i32 s3, s3, 1
	s_bfe_u32 s6, ttmp6, 0x40008
	s_mul_i32 s5, s4, s3
	s_getreg_b32 s3, hwreg(HW_REG_IB_STS2, 6, 4)
	s_add_co_i32 s6, s6, s5
	s_cmp_eq_u32 s3, 0
	s_mov_b32 s7, 0
	s_cselect_b32 s6, s4, s6
	s_wait_kmcnt 0x0
	s_cmp_ge_u32 s6, s24
	s_cbranch_scc1 .LBB557_37
; %bb.5:
	s_load_b32 s10, s[0:1], 0x0
	s_wait_xcnt 0x0
	s_bfe_u32 s1, ttmp6, 0x4000c
	s_bfe_u32 s25, ttmp6, 0x40010
	s_and_b32 s11, ttmp7, 0xffff
	s_add_co_i32 s1, s1, 1
	s_add_co_i32 s25, s25, 1
	v_and_b32_e32 v6, 0x3ff, v0
	v_bfe_u32 v7, v0, 10, 10
	s_and_b32 s0, ttmp6, 15
	s_bfe_u32 s33, ttmp6, 0x40004
	s_mul_i32 s1, ttmp9, s1
	s_mul_i32 s25, s11, s25
	s_add_co_i32 s0, s0, s1
	s_add_co_i32 s33, s33, s25
	s_cmp_eq_u32 s3, 0
	v_lshl_add_u32 v1, v7, 4, v6
	s_cselect_b32 s1, s11, s33
	s_cselect_b32 s0, ttmp9, s0
	s_lshl_b32 s1, s1, 5
	s_delay_alu instid0(VALU_DEP_1)
	v_dual_lshrrev_b32 v11, 3, v1 :: v_dual_bitop2_b32 v8, 7, v0 bitop3:0x40
	v_dual_add_nc_u32 v0, s1, v7 :: v_dual_bitop2_b32 v9, 31, v1 bitop3:0x40
	v_cmp_neq_f64_e64 s4, s[40:41], 0
	v_cmp_neq_f64_e64 s5, s[42:43], 0
	s_lshl_b32 s11, s0, 5
	v_cmp_neq_f64_e64 s3, s[36:37], 0
	v_dual_add_nc_u32 v4, 16, v0 :: v_dual_bitop2_b32 v2, s11, v9 bitop3:0x54
	v_dual_lshrrev_b32 v10, 5, v1 :: v_dual_add_nc_u32 v12, s1, v11
	s_delay_alu instid0(VALU_DEP_2) | instskip(NEXT) | instid1(VALU_DEP_3)
	v_dual_ashrrev_i32 v1, 31, v0 :: v_dual_ashrrev_i32 v3, 31, v2
	v_dual_ashrrev_i32 v5, 31, v4 :: v_dual_lshlrev_b32 v9, 4, v9
	v_dual_lshlrev_b32 v13, 4, v8 :: v_dual_add_nc_u32 v20, s11, v6
	s_delay_alu instid0(VALU_DEP_3) | instskip(NEXT) | instid1(VALU_DEP_4)
	v_mul_u64_e32 v[14:15], s[14:15], v[2:3]
	v_mul_u64_e32 v[16:17], s[28:29], v[0:1]
	s_delay_alu instid0(VALU_DEP_4) | instskip(NEXT) | instid1(VALU_DEP_4)
	v_mul_u64_e32 v[18:19], s[28:29], v[4:5]
	v_lshl_or_b32 v1, v11, 7, v13
	v_dual_add_nc_u32 v22, 16, v20 :: v_dual_ashrrev_i32 v21, 31, v20
	v_cmp_le_i32_e32 vcc_lo, v0, v20
	v_cmp_gt_i64_e64 s35, s[8:9], 0
	s_wait_kmcnt 0x0
	v_cmp_gt_i32_e64 s0, s10, v2
	v_lshl_or_b32 v9, v10, 9, v9
	v_cmp_gt_i32_e64 s1, s10, v12
	v_add_nc_u32_e32 v11, 0x1000, v1
	v_dual_ashrrev_i32 v13, 31, v12 :: v_dual_lshlrev_b32 v48, 4, v6
	v_lshl_add_u32 v49, v7, 7, 0x1000
	v_dual_ashrrev_i32 v23, 31, v22 :: v_dual_mov_b32 v25, 0
	s_or_b32 s44, s4, s5
	s_xor_b32 s4, s2, -1
	v_cmp_gt_i32_e64 s2, s10, v20
	s_or_b32 s25, s3, s4
	v_cmp_le_i32_e64 s3, v0, v22
	v_cmp_gt_i32_e64 s4, s10, v22
	v_cmp_le_i32_e64 s5, v4, v22
	s_and_b32 s28, vcc_lo, s2
	v_cmp_le_i32_e32 vcc_lo, v4, v20
	s_and_b32 s35, s44, s35
	s_and_b32 s29, s3, s4
	;; [unrolled: 1-line block ×3, first 2 shown]
	s_lshl_b64 s[4:5], s[16:17], 4
	s_and_b32 s33, vcc_lo, s2
	s_lshl_b64 s[2:3], s[22:23], 4
	s_lshl_b64 s[10:11], s[30:31], 4
	s_branch .LBB557_7
.LBB557_6:                              ;   in Loop: Header=BB557_7 Depth=1
	s_wait_xcnt 0x0
	s_or_b32 exec_lo, exec_lo, s14
	s_add_co_i32 s6, s6, 0x10000
	s_delay_alu instid0(SALU_CYCLE_1)
	s_cmp_lt_u32 s6, s24
	s_cbranch_scc0 .LBB557_37
.LBB557_7:                              ; =>This Loop Header: Depth=1
                                        ;     Child Loop BB557_10 Depth 2
	v_mov_b32_e32 v0, s6
	v_mov_b64_e32 v[44:45], 0
	v_mov_b64_e32 v[46:47], 0
	;; [unrolled: 1-line block ×4, first 2 shown]
	global_load_b64 v[26:27], v0, s[26:27] scale_offset
	v_mov_b64_e32 v[36:37], 0
	v_mov_b64_e32 v[38:39], 0
	;; [unrolled: 1-line block ×4, first 2 shown]
	s_and_not1_b32 vcc_lo, exec_lo, s35
	s_cbranch_vccnz .LBB557_16
; %bb.8:                                ;   in Loop: Header=BB557_7 Depth=1
	s_lshl_b64 s[14:15], s[6:7], 3
	v_mov_b64_e32 v[30:31], 0
	s_add_nc_u64 s[16:17], s[12:13], s[14:15]
	s_add_nc_u64 s[14:15], s[18:19], s[14:15]
	s_clause 0x1
	global_load_b64 v[0:1], v25, s[16:17]
	global_load_b64 v[2:3], v25, s[14:15]
	v_mov_b64_e32 v[28:29], 0
	v_mov_b64_e32 v[38:39], 0
	;; [unrolled: 1-line block ×7, first 2 shown]
	s_wait_xcnt 0x0
	s_mov_b64 s[14:15], 0
	s_wait_loadcnt 0x1
	v_add_nc_u64_e32 v[0:1], s[4:5], v[0:1]
	s_wait_loadcnt 0x0
	v_add_nc_u64_e32 v[2:3], s[2:3], v[2:3]
	s_delay_alu instid0(VALU_DEP_2) | instskip(NEXT) | instid1(VALU_DEP_2)
	v_lshl_add_u64 v[32:33], v[14:15], 4, v[0:1]
	v_lshl_add_u64 v[34:35], v[12:13], 4, v[2:3]
	s_branch .LBB557_10
.LBB557_9:                              ;   in Loop: Header=BB557_10 Depth=2
	s_wait_xcnt 0x0
	s_or_b32 exec_lo, exec_lo, s16
	ds_store_b128 v11, v[4:7]
	s_wait_dscnt 0x0
	s_barrier_signal -1
	s_barrier_wait -1
	ds_load_b128 v[0:3], v49
	ds_load_b128 v[4:7], v48
	ds_load_b128 v[50:53], v48 offset:256
	ds_load_b128 v[54:57], v49 offset:2048
	;; [unrolled: 1-line block ×10, first 2 shown]
	s_add_nc_u64 s[14:15], s[14:15], 8
	s_delay_alu instid0(SALU_CYCLE_1)
	v_cmp_gt_i64_e64 s16, s[8:9], s[14:15]
	s_and_b32 vcc_lo, exec_lo, s16
	s_wait_dscnt 0xa
	v_mul_f64_e32 v[90:91], v[2:3], v[6:7]
	v_mul_f64_e32 v[92:93], v[0:1], v[6:7]
	s_wait_dscnt 0x9
	v_mul_f64_e32 v[94:95], v[2:3], v[52:53]
	v_mul_f64_e32 v[96:97], v[0:1], v[52:53]
	s_wait_dscnt 0x8
	v_mul_f64_e32 v[98:99], v[56:57], v[6:7]
	v_mul_f64_e32 v[100:101], v[54:55], v[6:7]
	v_mul_f64_e32 v[6:7], v[56:57], v[52:53]
	v_mul_f64_e32 v[102:103], v[54:55], v[52:53]
	s_wait_dscnt 0x6
	v_mul_f64_e32 v[104:105], v[60:61], v[64:65]
	v_mul_f64_e32 v[106:107], v[58:59], v[64:65]
	s_wait_dscnt 0x5
	v_mul_f64_e32 v[108:109], v[60:61], v[68:69]
	v_mul_f64_e32 v[110:111], v[58:59], v[68:69]
	s_wait_dscnt 0x4
	v_mul_f64_e32 v[112:113], v[72:73], v[64:65]
	v_mul_f64_e32 v[64:65], v[70:71], v[64:65]
	v_mul_f64_e32 v[114:115], v[72:73], v[68:69]
	v_mul_f64_e32 v[68:69], v[70:71], v[68:69]
	;; [unrolled: 11-line block ×3, first 2 shown]
	v_fma_f64 v[90:91], v[0:1], v[4:5], -v[90:91]
	v_fmac_f64_e32 v[92:93], v[2:3], v[4:5]
	v_fma_f64 v[94:95], v[0:1], v[50:51], -v[94:95]
	v_fmac_f64_e32 v[96:97], v[2:3], v[50:51]
	;; [unrolled: 2-line block ×8, first 2 shown]
	ds_load_b128 v[0:3], v49 offset:48
	ds_load_b128 v[4:7], v49 offset:2096
	;; [unrolled: 1-line block ×4, first 2 shown]
	v_fma_f64 v[118:119], v[74:75], v[78:79], -v[118:119]
	v_fmac_f64_e32 v[120:121], v[76:77], v[78:79]
	v_fma_f64 v[74:75], v[74:75], v[82:83], -v[122:123]
	v_fmac_f64_e32 v[124:125], v[76:77], v[82:83]
	;; [unrolled: 2-line block ×4, first 2 shown]
	v_add_f64_e32 v[66:67], v[44:45], v[90:91]
	v_add_f64_e32 v[70:71], v[92:93], v[46:47]
	;; [unrolled: 1-line block ×8, first 2 shown]
	s_wait_dscnt 0x1
	v_mul_f64_e32 v[100:101], v[2:3], v[52:53]
	v_mul_f64_e32 v[102:103], v[0:1], v[52:53]
	s_wait_dscnt 0x0
	v_mul_f64_e32 v[108:109], v[2:3], v[56:57]
	v_mul_f64_e32 v[112:113], v[0:1], v[56:57]
	v_mul_f64_e32 v[114:115], v[6:7], v[52:53]
	v_mul_f64_e32 v[116:117], v[4:5], v[52:53]
	v_mul_f64_e32 v[52:53], v[6:7], v[56:57]
	v_mul_f64_e32 v[130:131], v[4:5], v[56:57]
	ds_load_b128 v[28:31], v49 offset:64
	ds_load_b128 v[36:39], v48 offset:2048
	;; [unrolled: 1-line block ×4, first 2 shown]
	v_add_f64_e32 v[82:83], v[66:67], v[104:105]
	v_add_f64_e32 v[86:87], v[106:107], v[70:71]
	;; [unrolled: 1-line block ×8, first 2 shown]
	s_wait_dscnt 0x2
	v_mul_f64_e32 v[98:99], v[30:31], v[38:39]
	v_mul_f64_e32 v[104:105], v[28:29], v[38:39]
	s_wait_dscnt 0x1
	v_mul_f64_e32 v[106:107], v[30:31], v[42:43]
	v_mul_f64_e32 v[110:111], v[28:29], v[42:43]
	;; [unrolled: 3-line block ×3, first 2 shown]
	v_mul_f64_e32 v[38:39], v[46:47], v[42:43]
	v_mul_f64_e32 v[128:129], v[44:45], v[42:43]
	v_fma_f64 v[42:43], v[0:1], v[50:51], -v[100:101]
	v_fmac_f64_e32 v[102:103], v[2:3], v[50:51]
	v_fma_f64 v[100:101], v[0:1], v[54:55], -v[108:109]
	v_fmac_f64_e32 v[112:113], v[2:3], v[54:55]
	;; [unrolled: 2-line block ×4, first 2 shown]
	ds_load_b128 v[56:59], v49 offset:80
	ds_load_b128 v[60:63], v49 offset:2128
	;; [unrolled: 1-line block ×4, first 2 shown]
	v_add_f64_e32 v[54:55], v[82:83], v[118:119]
	v_add_f64_e32 v[82:83], v[120:121], v[86:87]
	;; [unrolled: 1-line block ×8, first 2 shown]
	v_fma_f64 v[98:99], v[28:29], v[36:37], -v[98:99]
	v_fmac_f64_e32 v[104:105], v[30:31], v[36:37]
	v_fma_f64 v[106:107], v[28:29], v[40:41], -v[106:107]
	s_wait_dscnt 0x1
	v_mul_f64_e32 v[90:91], v[58:59], v[66:67]
	v_mul_f64_e32 v[92:93], v[56:57], v[66:67]
	s_wait_dscnt 0x0
	v_mul_f64_e32 v[94:95], v[58:59], v[70:71]
	v_mul_f64_e32 v[96:97], v[56:57], v[70:71]
	;; [unrolled: 1-line block ×6, first 2 shown]
	v_fmac_f64_e32 v[110:111], v[30:31], v[40:41]
	v_fma_f64 v[122:123], v[44:45], v[36:37], -v[122:123]
	v_fmac_f64_e32 v[126:127], v[46:47], v[36:37]
	v_fma_f64 v[124:125], v[44:45], v[40:41], -v[38:39]
	v_fmac_f64_e32 v[128:129], v[46:47], v[40:41]
	ds_load_b128 v[0:3], v49 offset:96
	ds_load_b128 v[4:7], v48 offset:3072
	;; [unrolled: 1-line block ×4, first 2 shown]
	v_add_f64_e32 v[54:55], v[54:55], v[42:43]
	v_add_f64_e32 v[82:83], v[102:103], v[82:83]
	;; [unrolled: 1-line block ×8, first 2 shown]
	ds_load_b128 v[28:31], v49 offset:112
	ds_load_b128 v[36:39], v49 offset:2160
	;; [unrolled: 1-line block ×4, first 2 shown]
	s_wait_dscnt 0x0
	v_mul_f64_e32 v[100:101], v[2:3], v[6:7]
	v_mul_f64_e32 v[102:103], v[0:1], v[6:7]
	;; [unrolled: 1-line block ×8, first 2 shown]
	v_fma_f64 v[90:91], v[56:57], v[64:65], -v[90:91]
	v_fmac_f64_e32 v[92:93], v[58:59], v[64:65]
	v_fma_f64 v[56:57], v[56:57], v[68:69], -v[94:95]
	v_fmac_f64_e32 v[96:97], v[58:59], v[68:69]
	;; [unrolled: 2-line block ×4, first 2 shown]
	s_barrier_signal -1
	s_barrier_wait -1
	v_mul_f64_e32 v[94:95], v[28:29], v[46:47]
	v_add_f64_e32 v[54:55], v[54:55], v[98:99]
	v_add_f64_e32 v[62:63], v[104:105], v[82:83]
	;; [unrolled: 1-line block ×8, first 2 shown]
	v_mul_f64_e32 v[84:85], v[30:31], v[42:43]
	v_mul_f64_e32 v[86:87], v[28:29], v[42:43]
	;; [unrolled: 1-line block ×7, first 2 shown]
	v_fma_f64 v[46:47], v[0:1], v[4:5], -v[100:101]
	v_fmac_f64_e32 v[102:103], v[2:3], v[4:5]
	v_fma_f64 v[0:1], v[0:1], v[50:51], -v[108:109]
	v_fmac_f64_e32 v[112:113], v[2:3], v[50:51]
	;; [unrolled: 2-line block ×4, first 2 shown]
	v_fmac_f64_e32 v[94:95], v[30:31], v[44:45]
	v_add_f64_e32 v[50:51], v[54:55], v[90:91]
	v_add_f64_e32 v[54:55], v[92:93], v[62:63]
	;; [unrolled: 1-line block ×8, first 2 shown]
	v_fma_f64 v[68:69], v[28:29], v[40:41], -v[84:85]
	v_fmac_f64_e32 v[86:87], v[30:31], v[40:41]
	v_fma_f64 v[28:29], v[28:29], v[44:45], -v[88:89]
	v_fma_f64 v[30:31], v[36:37], v[40:41], -v[98:99]
	v_fmac_f64_e32 v[104:105], v[38:39], v[40:41]
	v_fma_f64 v[70:71], v[36:37], v[44:45], -v[42:43]
	v_fmac_f64_e32 v[106:107], v[38:39], v[44:45]
	v_add_f64_e32 v[36:37], v[50:51], v[46:47]
	v_add_f64_e32 v[38:39], v[102:103], v[54:55]
	;; [unrolled: 1-line block ×16, first 2 shown]
	s_cbranch_vccz .LBB557_16
.LBB557_10:                             ;   Parent Loop BB557_7 Depth=1
                                        ; =>  This Inner Loop Header: Depth=2
	v_mov_b64_e32 v[0:1], 0
	v_mov_b64_e32 v[2:3], 0
	s_and_saveexec_b32 s16, s0
	s_cbranch_execz .LBB557_14
; %bb.11:                               ;   in Loop: Header=BB557_10 Depth=2
	v_mov_b64_e32 v[2:3], 0
	v_mov_b64_e32 v[0:1], 0
	v_add_nc_u32_e32 v24, s14, v10
	s_mov_b32 s17, exec_lo
	s_delay_alu instid0(VALU_DEP_1)
	v_cmpx_gt_u64_e64 s[8:9], v[24:25]
	s_cbranch_execz .LBB557_13
; %bb.12:                               ;   in Loop: Header=BB557_10 Depth=2
	v_lshl_add_u64 v[0:1], v[24:25], 4, v[32:33]
	flat_load_b128 v[0:3], v[0:1]
	s_wait_loadcnt_dscnt 0x0
	v_xor_b32_e32 v3, 0x80000000, v3
.LBB557_13:                             ;   in Loop: Header=BB557_10 Depth=2
	s_wait_xcnt 0x0
	s_or_b32 exec_lo, exec_lo, s17
.LBB557_14:                             ;   in Loop: Header=BB557_10 Depth=2
	s_delay_alu instid0(SALU_CYCLE_1)
	s_or_b32 exec_lo, exec_lo, s16
	v_add_nc_u32_e32 v24, s14, v8
	v_mov_b64_e32 v[4:5], 0
	v_mov_b64_e32 v[6:7], 0
	ds_store_b128 v9, v[0:3]
	v_cmp_gt_u64_e32 vcc_lo, s[8:9], v[24:25]
	s_and_b32 s17, vcc_lo, s1
	s_delay_alu instid0(SALU_CYCLE_1)
	s_and_saveexec_b32 s16, s17
	s_cbranch_execz .LBB557_9
; %bb.15:                               ;   in Loop: Header=BB557_10 Depth=2
	v_mul_u64_e32 v[0:1], s[20:21], v[24:25]
	s_delay_alu instid0(VALU_DEP_1)
	v_lshl_add_u64 v[0:1], v[0:1], 4, v[34:35]
	flat_load_b128 v[4:7], v[0:1]
	s_wait_loadcnt_dscnt 0x0
	v_xor_b32_e32 v7, 0x80000000, v7
	s_branch .LBB557_9
.LBB557_16:                             ;   in Loop: Header=BB557_7 Depth=1
	s_wait_loadcnt 0x0
	v_add_nc_u64_e32 v[4:5], s[10:11], v[26:27]
	s_delay_alu instid0(VALU_DEP_1)
	v_lshl_add_u64 v[6:7], v[16:17], 4, v[4:5]
	s_wait_xcnt 0x0
	s_and_saveexec_b32 s14, s28
	s_cbranch_execz .LBB557_21
; %bb.17:                               ;   in Loop: Header=BB557_7 Depth=1
	v_mul_f64_e32 v[0:1], s[42:43], v[46:47]
	v_mul_f64_e32 v[2:3], s[40:41], v[46:47]
	v_lshl_add_u64 v[26:27], v[20:21], 4, v[6:7]
	s_and_b32 vcc_lo, exec_lo, s25
	s_mov_b32 s15, -1
	s_delay_alu instid0(VALU_DEP_3) | instskip(NEXT) | instid1(VALU_DEP_3)
	v_fma_f64 v[0:1], s[40:41], v[44:45], -v[0:1]
	v_fmac_f64_e32 v[2:3], s[42:43], v[44:45]
	s_cbranch_vccz .LBB557_19
; %bb.18:                               ;   in Loop: Header=BB557_7 Depth=1
	flat_load_b128 v[32:35], v[26:27]
	s_mov_b32 s15, 0
	s_wait_loadcnt_dscnt 0x0
	v_mul_f64_e32 v[44:45], s[38:39], v[34:35]
	v_mul_f64_e32 v[34:35], s[36:37], v[34:35]
	s_delay_alu instid0(VALU_DEP_2) | instskip(NEXT) | instid1(VALU_DEP_2)
	v_fma_f64 v[44:45], s[36:37], v[32:33], -v[44:45]
	v_fmac_f64_e32 v[34:35], s[38:39], v[32:33]
	s_delay_alu instid0(VALU_DEP_2) | instskip(NEXT) | instid1(VALU_DEP_2)
	v_add_f64_e32 v[32:33], v[0:1], v[44:45]
	v_add_f64_e32 v[34:35], v[2:3], v[34:35]
	flat_store_b128 v[26:27], v[32:35]
.LBB557_19:                             ;   in Loop: Header=BB557_7 Depth=1
	s_and_not1_b32 vcc_lo, exec_lo, s15
	s_cbranch_vccnz .LBB557_21
; %bb.20:                               ;   in Loop: Header=BB557_7 Depth=1
	flat_store_b128 v[26:27], v[0:3]
.LBB557_21:                             ;   in Loop: Header=BB557_7 Depth=1
	s_wait_xcnt 0x0
	s_or_b32 exec_lo, exec_lo, s14
	s_and_saveexec_b32 s14, s29
	s_cbranch_execz .LBB557_26
; %bb.22:                               ;   in Loop: Header=BB557_7 Depth=1
	v_mul_f64_e32 v[0:1], s[42:43], v[42:43]
	v_mul_f64_e32 v[2:3], s[40:41], v[42:43]
	v_lshl_add_u64 v[6:7], v[22:23], 4, v[6:7]
	s_and_not1_b32 vcc_lo, exec_lo, s25
	s_mov_b32 s15, -1
	s_delay_alu instid0(VALU_DEP_3) | instskip(NEXT) | instid1(VALU_DEP_3)
	v_fma_f64 v[0:1], s[40:41], v[40:41], -v[0:1]
	v_fmac_f64_e32 v[2:3], s[42:43], v[40:41]
	s_cbranch_vccnz .LBB557_24
; %bb.23:                               ;   in Loop: Header=BB557_7 Depth=1
	flat_load_b128 v[32:35], v[6:7]
	s_mov_b32 s15, 0
	s_wait_loadcnt_dscnt 0x0
	v_mul_f64_e32 v[26:27], s[38:39], v[34:35]
	v_mul_f64_e32 v[34:35], s[36:37], v[34:35]
	s_delay_alu instid0(VALU_DEP_2) | instskip(NEXT) | instid1(VALU_DEP_2)
	v_fma_f64 v[26:27], s[36:37], v[32:33], -v[26:27]
	v_fmac_f64_e32 v[34:35], s[38:39], v[32:33]
	s_delay_alu instid0(VALU_DEP_2) | instskip(NEXT) | instid1(VALU_DEP_2)
	v_add_f64_e32 v[32:33], v[0:1], v[26:27]
	v_add_f64_e32 v[34:35], v[2:3], v[34:35]
	flat_store_b128 v[6:7], v[32:35]
.LBB557_24:                             ;   in Loop: Header=BB557_7 Depth=1
	s_and_not1_b32 vcc_lo, exec_lo, s15
	s_cbranch_vccnz .LBB557_26
; %bb.25:                               ;   in Loop: Header=BB557_7 Depth=1
	flat_store_b128 v[6:7], v[0:3]
.LBB557_26:                             ;   in Loop: Header=BB557_7 Depth=1
	s_wait_xcnt 0x0
	s_or_b32 exec_lo, exec_lo, s14
	v_lshl_add_u64 v[4:5], v[18:19], 4, v[4:5]
	s_and_saveexec_b32 s14, s33
	s_cbranch_execz .LBB557_31
; %bb.27:                               ;   in Loop: Header=BB557_7 Depth=1
	v_mul_f64_e32 v[0:1], s[42:43], v[38:39]
	v_mul_f64_e32 v[2:3], s[40:41], v[38:39]
	v_lshl_add_u64 v[6:7], v[20:21], 4, v[4:5]
	s_and_not1_b32 vcc_lo, exec_lo, s25
	s_mov_b32 s15, -1
	s_delay_alu instid0(VALU_DEP_3) | instskip(NEXT) | instid1(VALU_DEP_3)
	v_fma_f64 v[0:1], s[40:41], v[36:37], -v[0:1]
	v_fmac_f64_e32 v[2:3], s[42:43], v[36:37]
	s_cbranch_vccnz .LBB557_29
; %bb.28:                               ;   in Loop: Header=BB557_7 Depth=1
	flat_load_b128 v[32:35], v[6:7]
	s_mov_b32 s15, 0
	s_wait_loadcnt_dscnt 0x0
	v_mul_f64_e32 v[26:27], s[38:39], v[34:35]
	v_mul_f64_e32 v[34:35], s[36:37], v[34:35]
	s_delay_alu instid0(VALU_DEP_2) | instskip(NEXT) | instid1(VALU_DEP_2)
	v_fma_f64 v[26:27], s[36:37], v[32:33], -v[26:27]
	v_fmac_f64_e32 v[34:35], s[38:39], v[32:33]
	s_delay_alu instid0(VALU_DEP_2) | instskip(NEXT) | instid1(VALU_DEP_2)
	v_add_f64_e32 v[32:33], v[0:1], v[26:27]
	v_add_f64_e32 v[34:35], v[2:3], v[34:35]
	flat_store_b128 v[6:7], v[32:35]
.LBB557_29:                             ;   in Loop: Header=BB557_7 Depth=1
	s_and_not1_b32 vcc_lo, exec_lo, s15
	s_cbranch_vccnz .LBB557_31
; %bb.30:                               ;   in Loop: Header=BB557_7 Depth=1
	flat_store_b128 v[6:7], v[0:3]
.LBB557_31:                             ;   in Loop: Header=BB557_7 Depth=1
	s_wait_xcnt 0x0
	s_or_b32 exec_lo, exec_lo, s14
	s_and_saveexec_b32 s14, s34
	s_cbranch_execz .LBB557_6
; %bb.32:                               ;   in Loop: Header=BB557_7 Depth=1
	s_delay_alu instid0(VALU_DEP_4) | instskip(SKIP_4) | instid1(VALU_DEP_3)
	v_mul_f64_e32 v[0:1], s[42:43], v[30:31]
	v_mul_f64_e32 v[2:3], s[40:41], v[30:31]
	v_lshl_add_u64 v[4:5], v[22:23], 4, v[4:5]
	s_and_not1_b32 vcc_lo, exec_lo, s25
	s_mov_b32 s15, -1
	v_fma_f64 v[0:1], s[40:41], v[28:29], -v[0:1]
	s_delay_alu instid0(VALU_DEP_3)
	v_fmac_f64_e32 v[2:3], s[42:43], v[28:29]
	s_cbranch_vccnz .LBB557_34
; %bb.33:                               ;   in Loop: Header=BB557_7 Depth=1
	flat_load_b128 v[26:29], v[4:5]
	s_mov_b32 s15, 0
	s_wait_loadcnt_dscnt 0x0
	v_mul_f64_e32 v[6:7], s[38:39], v[28:29]
	v_mul_f64_e32 v[28:29], s[36:37], v[28:29]
	s_delay_alu instid0(VALU_DEP_2) | instskip(NEXT) | instid1(VALU_DEP_2)
	v_fma_f64 v[6:7], s[36:37], v[26:27], -v[6:7]
	v_fmac_f64_e32 v[28:29], s[38:39], v[26:27]
	s_delay_alu instid0(VALU_DEP_2) | instskip(NEXT) | instid1(VALU_DEP_2)
	v_add_f64_e32 v[26:27], v[0:1], v[6:7]
	v_add_f64_e32 v[28:29], v[2:3], v[28:29]
	flat_store_b128 v[4:5], v[26:29]
.LBB557_34:                             ;   in Loop: Header=BB557_7 Depth=1
	s_and_not1_b32 vcc_lo, exec_lo, s15
	s_cbranch_vccnz .LBB557_6
; %bb.35:                               ;   in Loop: Header=BB557_7 Depth=1
	flat_store_b128 v[4:5], v[0:3]
	s_branch .LBB557_6
.LBB557_36:
.LBB557_37:
	s_sendmsg sendmsg(MSG_DEALLOC_VGPRS)
	s_endpgm
	.section	.rodata,"a",@progbits
	.p2align	6, 0x0
	.amdhsa_kernel _ZL29rocblas_internal_gemmt_kernelIlLi16ELi32ELi8ELc67ELc67ELc76ELb1ELb1E19rocblas_complex_numIdEPKS1_PKS3_PKPS1_EviT_T9_T10_S9_lSB_S9_lSA_T11_S9_li
		.amdhsa_group_segment_fixed_size 8192
		.amdhsa_private_segment_fixed_size 0
		.amdhsa_kernarg_size 108
		.amdhsa_user_sgpr_count 2
		.amdhsa_user_sgpr_dispatch_ptr 0
		.amdhsa_user_sgpr_queue_ptr 0
		.amdhsa_user_sgpr_kernarg_segment_ptr 1
		.amdhsa_user_sgpr_dispatch_id 0
		.amdhsa_user_sgpr_kernarg_preload_length 0
		.amdhsa_user_sgpr_kernarg_preload_offset 0
		.amdhsa_user_sgpr_private_segment_size 0
		.amdhsa_wavefront_size32 1
		.amdhsa_uses_dynamic_stack 0
		.amdhsa_enable_private_segment 0
		.amdhsa_system_sgpr_workgroup_id_x 1
		.amdhsa_system_sgpr_workgroup_id_y 1
		.amdhsa_system_sgpr_workgroup_id_z 1
		.amdhsa_system_sgpr_workgroup_info 0
		.amdhsa_system_vgpr_workitem_id 1
		.amdhsa_next_free_vgpr 132
		.amdhsa_next_free_sgpr 45
		.amdhsa_named_barrier_count 0
		.amdhsa_reserve_vcc 1
		.amdhsa_float_round_mode_32 0
		.amdhsa_float_round_mode_16_64 0
		.amdhsa_float_denorm_mode_32 3
		.amdhsa_float_denorm_mode_16_64 3
		.amdhsa_fp16_overflow 0
		.amdhsa_memory_ordered 1
		.amdhsa_forward_progress 1
		.amdhsa_inst_pref_size 23
		.amdhsa_round_robin_scheduling 0
		.amdhsa_exception_fp_ieee_invalid_op 0
		.amdhsa_exception_fp_denorm_src 0
		.amdhsa_exception_fp_ieee_div_zero 0
		.amdhsa_exception_fp_ieee_overflow 0
		.amdhsa_exception_fp_ieee_underflow 0
		.amdhsa_exception_fp_ieee_inexact 0
		.amdhsa_exception_int_div_zero 0
	.end_amdhsa_kernel
	.section	.text._ZL29rocblas_internal_gemmt_kernelIlLi16ELi32ELi8ELc67ELc67ELc76ELb1ELb1E19rocblas_complex_numIdEPKS1_PKS3_PKPS1_EviT_T9_T10_S9_lSB_S9_lSA_T11_S9_li,"axG",@progbits,_ZL29rocblas_internal_gemmt_kernelIlLi16ELi32ELi8ELc67ELc67ELc76ELb1ELb1E19rocblas_complex_numIdEPKS1_PKS3_PKPS1_EviT_T9_T10_S9_lSB_S9_lSA_T11_S9_li,comdat
.Lfunc_end557:
	.size	_ZL29rocblas_internal_gemmt_kernelIlLi16ELi32ELi8ELc67ELc67ELc76ELb1ELb1E19rocblas_complex_numIdEPKS1_PKS3_PKPS1_EviT_T9_T10_S9_lSB_S9_lSA_T11_S9_li, .Lfunc_end557-_ZL29rocblas_internal_gemmt_kernelIlLi16ELi32ELi8ELc67ELc67ELc76ELb1ELb1E19rocblas_complex_numIdEPKS1_PKS3_PKPS1_EviT_T9_T10_S9_lSB_S9_lSA_T11_S9_li
                                        ; -- End function
	.set _ZL29rocblas_internal_gemmt_kernelIlLi16ELi32ELi8ELc67ELc67ELc76ELb1ELb1E19rocblas_complex_numIdEPKS1_PKS3_PKPS1_EviT_T9_T10_S9_lSB_S9_lSA_T11_S9_li.num_vgpr, 132
	.set _ZL29rocblas_internal_gemmt_kernelIlLi16ELi32ELi8ELc67ELc67ELc76ELb1ELb1E19rocblas_complex_numIdEPKS1_PKS3_PKPS1_EviT_T9_T10_S9_lSB_S9_lSA_T11_S9_li.num_agpr, 0
	.set _ZL29rocblas_internal_gemmt_kernelIlLi16ELi32ELi8ELc67ELc67ELc76ELb1ELb1E19rocblas_complex_numIdEPKS1_PKS3_PKPS1_EviT_T9_T10_S9_lSB_S9_lSA_T11_S9_li.numbered_sgpr, 45
	.set _ZL29rocblas_internal_gemmt_kernelIlLi16ELi32ELi8ELc67ELc67ELc76ELb1ELb1E19rocblas_complex_numIdEPKS1_PKS3_PKPS1_EviT_T9_T10_S9_lSB_S9_lSA_T11_S9_li.num_named_barrier, 0
	.set _ZL29rocblas_internal_gemmt_kernelIlLi16ELi32ELi8ELc67ELc67ELc76ELb1ELb1E19rocblas_complex_numIdEPKS1_PKS3_PKPS1_EviT_T9_T10_S9_lSB_S9_lSA_T11_S9_li.private_seg_size, 0
	.set _ZL29rocblas_internal_gemmt_kernelIlLi16ELi32ELi8ELc67ELc67ELc76ELb1ELb1E19rocblas_complex_numIdEPKS1_PKS3_PKPS1_EviT_T9_T10_S9_lSB_S9_lSA_T11_S9_li.uses_vcc, 1
	.set _ZL29rocblas_internal_gemmt_kernelIlLi16ELi32ELi8ELc67ELc67ELc76ELb1ELb1E19rocblas_complex_numIdEPKS1_PKS3_PKPS1_EviT_T9_T10_S9_lSB_S9_lSA_T11_S9_li.uses_flat_scratch, 0
	.set _ZL29rocblas_internal_gemmt_kernelIlLi16ELi32ELi8ELc67ELc67ELc76ELb1ELb1E19rocblas_complex_numIdEPKS1_PKS3_PKPS1_EviT_T9_T10_S9_lSB_S9_lSA_T11_S9_li.has_dyn_sized_stack, 0
	.set _ZL29rocblas_internal_gemmt_kernelIlLi16ELi32ELi8ELc67ELc67ELc76ELb1ELb1E19rocblas_complex_numIdEPKS1_PKS3_PKPS1_EviT_T9_T10_S9_lSB_S9_lSA_T11_S9_li.has_recursion, 0
	.set _ZL29rocblas_internal_gemmt_kernelIlLi16ELi32ELi8ELc67ELc67ELc76ELb1ELb1E19rocblas_complex_numIdEPKS1_PKS3_PKPS1_EviT_T9_T10_S9_lSB_S9_lSA_T11_S9_li.has_indirect_call, 0
	.section	.AMDGPU.csdata,"",@progbits
; Kernel info:
; codeLenInByte = 2924
; TotalNumSgprs: 47
; NumVgprs: 132
; ScratchSize: 0
; MemoryBound: 1
; FloatMode: 240
; IeeeMode: 1
; LDSByteSize: 8192 bytes/workgroup (compile time only)
; SGPRBlocks: 0
; VGPRBlocks: 8
; NumSGPRsForWavesPerEU: 47
; NumVGPRsForWavesPerEU: 132
; NamedBarCnt: 0
; Occupancy: 7
; WaveLimiterHint : 1
; COMPUTE_PGM_RSRC2:SCRATCH_EN: 0
; COMPUTE_PGM_RSRC2:USER_SGPR: 2
; COMPUTE_PGM_RSRC2:TRAP_HANDLER: 0
; COMPUTE_PGM_RSRC2:TGID_X_EN: 1
; COMPUTE_PGM_RSRC2:TGID_Y_EN: 1
; COMPUTE_PGM_RSRC2:TGID_Z_EN: 1
; COMPUTE_PGM_RSRC2:TIDIG_COMP_CNT: 1
	.section	.text._ZL29rocblas_internal_gemmt_kernelIlLi16ELi32ELi8ELc78ELc78ELc85ELb0ELb0E19rocblas_complex_numIdES1_PKPKS1_PKPS1_EviT_T9_T10_S9_lSB_S9_lSA_T11_S9_li,"axG",@progbits,_ZL29rocblas_internal_gemmt_kernelIlLi16ELi32ELi8ELc78ELc78ELc85ELb0ELb0E19rocblas_complex_numIdES1_PKPKS1_PKPS1_EviT_T9_T10_S9_lSB_S9_lSA_T11_S9_li,comdat
	.globl	_ZL29rocblas_internal_gemmt_kernelIlLi16ELi32ELi8ELc78ELc78ELc85ELb0ELb0E19rocblas_complex_numIdES1_PKPKS1_PKPS1_EviT_T9_T10_S9_lSB_S9_lSA_T11_S9_li ; -- Begin function _ZL29rocblas_internal_gemmt_kernelIlLi16ELi32ELi8ELc78ELc78ELc85ELb0ELb0E19rocblas_complex_numIdES1_PKPKS1_PKPS1_EviT_T9_T10_S9_lSB_S9_lSA_T11_S9_li
	.p2align	8
	.type	_ZL29rocblas_internal_gemmt_kernelIlLi16ELi32ELi8ELc78ELc78ELc85ELb0ELb0E19rocblas_complex_numIdES1_PKPKS1_PKPS1_EviT_T9_T10_S9_lSB_S9_lSA_T11_S9_li,@function
_ZL29rocblas_internal_gemmt_kernelIlLi16ELi32ELi8ELc78ELc78ELc85ELb0ELb0E19rocblas_complex_numIdES1_PKPKS1_PKPS1_EviT_T9_T10_S9_lSB_S9_lSA_T11_S9_li: ; @_ZL29rocblas_internal_gemmt_kernelIlLi16ELi32ELi8ELc78ELc78ELc85ELb0ELb0E19rocblas_complex_numIdES1_PKPKS1_PKPS1_EviT_T9_T10_S9_lSB_S9_lSA_T11_S9_li
; %bb.0:
	s_clause 0x1
	s_load_b256 s[24:31], s[0:1], 0x48
	s_load_b512 s[8:23], s[0:1], 0x8
	s_wait_kmcnt 0x0
	v_cmp_eq_f64_e64 s2, s[26:27], 1.0
	v_cmp_eq_f64_e64 s3, s[28:29], 0
	s_and_b32 s2, s2, s3
	s_delay_alu instid0(SALU_CYCLE_1)
	s_and_not1_b32 vcc_lo, exec_lo, s2
	s_mov_b32 s2, -1
	s_cbranch_vccnz .LBB558_3
; %bb.1:
	s_cmp_lg_u64 s[8:9], 0
	s_cbranch_scc0 .LBB558_41
; %bb.2:
	v_cmp_neq_f64_e64 s2, s[10:11], 0
	v_cmp_neq_f64_e64 s4, s[12:13], 0
	s_or_b32 s2, s2, s4
.LBB558_3:
	s_delay_alu instid0(SALU_CYCLE_1)
	s_and_b32 vcc_lo, exec_lo, s2
	s_cbranch_vccz .LBB558_42
; %bb.4:
	s_load_b32 s33, s[0:1], 0x78
	s_bfe_u32 s2, ttmp6, 0x40014
	s_lshr_b32 s4, ttmp7, 16
	s_add_co_i32 s2, s2, 1
	s_bfe_u32 s6, ttmp6, 0x40008
	s_mul_i32 s5, s4, s2
	s_getreg_b32 s2, hwreg(HW_REG_IB_STS2, 6, 4)
	s_add_co_i32 s6, s6, s5
	s_cmp_eq_u32 s2, 0
	s_mov_b32 s35, 0
	s_cselect_b32 s34, s4, s6
	s_wait_kmcnt 0x0
	s_cmp_ge_u32 s34, s33
	s_cbranch_scc1 .LBB558_42
; %bb.5:
	s_clause 0x1
	s_load_b128 s[4:7], s[0:1], 0x68
	s_load_b32 s38, s[0:1], 0x0
	s_wait_xcnt 0x0
	s_bfe_u32 s1, ttmp6, 0x4000c
	s_bfe_u32 s40, ttmp6, 0x40010
	s_and_b32 s39, ttmp7, 0xffff
	s_add_co_i32 s1, s1, 1
	s_add_co_i32 s40, s40, 1
	v_and_b32_e32 v19, 0x3ff, v0
	v_bfe_u32 v21, v0, 10, 10
	s_and_b32 s0, ttmp6, 15
	s_bfe_u32 s41, ttmp6, 0x40004
	s_mul_i32 s1, ttmp9, s1
	s_mul_i32 s40, s39, s40
	s_add_co_i32 s0, s0, s1
	s_add_co_i32 s41, s41, s40
	s_cmp_eq_u32 s2, 0
	v_lshl_add_u32 v1, v21, 4, v19
	s_cselect_b32 s1, s39, s41
	s_cselect_b32 s0, ttmp9, s0
	s_lshl_b32 s1, s1, 5
	s_delay_alu instid0(VALU_DEP_1) | instskip(SKIP_4) | instid1(VALU_DEP_3)
	v_dual_lshrrev_b32 v9, 3, v1 :: v_dual_bitop2_b32 v6, 7, v0 bitop3:0x40
	v_dual_lshrrev_b32 v10, 5, v1 :: v_dual_bitop2_b32 v7, 31, v1 bitop3:0x40
	s_lshl_b32 s2, s0, 5
	v_add_nc_u32_e32 v0, s1, v21
	v_cmp_neq_f64_e64 s40, s[26:27], 0
	v_dual_add_nc_u32 v2, s1, v9 :: v_dual_bitop2_b32 v8, s2, v7 bitop3:0x54
	v_cmp_neq_f64_e64 s36, s[10:11], 0
	s_delay_alu instid0(VALU_DEP_4) | instskip(SKIP_1) | instid1(VALU_DEP_4)
	v_add_nc_u32_e32 v4, 16, v0
	v_cmp_neq_f64_e64 s37, s[12:13], 0
	v_dual_ashrrev_i32 v1, 31, v0 :: v_dual_ashrrev_i32 v3, 31, v2
	s_delay_alu instid0(VALU_DEP_3) | instskip(SKIP_1) | instid1(VALU_DEP_3)
	v_dual_lshlrev_b32 v11, 4, v6 :: v_dual_ashrrev_i32 v5, 31, v4
	v_dual_add_nc_u32 v18, s2, v19 :: v_dual_lshlrev_b32 v44, 4, v19
	v_mul_u64_e32 v[12:13], s[22:23], v[2:3]
	s_wait_kmcnt 0x0
	v_mul_u64_e32 v[14:15], s[4:5], v[0:1]
	v_mul_u64_e32 v[16:17], s[4:5], v[4:5]
	v_cmp_gt_i32_e64 s1, s38, v0
	v_cmp_le_i32_e64 s2, v18, v0
	v_dual_add_nc_u32 v20, 16, v18 :: v_dual_ashrrev_i32 v19, 31, v18
	v_lshlrev_b32_e32 v7, 4, v7
	v_lshl_or_b32 v1, v9, 7, v11
	v_cmp_gt_i64_e64 s42, s[8:9], 0
	s_xor_b32 s3, s3, -1
	v_cmp_gt_i32_e32 vcc_lo, s38, v2
	s_and_b32 s23, s1, s2
	v_cmp_le_i32_e64 s2, v20, v0
	v_cmp_le_i32_e64 s4, v18, v4
	;; [unrolled: 1-line block ×3, first 2 shown]
	v_cmp_gt_i32_e64 s0, s38, v8
	v_ashrrev_i32_e32 v9, 31, v8
	v_lshl_or_b32 v7, v10, 9, v7
	v_add_nc_u32_e32 v11, 0x1000, v1
	s_or_b32 s22, s40, s3
	v_cmp_gt_i32_e64 s3, s38, v4
	v_lshl_add_u32 v45, v21, 7, 0x1000
	v_dual_ashrrev_i32 v21, 31, v20 :: v_dual_mov_b32 v1, 0
	s_or_b32 s39, s36, s37
	v_cmp_le_i32_e64 s36, s38, v8
	s_and_b32 s1, s1, s2
	s_and_b32 s37, s3, s4
	;; [unrolled: 1-line block ×4, first 2 shown]
	s_lshl_b64 s[2:3], s[24:25], 4
	s_lshl_b64 s[4:5], s[18:19], 4
	s_xor_b32 s24, vcc_lo, -1
	s_lshl_b64 s[6:7], s[6:7], 4
                                        ; implicit-def: $vgpr22_vgpr23
	s_branch .LBB558_7
.LBB558_6:                              ;   in Loop: Header=BB558_7 Depth=1
	s_wait_xcnt 0x0
	s_or_b32 exec_lo, exec_lo, s18
	s_add_co_i32 s34, s34, 0x10000
	s_delay_alu instid0(SALU_CYCLE_1)
	s_cmp_lt_u32 s34, s33
	s_cbranch_scc0 .LBB558_42
.LBB558_7:                              ; =>This Loop Header: Depth=1
                                        ;     Child Loop BB558_10 Depth 2
	v_mov_b32_e32 v0, s34
	v_mov_b64_e32 v[40:41], 0
	s_and_not1_b32 vcc_lo, exec_lo, s39
	global_load_b64 v[4:5], v0, s[30:31] scale_offset
	s_cbranch_vccnz .LBB558_20
; %bb.8:                                ;   in Loop: Header=BB558_7 Depth=1
	s_lshl_b64 s[18:19], s[34:35], 3
	v_mov_b64_e32 v[24:25], 0
	s_add_nc_u64 s[40:41], s[14:15], s[18:19]
	s_add_nc_u64 s[18:19], s[20:21], s[18:19]
	s_clause 0x1
	global_load_b64 v[2:3], v1, s[40:41]
	global_load_b64 v[28:29], v1, s[18:19]
	v_mov_b64_e32 v[26:27], 0
	v_mov_b64_e32 v[34:35], 0
	;; [unrolled: 1-line block ×7, first 2 shown]
	s_wait_xcnt 0x0
	s_mov_b64 s[18:19], 0
	s_wait_loadcnt 0x1
	v_add_nc_u64_e32 v[2:3], s[4:5], v[2:3]
	s_wait_loadcnt 0x0
	v_add_nc_u64_e32 v[30:31], s[2:3], v[28:29]
	s_delay_alu instid0(VALU_DEP_2) | instskip(NEXT) | instid1(VALU_DEP_2)
	v_lshl_add_u64 v[28:29], v[8:9], 4, v[2:3]
	v_lshl_add_u64 v[30:31], v[12:13], 4, v[30:31]
	s_branch .LBB558_10
.LBB558_9:                              ;   in Loop: Header=BB558_10 Depth=2
	s_wait_xcnt 0x0
	s_or_b32 exec_lo, exec_lo, s25
	s_wait_dscnt 0x0
	s_barrier_signal -1
	s_barrier_wait -1
	ds_load_b128 v[46:49], v45
	ds_load_b128 v[50:53], v44
	ds_load_b128 v[54:57], v44 offset:256
	ds_load_b128 v[58:61], v45 offset:2048
	;; [unrolled: 1-line block ×10, first 2 shown]
	s_add_nc_u64 s[18:19], s[18:19], 8
	s_delay_alu instid0(SALU_CYCLE_1)
	v_cmp_gt_i64_e64 s25, s[8:9], s[18:19]
	s_and_b32 vcc_lo, exec_lo, s25
	s_wait_dscnt 0xa
	v_mul_f64_e32 v[2:3], v[48:49], v[52:53]
	v_mul_f64_e32 v[94:95], v[46:47], v[52:53]
	s_wait_dscnt 0x9
	v_mul_f64_e32 v[96:97], v[48:49], v[56:57]
	v_mul_f64_e32 v[98:99], v[46:47], v[56:57]
	s_wait_dscnt 0x8
	v_mul_f64_e32 v[100:101], v[60:61], v[52:53]
	v_mul_f64_e32 v[102:103], v[58:59], v[52:53]
	v_mul_f64_e32 v[52:53], v[60:61], v[56:57]
	v_mul_f64_e32 v[104:105], v[58:59], v[56:57]
	s_wait_dscnt 0x6
	v_mul_f64_e32 v[106:107], v[64:65], v[68:69]
	v_mul_f64_e32 v[108:109], v[62:63], v[68:69]
	s_wait_dscnt 0x5
	v_mul_f64_e32 v[110:111], v[64:65], v[72:73]
	v_mul_f64_e32 v[112:113], v[62:63], v[72:73]
	s_wait_dscnt 0x4
	v_mul_f64_e32 v[114:115], v[76:77], v[68:69]
	v_mul_f64_e32 v[68:69], v[74:75], v[68:69]
	v_mul_f64_e32 v[116:117], v[76:77], v[72:73]
	v_mul_f64_e32 v[72:73], v[74:75], v[72:73]
	;; [unrolled: 11-line block ×3, first 2 shown]
	v_fma_f64 v[2:3], v[46:47], v[50:51], -v[2:3]
	v_fmac_f64_e32 v[94:95], v[48:49], v[50:51]
	v_fma_f64 v[96:97], v[46:47], v[54:55], -v[96:97]
	v_fmac_f64_e32 v[98:99], v[48:49], v[54:55]
	;; [unrolled: 2-line block ×8, first 2 shown]
	ds_load_b128 v[46:49], v45 offset:48
	ds_load_b128 v[50:53], v45 offset:2096
	;; [unrolled: 1-line block ×4, first 2 shown]
	v_fma_f64 v[120:121], v[78:79], v[82:83], -v[120:121]
	v_fmac_f64_e32 v[122:123], v[80:81], v[82:83]
	v_fma_f64 v[78:79], v[78:79], v[86:87], -v[124:125]
	v_fmac_f64_e32 v[126:127], v[80:81], v[86:87]
	;; [unrolled: 2-line block ×4, first 2 shown]
	v_add_f64_e32 v[2:3], v[40:41], v[2:3]
	v_add_f64_e32 v[70:71], v[94:95], v[42:43]
	;; [unrolled: 1-line block ×8, first 2 shown]
	s_wait_dscnt 0x1
	v_mul_f64_e32 v[102:103], v[48:49], v[56:57]
	v_mul_f64_e32 v[104:105], v[46:47], v[56:57]
	s_wait_dscnt 0x0
	v_mul_f64_e32 v[110:111], v[48:49], v[60:61]
	v_mul_f64_e32 v[114:115], v[46:47], v[60:61]
	;; [unrolled: 1-line block ×6, first 2 shown]
	ds_load_b128 v[24:27], v45 offset:64
	ds_load_b128 v[32:35], v44 offset:2048
	;; [unrolled: 1-line block ×4, first 2 shown]
	v_add_f64_e32 v[2:3], v[2:3], v[106:107]
	v_add_f64_e32 v[86:87], v[108:109], v[70:71]
	;; [unrolled: 1-line block ×8, first 2 shown]
	s_wait_dscnt 0x2
	v_mul_f64_e32 v[100:101], v[26:27], v[34:35]
	v_mul_f64_e32 v[106:107], v[24:25], v[34:35]
	s_wait_dscnt 0x1
	v_mul_f64_e32 v[108:109], v[26:27], v[38:39]
	v_mul_f64_e32 v[112:113], v[24:25], v[38:39]
	;; [unrolled: 3-line block ×3, first 2 shown]
	v_mul_f64_e32 v[34:35], v[42:43], v[38:39]
	v_mul_f64_e32 v[130:131], v[40:41], v[38:39]
	v_fma_f64 v[38:39], v[46:47], v[54:55], -v[102:103]
	v_fmac_f64_e32 v[104:105], v[48:49], v[54:55]
	v_fma_f64 v[102:103], v[46:47], v[58:59], -v[110:111]
	v_fmac_f64_e32 v[114:115], v[48:49], v[58:59]
	;; [unrolled: 2-line block ×4, first 2 shown]
	ds_load_b128 v[60:63], v45 offset:80
	ds_load_b128 v[64:67], v45 offset:2128
	;; [unrolled: 1-line block ×4, first 2 shown]
	v_add_f64_e32 v[2:3], v[2:3], v[120:121]
	v_add_f64_e32 v[58:59], v[122:123], v[86:87]
	;; [unrolled: 1-line block ×8, first 2 shown]
	v_fma_f64 v[100:101], v[24:25], v[32:33], -v[100:101]
	v_fmac_f64_e32 v[106:107], v[26:27], v[32:33]
	v_fma_f64 v[108:109], v[24:25], v[36:37], -v[108:109]
	s_wait_dscnt 0x1
	v_mul_f64_e32 v[92:93], v[62:63], v[70:71]
	v_mul_f64_e32 v[94:95], v[60:61], v[70:71]
	s_wait_dscnt 0x0
	v_mul_f64_e32 v[96:97], v[62:63], v[74:75]
	v_mul_f64_e32 v[98:99], v[60:61], v[74:75]
	;; [unrolled: 1-line block ×6, first 2 shown]
	v_fmac_f64_e32 v[112:113], v[26:27], v[36:37]
	v_fma_f64 v[124:125], v[40:41], v[32:33], -v[124:125]
	v_fmac_f64_e32 v[128:129], v[42:43], v[32:33]
	v_fma_f64 v[126:127], v[40:41], v[36:37], -v[34:35]
	v_fmac_f64_e32 v[130:131], v[42:43], v[36:37]
	ds_load_b128 v[46:49], v45 offset:96
	ds_load_b128 v[50:53], v44 offset:3072
	;; [unrolled: 1-line block ×4, first 2 shown]
	v_add_f64_e32 v[2:3], v[2:3], v[38:39]
	v_add_f64_e32 v[58:59], v[104:105], v[58:59]
	;; [unrolled: 1-line block ×8, first 2 shown]
	ds_load_b128 v[24:27], v45 offset:112
	ds_load_b128 v[32:35], v45 offset:2160
	;; [unrolled: 1-line block ×4, first 2 shown]
	s_wait_dscnt 0x0
	v_mul_f64_e32 v[102:103], v[48:49], v[52:53]
	v_mul_f64_e32 v[104:105], v[46:47], v[52:53]
	;; [unrolled: 1-line block ×8, first 2 shown]
	v_fma_f64 v[92:93], v[60:61], v[68:69], -v[92:93]
	v_fmac_f64_e32 v[94:95], v[62:63], v[68:69]
	v_fma_f64 v[60:61], v[60:61], v[72:73], -v[96:97]
	v_fmac_f64_e32 v[98:99], v[62:63], v[72:73]
	;; [unrolled: 2-line block ×4, first 2 shown]
	s_barrier_signal -1
	s_barrier_wait -1
	v_mul_f64_e32 v[96:97], v[24:25], v[42:43]
	v_add_f64_e32 v[2:3], v[2:3], v[100:101]
	v_add_f64_e32 v[58:59], v[106:107], v[58:59]
	;; [unrolled: 1-line block ×8, first 2 shown]
	v_mul_f64_e32 v[86:87], v[26:27], v[38:39]
	v_mul_f64_e32 v[88:89], v[24:25], v[38:39]
	v_mul_f64_e32 v[90:91], v[26:27], v[42:43]
	v_mul_f64_e32 v[100:101], v[34:35], v[38:39]
	v_mul_f64_e32 v[106:107], v[32:33], v[38:39]
	v_mul_f64_e32 v[38:39], v[34:35], v[42:43]
	v_mul_f64_e32 v[108:109], v[32:33], v[42:43]
	v_fma_f64 v[42:43], v[46:47], v[50:51], -v[102:103]
	v_fmac_f64_e32 v[104:105], v[48:49], v[50:51]
	v_fma_f64 v[46:47], v[46:47], v[54:55], -v[110:111]
	v_fmac_f64_e32 v[114:115], v[48:49], v[54:55]
	v_fma_f64 v[48:49], v[76:77], v[50:51], -v[116:117]
	v_fmac_f64_e32 v[52:53], v[78:79], v[50:51]
	v_fma_f64 v[50:51], v[76:77], v[54:55], -v[118:119]
	v_fmac_f64_e32 v[56:57], v[78:79], v[54:55]
	v_fmac_f64_e32 v[96:97], v[26:27], v[40:41]
	v_add_f64_e32 v[2:3], v[2:3], v[92:93]
	v_add_f64_e32 v[54:55], v[94:95], v[58:59]
	;; [unrolled: 1-line block ×8, first 2 shown]
	v_fma_f64 v[70:71], v[24:25], v[36:37], -v[86:87]
	v_fmac_f64_e32 v[88:89], v[26:27], v[36:37]
	v_fma_f64 v[24:25], v[24:25], v[40:41], -v[90:91]
	v_fma_f64 v[26:27], v[32:33], v[36:37], -v[100:101]
	v_fmac_f64_e32 v[106:107], v[34:35], v[36:37]
	v_fma_f64 v[72:73], v[32:33], v[40:41], -v[38:39]
	v_fmac_f64_e32 v[108:109], v[34:35], v[40:41]
	v_add_f64_e32 v[2:3], v[2:3], v[42:43]
	v_add_f64_e32 v[32:33], v[104:105], v[54:55]
	;; [unrolled: 1-line block ×16, first 2 shown]
	s_cbranch_vccz .LBB558_21
.LBB558_10:                             ;   Parent Loop BB558_7 Depth=1
                                        ; =>  This Inner Loop Header: Depth=2
	s_mov_b32 s25, 0
	s_mov_b32 s41, s36
	s_and_saveexec_b32 s40, s0
	s_cbranch_execnz .LBB558_18
; %bb.11:                               ;   in Loop: Header=BB558_10 Depth=2
	s_or_b32 exec_lo, exec_lo, s40
	s_and_saveexec_b32 s40, s41
	s_delay_alu instid0(SALU_CYCLE_1)
	s_xor_b32 s40, exec_lo, s40
	s_cbranch_execnz .LBB558_19
.LBB558_12:                             ;   in Loop: Header=BB558_10 Depth=2
	s_or_b32 exec_lo, exec_lo, s40
	s_and_saveexec_b32 s40, s25
	s_cbranch_execz .LBB558_14
.LBB558_13:                             ;   in Loop: Header=BB558_10 Depth=2
	v_mul_u64_e32 v[2:3], s[16:17], v[22:23]
	s_delay_alu instid0(VALU_DEP_1)
	v_lshl_add_u64 v[2:3], v[2:3], 4, v[28:29]
	flat_load_b128 v[46:49], v[2:3]
	s_wait_loadcnt_dscnt 0x0
	ds_store_2addr_b64 v7, v[46:47], v[48:49] offset1:1
.LBB558_14:                             ;   in Loop: Header=BB558_10 Depth=2
	s_wait_xcnt 0x0
	s_or_b32 exec_lo, exec_lo, s40
	v_add_nc_u32_e32 v0, s18, v6
	s_delay_alu instid0(VALU_DEP_1) | instskip(SKIP_1) | instid1(SALU_CYCLE_1)
	v_cmp_le_u64_e32 vcc_lo, s[8:9], v[0:1]
	s_or_b32 s25, vcc_lo, s24
	s_and_saveexec_b32 s40, s25
	s_delay_alu instid0(SALU_CYCLE_1)
	s_xor_b32 s25, exec_lo, s40
; %bb.15:                               ;   in Loop: Header=BB558_10 Depth=2
	v_dual_mov_b32 v0, v1 :: v_dual_mov_b32 v2, v1
	v_mov_b32_e32 v3, v1
	ds_store_b128 v11, v[0:3]
; %bb.16:                               ;   in Loop: Header=BB558_10 Depth=2
	s_and_not1_saveexec_b32 s25, s25
	s_cbranch_execz .LBB558_9
; %bb.17:                               ;   in Loop: Header=BB558_10 Depth=2
	v_lshl_add_u64 v[2:3], v[0:1], 4, v[30:31]
	flat_load_b128 v[46:49], v[2:3]
	s_wait_loadcnt_dscnt 0x0
	ds_store_2addr_b64 v11, v[46:47], v[48:49] offset1:1
	s_branch .LBB558_9
.LBB558_18:                             ;   in Loop: Header=BB558_10 Depth=2
	v_add_nc_u32_e32 v0, s18, v10
	s_and_not1_b32 s41, s36, exec_lo
	s_mov_b32 s25, exec_lo
	s_delay_alu instid0(VALU_DEP_1) | instskip(SKIP_2) | instid1(SALU_CYCLE_1)
	v_cmp_le_u64_e32 vcc_lo, s[8:9], v[0:1]
	v_mov_b64_e32 v[22:23], v[0:1]
	s_and_b32 s42, vcc_lo, exec_lo
	s_or_b32 s41, s41, s42
	s_or_b32 exec_lo, exec_lo, s40
	s_and_saveexec_b32 s40, s41
	s_delay_alu instid0(SALU_CYCLE_1)
	s_xor_b32 s40, exec_lo, s40
	s_cbranch_execz .LBB558_12
.LBB558_19:                             ;   in Loop: Header=BB558_10 Depth=2
	v_dual_mov_b32 v0, v1 :: v_dual_mov_b32 v2, v1
	v_mov_b32_e32 v3, v1
	s_and_not1_b32 s25, s25, exec_lo
	ds_store_b128 v7, v[0:3]
	s_or_b32 exec_lo, exec_lo, s40
	s_and_saveexec_b32 s40, s25
	s_cbranch_execnz .LBB558_13
	s_branch .LBB558_14
.LBB558_20:                             ;   in Loop: Header=BB558_7 Depth=1
	v_mov_b64_e32 v[42:43], 0
	v_mov_b64_e32 v[36:37], 0
	;; [unrolled: 1-line block ×7, first 2 shown]
.LBB558_21:                             ;   in Loop: Header=BB558_7 Depth=1
	s_wait_loadcnt 0x0
	v_add_nc_u64_e32 v[28:29], s[6:7], v[4:5]
	s_delay_alu instid0(VALU_DEP_1)
	v_lshl_add_u64 v[30:31], v[14:15], 4, v[28:29]
	s_wait_xcnt 0x0
	s_and_saveexec_b32 s18, s23
	s_cbranch_execz .LBB558_26
; %bb.22:                               ;   in Loop: Header=BB558_7 Depth=1
	v_mul_f64_e32 v[2:3], s[12:13], v[42:43]
	v_mul_f64_e32 v[4:5], s[10:11], v[42:43]
	s_and_b32 vcc_lo, exec_lo, s22
	s_mov_b32 s19, -1
	s_delay_alu instid0(VALU_DEP_2) | instskip(NEXT) | instid1(VALU_DEP_2)
	v_fma_f64 v[2:3], s[10:11], v[40:41], -v[2:3]
	v_fmac_f64_e32 v[4:5], s[12:13], v[40:41]
	v_lshl_add_u64 v[40:41], v[18:19], 4, v[30:31]
	s_cbranch_vccz .LBB558_24
; %bb.23:                               ;   in Loop: Header=BB558_7 Depth=1
	flat_load_b128 v[46:49], v[40:41]
	s_mov_b32 s19, 0
	s_wait_loadcnt_dscnt 0x0
	v_mul_f64_e32 v[42:43], s[28:29], v[48:49]
	v_mul_f64_e32 v[48:49], s[26:27], v[48:49]
	s_delay_alu instid0(VALU_DEP_2) | instskip(NEXT) | instid1(VALU_DEP_2)
	v_fma_f64 v[42:43], s[26:27], v[46:47], -v[42:43]
	v_fmac_f64_e32 v[48:49], s[28:29], v[46:47]
	s_delay_alu instid0(VALU_DEP_2) | instskip(NEXT) | instid1(VALU_DEP_2)
	v_add_f64_e32 v[46:47], v[2:3], v[42:43]
	v_add_f64_e32 v[48:49], v[4:5], v[48:49]
	flat_store_b128 v[40:41], v[46:49]
.LBB558_24:                             ;   in Loop: Header=BB558_7 Depth=1
	s_and_not1_b32 vcc_lo, exec_lo, s19
	s_cbranch_vccnz .LBB558_26
; %bb.25:                               ;   in Loop: Header=BB558_7 Depth=1
	flat_store_b128 v[40:41], v[2:5]
.LBB558_26:                             ;   in Loop: Header=BB558_7 Depth=1
	s_wait_xcnt 0x0
	s_or_b32 exec_lo, exec_lo, s18
	s_and_saveexec_b32 s18, s1
	s_cbranch_execz .LBB558_31
; %bb.27:                               ;   in Loop: Header=BB558_7 Depth=1
	v_mul_f64_e32 v[2:3], s[12:13], v[38:39]
	v_mul_f64_e32 v[4:5], s[10:11], v[38:39]
	v_lshl_add_u64 v[30:31], v[20:21], 4, v[30:31]
	s_and_not1_b32 vcc_lo, exec_lo, s22
	s_mov_b32 s19, -1
	s_delay_alu instid0(VALU_DEP_3) | instskip(NEXT) | instid1(VALU_DEP_3)
	v_fma_f64 v[2:3], s[10:11], v[36:37], -v[2:3]
	v_fmac_f64_e32 v[4:5], s[12:13], v[36:37]
	s_cbranch_vccnz .LBB558_29
; %bb.28:                               ;   in Loop: Header=BB558_7 Depth=1
	flat_load_b128 v[36:39], v[30:31]
	s_mov_b32 s19, 0
	s_wait_loadcnt_dscnt 0x0
	v_mul_f64_e32 v[40:41], s[28:29], v[38:39]
	v_mul_f64_e32 v[38:39], s[26:27], v[38:39]
	s_delay_alu instid0(VALU_DEP_2) | instskip(NEXT) | instid1(VALU_DEP_2)
	v_fma_f64 v[40:41], s[26:27], v[36:37], -v[40:41]
	v_fmac_f64_e32 v[38:39], s[28:29], v[36:37]
	s_delay_alu instid0(VALU_DEP_2) | instskip(NEXT) | instid1(VALU_DEP_2)
	v_add_f64_e32 v[36:37], v[2:3], v[40:41]
	v_add_f64_e32 v[38:39], v[4:5], v[38:39]
	flat_store_b128 v[30:31], v[36:39]
.LBB558_29:                             ;   in Loop: Header=BB558_7 Depth=1
	s_and_not1_b32 vcc_lo, exec_lo, s19
	s_cbranch_vccnz .LBB558_31
; %bb.30:                               ;   in Loop: Header=BB558_7 Depth=1
	flat_store_b128 v[30:31], v[2:5]
.LBB558_31:                             ;   in Loop: Header=BB558_7 Depth=1
	s_wait_xcnt 0x0
	s_or_b32 exec_lo, exec_lo, s18
	v_lshl_add_u64 v[28:29], v[16:17], 4, v[28:29]
	s_and_saveexec_b32 s18, s37
	s_cbranch_execz .LBB558_36
; %bb.32:                               ;   in Loop: Header=BB558_7 Depth=1
	v_mul_f64_e32 v[2:3], s[12:13], v[34:35]
	v_mul_f64_e32 v[4:5], s[10:11], v[34:35]
	v_lshl_add_u64 v[30:31], v[18:19], 4, v[28:29]
	s_and_not1_b32 vcc_lo, exec_lo, s22
	s_mov_b32 s19, -1
	s_delay_alu instid0(VALU_DEP_3) | instskip(NEXT) | instid1(VALU_DEP_3)
	v_fma_f64 v[2:3], s[10:11], v[32:33], -v[2:3]
	v_fmac_f64_e32 v[4:5], s[12:13], v[32:33]
	s_cbranch_vccnz .LBB558_34
; %bb.33:                               ;   in Loop: Header=BB558_7 Depth=1
	flat_load_b128 v[32:35], v[30:31]
	s_mov_b32 s19, 0
	s_wait_loadcnt_dscnt 0x0
	v_mul_f64_e32 v[36:37], s[28:29], v[34:35]
	v_mul_f64_e32 v[34:35], s[26:27], v[34:35]
	s_delay_alu instid0(VALU_DEP_2) | instskip(NEXT) | instid1(VALU_DEP_2)
	v_fma_f64 v[36:37], s[26:27], v[32:33], -v[36:37]
	v_fmac_f64_e32 v[34:35], s[28:29], v[32:33]
	s_delay_alu instid0(VALU_DEP_2) | instskip(NEXT) | instid1(VALU_DEP_2)
	v_add_f64_e32 v[32:33], v[2:3], v[36:37]
	v_add_f64_e32 v[34:35], v[4:5], v[34:35]
	flat_store_b128 v[30:31], v[32:35]
.LBB558_34:                             ;   in Loop: Header=BB558_7 Depth=1
	s_and_not1_b32 vcc_lo, exec_lo, s19
	s_cbranch_vccnz .LBB558_36
; %bb.35:                               ;   in Loop: Header=BB558_7 Depth=1
	flat_store_b128 v[30:31], v[2:5]
.LBB558_36:                             ;   in Loop: Header=BB558_7 Depth=1
	s_wait_xcnt 0x0
	s_or_b32 exec_lo, exec_lo, s18
	s_and_saveexec_b32 s18, s38
	s_cbranch_execz .LBB558_6
; %bb.37:                               ;   in Loop: Header=BB558_7 Depth=1
	s_delay_alu instid0(VALU_DEP_4) | instskip(SKIP_4) | instid1(VALU_DEP_3)
	v_mul_f64_e32 v[2:3], s[12:13], v[24:25]
	v_mul_f64_e32 v[4:5], s[10:11], v[24:25]
	v_lshl_add_u64 v[24:25], v[20:21], 4, v[28:29]
	s_and_not1_b32 vcc_lo, exec_lo, s22
	s_mov_b32 s19, -1
	v_fma_f64 v[2:3], s[10:11], v[26:27], -v[2:3]
	s_delay_alu instid0(VALU_DEP_3)
	v_fmac_f64_e32 v[4:5], s[12:13], v[26:27]
	s_cbranch_vccnz .LBB558_39
; %bb.38:                               ;   in Loop: Header=BB558_7 Depth=1
	flat_load_b128 v[26:29], v[24:25]
	s_mov_b32 s19, 0
	s_wait_loadcnt_dscnt 0x0
	v_mul_f64_e32 v[30:31], s[28:29], v[28:29]
	v_mul_f64_e32 v[28:29], s[26:27], v[28:29]
	s_delay_alu instid0(VALU_DEP_2) | instskip(NEXT) | instid1(VALU_DEP_2)
	v_fma_f64 v[30:31], s[26:27], v[26:27], -v[30:31]
	v_fmac_f64_e32 v[28:29], s[28:29], v[26:27]
	s_delay_alu instid0(VALU_DEP_2) | instskip(NEXT) | instid1(VALU_DEP_2)
	v_add_f64_e32 v[26:27], v[2:3], v[30:31]
	v_add_f64_e32 v[28:29], v[4:5], v[28:29]
	flat_store_b128 v[24:25], v[26:29]
.LBB558_39:                             ;   in Loop: Header=BB558_7 Depth=1
	s_and_not1_b32 vcc_lo, exec_lo, s19
	s_cbranch_vccnz .LBB558_6
; %bb.40:                               ;   in Loop: Header=BB558_7 Depth=1
	flat_store_b128 v[24:25], v[2:5]
	s_branch .LBB558_6
.LBB558_41:
.LBB558_42:
	s_sendmsg sendmsg(MSG_DEALLOC_VGPRS)
	s_endpgm
	.section	.rodata,"a",@progbits
	.p2align	6, 0x0
	.amdhsa_kernel _ZL29rocblas_internal_gemmt_kernelIlLi16ELi32ELi8ELc78ELc78ELc85ELb0ELb0E19rocblas_complex_numIdES1_PKPKS1_PKPS1_EviT_T9_T10_S9_lSB_S9_lSA_T11_S9_li
		.amdhsa_group_segment_fixed_size 8192
		.amdhsa_private_segment_fixed_size 0
		.amdhsa_kernarg_size 124
		.amdhsa_user_sgpr_count 2
		.amdhsa_user_sgpr_dispatch_ptr 0
		.amdhsa_user_sgpr_queue_ptr 0
		.amdhsa_user_sgpr_kernarg_segment_ptr 1
		.amdhsa_user_sgpr_dispatch_id 0
		.amdhsa_user_sgpr_kernarg_preload_length 0
		.amdhsa_user_sgpr_kernarg_preload_offset 0
		.amdhsa_user_sgpr_private_segment_size 0
		.amdhsa_wavefront_size32 1
		.amdhsa_uses_dynamic_stack 0
		.amdhsa_enable_private_segment 0
		.amdhsa_system_sgpr_workgroup_id_x 1
		.amdhsa_system_sgpr_workgroup_id_y 1
		.amdhsa_system_sgpr_workgroup_id_z 1
		.amdhsa_system_sgpr_workgroup_info 0
		.amdhsa_system_vgpr_workitem_id 1
		.amdhsa_next_free_vgpr 134
		.amdhsa_next_free_sgpr 43
		.amdhsa_named_barrier_count 0
		.amdhsa_reserve_vcc 1
		.amdhsa_float_round_mode_32 0
		.amdhsa_float_round_mode_16_64 0
		.amdhsa_float_denorm_mode_32 3
		.amdhsa_float_denorm_mode_16_64 3
		.amdhsa_fp16_overflow 0
		.amdhsa_memory_ordered 1
		.amdhsa_forward_progress 1
		.amdhsa_inst_pref_size 24
		.amdhsa_round_robin_scheduling 0
		.amdhsa_exception_fp_ieee_invalid_op 0
		.amdhsa_exception_fp_denorm_src 0
		.amdhsa_exception_fp_ieee_div_zero 0
		.amdhsa_exception_fp_ieee_overflow 0
		.amdhsa_exception_fp_ieee_underflow 0
		.amdhsa_exception_fp_ieee_inexact 0
		.amdhsa_exception_int_div_zero 0
	.end_amdhsa_kernel
	.section	.text._ZL29rocblas_internal_gemmt_kernelIlLi16ELi32ELi8ELc78ELc78ELc85ELb0ELb0E19rocblas_complex_numIdES1_PKPKS1_PKPS1_EviT_T9_T10_S9_lSB_S9_lSA_T11_S9_li,"axG",@progbits,_ZL29rocblas_internal_gemmt_kernelIlLi16ELi32ELi8ELc78ELc78ELc85ELb0ELb0E19rocblas_complex_numIdES1_PKPKS1_PKPS1_EviT_T9_T10_S9_lSB_S9_lSA_T11_S9_li,comdat
.Lfunc_end558:
	.size	_ZL29rocblas_internal_gemmt_kernelIlLi16ELi32ELi8ELc78ELc78ELc85ELb0ELb0E19rocblas_complex_numIdES1_PKPKS1_PKPS1_EviT_T9_T10_S9_lSB_S9_lSA_T11_S9_li, .Lfunc_end558-_ZL29rocblas_internal_gemmt_kernelIlLi16ELi32ELi8ELc78ELc78ELc85ELb0ELb0E19rocblas_complex_numIdES1_PKPKS1_PKPS1_EviT_T9_T10_S9_lSB_S9_lSA_T11_S9_li
                                        ; -- End function
	.set _ZL29rocblas_internal_gemmt_kernelIlLi16ELi32ELi8ELc78ELc78ELc85ELb0ELb0E19rocblas_complex_numIdES1_PKPKS1_PKPS1_EviT_T9_T10_S9_lSB_S9_lSA_T11_S9_li.num_vgpr, 134
	.set _ZL29rocblas_internal_gemmt_kernelIlLi16ELi32ELi8ELc78ELc78ELc85ELb0ELb0E19rocblas_complex_numIdES1_PKPKS1_PKPS1_EviT_T9_T10_S9_lSB_S9_lSA_T11_S9_li.num_agpr, 0
	.set _ZL29rocblas_internal_gemmt_kernelIlLi16ELi32ELi8ELc78ELc78ELc85ELb0ELb0E19rocblas_complex_numIdES1_PKPKS1_PKPS1_EviT_T9_T10_S9_lSB_S9_lSA_T11_S9_li.numbered_sgpr, 43
	.set _ZL29rocblas_internal_gemmt_kernelIlLi16ELi32ELi8ELc78ELc78ELc85ELb0ELb0E19rocblas_complex_numIdES1_PKPKS1_PKPS1_EviT_T9_T10_S9_lSB_S9_lSA_T11_S9_li.num_named_barrier, 0
	.set _ZL29rocblas_internal_gemmt_kernelIlLi16ELi32ELi8ELc78ELc78ELc85ELb0ELb0E19rocblas_complex_numIdES1_PKPKS1_PKPS1_EviT_T9_T10_S9_lSB_S9_lSA_T11_S9_li.private_seg_size, 0
	.set _ZL29rocblas_internal_gemmt_kernelIlLi16ELi32ELi8ELc78ELc78ELc85ELb0ELb0E19rocblas_complex_numIdES1_PKPKS1_PKPS1_EviT_T9_T10_S9_lSB_S9_lSA_T11_S9_li.uses_vcc, 1
	.set _ZL29rocblas_internal_gemmt_kernelIlLi16ELi32ELi8ELc78ELc78ELc85ELb0ELb0E19rocblas_complex_numIdES1_PKPKS1_PKPS1_EviT_T9_T10_S9_lSB_S9_lSA_T11_S9_li.uses_flat_scratch, 0
	.set _ZL29rocblas_internal_gemmt_kernelIlLi16ELi32ELi8ELc78ELc78ELc85ELb0ELb0E19rocblas_complex_numIdES1_PKPKS1_PKPS1_EviT_T9_T10_S9_lSB_S9_lSA_T11_S9_li.has_dyn_sized_stack, 0
	.set _ZL29rocblas_internal_gemmt_kernelIlLi16ELi32ELi8ELc78ELc78ELc85ELb0ELb0E19rocblas_complex_numIdES1_PKPKS1_PKPS1_EviT_T9_T10_S9_lSB_S9_lSA_T11_S9_li.has_recursion, 0
	.set _ZL29rocblas_internal_gemmt_kernelIlLi16ELi32ELi8ELc78ELc78ELc85ELb0ELb0E19rocblas_complex_numIdES1_PKPKS1_PKPS1_EviT_T9_T10_S9_lSB_S9_lSA_T11_S9_li.has_indirect_call, 0
	.section	.AMDGPU.csdata,"",@progbits
; Kernel info:
; codeLenInByte = 3020
; TotalNumSgprs: 45
; NumVgprs: 134
; ScratchSize: 0
; MemoryBound: 0
; FloatMode: 240
; IeeeMode: 1
; LDSByteSize: 8192 bytes/workgroup (compile time only)
; SGPRBlocks: 0
; VGPRBlocks: 8
; NumSGPRsForWavesPerEU: 45
; NumVGPRsForWavesPerEU: 134
; NamedBarCnt: 0
; Occupancy: 7
; WaveLimiterHint : 1
; COMPUTE_PGM_RSRC2:SCRATCH_EN: 0
; COMPUTE_PGM_RSRC2:USER_SGPR: 2
; COMPUTE_PGM_RSRC2:TRAP_HANDLER: 0
; COMPUTE_PGM_RSRC2:TGID_X_EN: 1
; COMPUTE_PGM_RSRC2:TGID_Y_EN: 1
; COMPUTE_PGM_RSRC2:TGID_Z_EN: 1
; COMPUTE_PGM_RSRC2:TIDIG_COMP_CNT: 1
	.section	.text._ZL29rocblas_internal_gemmt_kernelIlLi16ELi32ELi8ELc78ELc84ELc85ELb0ELb0E19rocblas_complex_numIdES1_PKPKS1_PKPS1_EviT_T9_T10_S9_lSB_S9_lSA_T11_S9_li,"axG",@progbits,_ZL29rocblas_internal_gemmt_kernelIlLi16ELi32ELi8ELc78ELc84ELc85ELb0ELb0E19rocblas_complex_numIdES1_PKPKS1_PKPS1_EviT_T9_T10_S9_lSB_S9_lSA_T11_S9_li,comdat
	.globl	_ZL29rocblas_internal_gemmt_kernelIlLi16ELi32ELi8ELc78ELc84ELc85ELb0ELb0E19rocblas_complex_numIdES1_PKPKS1_PKPS1_EviT_T9_T10_S9_lSB_S9_lSA_T11_S9_li ; -- Begin function _ZL29rocblas_internal_gemmt_kernelIlLi16ELi32ELi8ELc78ELc84ELc85ELb0ELb0E19rocblas_complex_numIdES1_PKPKS1_PKPS1_EviT_T9_T10_S9_lSB_S9_lSA_T11_S9_li
	.p2align	8
	.type	_ZL29rocblas_internal_gemmt_kernelIlLi16ELi32ELi8ELc78ELc84ELc85ELb0ELb0E19rocblas_complex_numIdES1_PKPKS1_PKPS1_EviT_T9_T10_S9_lSB_S9_lSA_T11_S9_li,@function
_ZL29rocblas_internal_gemmt_kernelIlLi16ELi32ELi8ELc78ELc84ELc85ELb0ELb0E19rocblas_complex_numIdES1_PKPKS1_PKPS1_EviT_T9_T10_S9_lSB_S9_lSA_T11_S9_li: ; @_ZL29rocblas_internal_gemmt_kernelIlLi16ELi32ELi8ELc78ELc84ELc85ELb0ELb0E19rocblas_complex_numIdES1_PKPKS1_PKPS1_EviT_T9_T10_S9_lSB_S9_lSA_T11_S9_li
; %bb.0:
	s_clause 0x1
	s_load_b256 s[24:31], s[0:1], 0x48
	s_load_b512 s[8:23], s[0:1], 0x8
	s_wait_kmcnt 0x0
	v_cmp_eq_f64_e64 s2, s[26:27], 1.0
	v_cmp_eq_f64_e64 s3, s[28:29], 0
	s_and_b32 s2, s2, s3
	s_delay_alu instid0(SALU_CYCLE_1)
	s_and_not1_b32 vcc_lo, exec_lo, s2
	s_mov_b32 s2, -1
	s_cbranch_vccnz .LBB559_3
; %bb.1:
	s_cmp_lg_u64 s[8:9], 0
	s_cbranch_scc0 .LBB559_41
; %bb.2:
	v_cmp_neq_f64_e64 s2, s[10:11], 0
	v_cmp_neq_f64_e64 s4, s[12:13], 0
	s_or_b32 s2, s2, s4
.LBB559_3:
	s_delay_alu instid0(SALU_CYCLE_1)
	s_and_b32 vcc_lo, exec_lo, s2
	s_cbranch_vccz .LBB559_42
; %bb.4:
	s_load_b32 s33, s[0:1], 0x78
	s_bfe_u32 s2, ttmp6, 0x40014
	s_lshr_b32 s4, ttmp7, 16
	s_add_co_i32 s2, s2, 1
	s_bfe_u32 s6, ttmp6, 0x40008
	s_mul_i32 s5, s4, s2
	s_getreg_b32 s2, hwreg(HW_REG_IB_STS2, 6, 4)
	s_add_co_i32 s6, s6, s5
	s_cmp_eq_u32 s2, 0
	s_mov_b32 s35, 0
	s_cselect_b32 s34, s4, s6
	s_wait_kmcnt 0x0
	s_cmp_ge_u32 s34, s33
	s_cbranch_scc1 .LBB559_42
; %bb.5:
	s_clause 0x1
	s_load_b128 s[4:7], s[0:1], 0x68
	s_load_b32 s39, s[0:1], 0x0
	s_wait_xcnt 0x0
	s_bfe_u32 s1, ttmp6, 0x4000c
	s_bfe_u32 s40, ttmp6, 0x40010
	s_and_b32 s38, ttmp7, 0xffff
	s_add_co_i32 s1, s1, 1
	s_add_co_i32 s40, s40, 1
	v_and_b32_e32 v4, 0x3ff, v0
	v_bfe_u32 v5, v0, 10, 10
	s_and_b32 s0, ttmp6, 15
	s_bfe_u32 s41, ttmp6, 0x40004
	s_mul_i32 s1, ttmp9, s1
	s_mul_i32 s40, s38, s40
	s_add_co_i32 s0, s0, s1
	s_add_co_i32 s41, s41, s40
	s_cmp_eq_u32 s2, 0
	v_lshl_add_u32 v1, v5, 4, v4
	s_cselect_b32 s1, s38, s41
	s_cselect_b32 s0, ttmp9, s0
	s_lshl_b32 s1, s1, 5
	s_delay_alu instid0(VALU_DEP_1) | instskip(SKIP_4) | instid1(VALU_DEP_3)
	v_dual_lshrrev_b32 v9, 3, v1 :: v_dual_bitop2_b32 v6, 7, v0 bitop3:0x40
	v_dual_lshrrev_b32 v8, 5, v1 :: v_dual_bitop2_b32 v7, 31, v1 bitop3:0x40
	s_lshl_b32 s2, s0, 5
	v_add_nc_u32_e32 v0, s1, v5
	v_cmp_neq_f64_e64 s36, s[10:11], 0
	v_dual_add_nc_u32 v12, s1, v9 :: v_dual_bitop2_b32 v10, s2, v7 bitop3:0x54
	v_cmp_neq_f64_e64 s37, s[12:13], 0
	s_delay_alu instid0(VALU_DEP_4) | instskip(SKIP_2) | instid1(VALU_DEP_3)
	v_add_nc_u32_e32 v2, 16, v0
	v_cmp_neq_f64_e64 s40, s[26:27], 0
	v_dual_lshlrev_b32 v11, 4, v6 :: v_dual_ashrrev_i32 v1, 31, v0
	v_dual_lshlrev_b32 v7, 4, v7 :: v_dual_ashrrev_i32 v3, 31, v2
	v_add_nc_u32_e32 v18, s2, v4
	s_delay_alu instid0(VALU_DEP_3)
	v_lshl_or_b32 v9, v9, 7, v11
	s_wait_kmcnt 0x0
	v_mul_u64_e32 v[14:15], s[4:5], v[0:1]
	v_ashrrev_i32_e32 v11, 31, v10
	v_mul_u64_e32 v[16:17], s[4:5], v[2:3]
	v_dual_ashrrev_i32 v13, 31, v12 :: v_dual_add_nc_u32 v20, 16, v18
	v_cmp_gt_i32_e64 s1, s39, v0
	v_cmp_le_i32_e64 s2, v18, v0
	v_cmp_gt_i64_e64 s42, s[8:9], 0
	s_xor_b32 s3, s3, -1
	v_cmp_gt_i32_e32 vcc_lo, s39, v12
	v_cmp_le_i32_e64 s4, v18, v2
	s_and_b32 s38, s1, s2
	v_cmp_le_i32_e64 s2, v20, v0
	v_cmp_le_i32_e64 s5, v20, v2
	v_cmp_gt_i32_e64 s0, s39, v10
	v_lshl_or_b32 v7, v8, 9, v7
	v_add_nc_u32_e32 v9, 0x1000, v9
	v_dual_lshlrev_b32 v44, 4, v4 :: v_dual_ashrrev_i32 v19, 31, v18
	v_lshl_add_u32 v45, v5, 7, 0x1000
	v_dual_ashrrev_i32 v21, 31, v20 :: v_dual_mov_b32 v1, 0
	s_and_b32 s1, s1, s2
	s_or_b32 s41, s36, s37
	v_cmp_le_i32_e64 s36, s39, v10
	s_or_b32 s37, s40, s3
	v_cmp_gt_i32_e64 s3, s39, v2
	s_and_b32 s41, s41, s42
	s_lshl_b64 s[6:7], s[6:7], 4
                                        ; implicit-def: $vgpr22_vgpr23
	s_and_b32 s39, s3, s4
	s_and_b32 s40, s3, s5
	s_lshl_b64 s[2:3], s[24:25], 4
	s_lshl_b64 s[4:5], s[18:19], 4
	s_xor_b32 s24, vcc_lo, -1
	s_branch .LBB559_7
.LBB559_6:                              ;   in Loop: Header=BB559_7 Depth=1
	s_wait_xcnt 0x0
	s_or_b32 exec_lo, exec_lo, s18
	s_add_co_i32 s34, s34, 0x10000
	s_delay_alu instid0(SALU_CYCLE_1)
	s_cmp_lt_u32 s34, s33
	s_cbranch_scc0 .LBB559_42
.LBB559_7:                              ; =>This Loop Header: Depth=1
                                        ;     Child Loop BB559_10 Depth 2
	v_mov_b32_e32 v0, s34
	v_mov_b64_e32 v[40:41], 0
	s_and_not1_b32 vcc_lo, exec_lo, s41
	global_load_b64 v[4:5], v0, s[30:31] scale_offset
	s_cbranch_vccnz .LBB559_20
; %bb.8:                                ;   in Loop: Header=BB559_7 Depth=1
	s_lshl_b64 s[18:19], s[34:35], 3
	v_mov_b64_e32 v[24:25], 0
	s_add_nc_u64 s[42:43], s[14:15], s[18:19]
	s_add_nc_u64 s[18:19], s[20:21], s[18:19]
	s_clause 0x1
	global_load_b64 v[2:3], v1, s[42:43]
	global_load_b64 v[28:29], v1, s[18:19]
	v_mov_b64_e32 v[26:27], 0
	v_mov_b64_e32 v[34:35], 0
	;; [unrolled: 1-line block ×7, first 2 shown]
	s_wait_xcnt 0x0
	s_mov_b64 s[18:19], 0
	s_wait_loadcnt 0x1
	v_add_nc_u64_e32 v[2:3], s[4:5], v[2:3]
	s_wait_loadcnt 0x0
	v_add_nc_u64_e32 v[30:31], s[2:3], v[28:29]
	s_delay_alu instid0(VALU_DEP_2) | instskip(NEXT) | instid1(VALU_DEP_2)
	v_lshl_add_u64 v[28:29], v[10:11], 4, v[2:3]
	v_lshl_add_u64 v[30:31], v[12:13], 4, v[30:31]
	s_branch .LBB559_10
.LBB559_9:                              ;   in Loop: Header=BB559_10 Depth=2
	s_wait_xcnt 0x0
	s_or_b32 exec_lo, exec_lo, s25
	s_wait_dscnt 0x0
	s_barrier_signal -1
	s_barrier_wait -1
	ds_load_b128 v[46:49], v45
	ds_load_b128 v[50:53], v44
	ds_load_b128 v[54:57], v44 offset:256
	ds_load_b128 v[58:61], v45 offset:2048
	;; [unrolled: 1-line block ×10, first 2 shown]
	s_add_nc_u64 s[18:19], s[18:19], 8
	s_delay_alu instid0(SALU_CYCLE_1)
	v_cmp_gt_i64_e64 s25, s[8:9], s[18:19]
	s_and_b32 vcc_lo, exec_lo, s25
	s_wait_dscnt 0xa
	v_mul_f64_e32 v[2:3], v[48:49], v[52:53]
	v_mul_f64_e32 v[94:95], v[46:47], v[52:53]
	s_wait_dscnt 0x9
	v_mul_f64_e32 v[96:97], v[48:49], v[56:57]
	v_mul_f64_e32 v[98:99], v[46:47], v[56:57]
	s_wait_dscnt 0x8
	v_mul_f64_e32 v[100:101], v[60:61], v[52:53]
	v_mul_f64_e32 v[102:103], v[58:59], v[52:53]
	v_mul_f64_e32 v[52:53], v[60:61], v[56:57]
	v_mul_f64_e32 v[104:105], v[58:59], v[56:57]
	s_wait_dscnt 0x6
	v_mul_f64_e32 v[106:107], v[64:65], v[68:69]
	v_mul_f64_e32 v[108:109], v[62:63], v[68:69]
	s_wait_dscnt 0x5
	v_mul_f64_e32 v[110:111], v[64:65], v[72:73]
	v_mul_f64_e32 v[112:113], v[62:63], v[72:73]
	s_wait_dscnt 0x4
	v_mul_f64_e32 v[114:115], v[76:77], v[68:69]
	v_mul_f64_e32 v[68:69], v[74:75], v[68:69]
	v_mul_f64_e32 v[116:117], v[76:77], v[72:73]
	v_mul_f64_e32 v[72:73], v[74:75], v[72:73]
	;; [unrolled: 11-line block ×3, first 2 shown]
	v_fma_f64 v[2:3], v[46:47], v[50:51], -v[2:3]
	v_fmac_f64_e32 v[94:95], v[48:49], v[50:51]
	v_fma_f64 v[96:97], v[46:47], v[54:55], -v[96:97]
	v_fmac_f64_e32 v[98:99], v[48:49], v[54:55]
	;; [unrolled: 2-line block ×8, first 2 shown]
	ds_load_b128 v[46:49], v45 offset:48
	ds_load_b128 v[50:53], v45 offset:2096
	;; [unrolled: 1-line block ×4, first 2 shown]
	v_fma_f64 v[120:121], v[78:79], v[82:83], -v[120:121]
	v_fmac_f64_e32 v[122:123], v[80:81], v[82:83]
	v_fma_f64 v[78:79], v[78:79], v[86:87], -v[124:125]
	v_fmac_f64_e32 v[126:127], v[80:81], v[86:87]
	v_fma_f64 v[80:81], v[90:91], v[82:83], -v[128:129]
	v_fmac_f64_e32 v[84:85], v[92:93], v[82:83]
	v_fma_f64 v[82:83], v[90:91], v[86:87], -v[130:131]
	v_fmac_f64_e32 v[88:89], v[92:93], v[86:87]
	v_add_f64_e32 v[2:3], v[40:41], v[2:3]
	v_add_f64_e32 v[70:71], v[94:95], v[42:43]
	;; [unrolled: 1-line block ×8, first 2 shown]
	s_wait_dscnt 0x1
	v_mul_f64_e32 v[102:103], v[48:49], v[56:57]
	v_mul_f64_e32 v[104:105], v[46:47], v[56:57]
	s_wait_dscnt 0x0
	v_mul_f64_e32 v[110:111], v[48:49], v[60:61]
	v_mul_f64_e32 v[114:115], v[46:47], v[60:61]
	;; [unrolled: 1-line block ×6, first 2 shown]
	ds_load_b128 v[24:27], v45 offset:64
	ds_load_b128 v[32:35], v44 offset:2048
	;; [unrolled: 1-line block ×4, first 2 shown]
	v_add_f64_e32 v[2:3], v[2:3], v[106:107]
	v_add_f64_e32 v[86:87], v[108:109], v[70:71]
	;; [unrolled: 1-line block ×8, first 2 shown]
	s_wait_dscnt 0x2
	v_mul_f64_e32 v[100:101], v[26:27], v[34:35]
	v_mul_f64_e32 v[106:107], v[24:25], v[34:35]
	s_wait_dscnt 0x1
	v_mul_f64_e32 v[108:109], v[26:27], v[38:39]
	v_mul_f64_e32 v[112:113], v[24:25], v[38:39]
	;; [unrolled: 3-line block ×3, first 2 shown]
	v_mul_f64_e32 v[34:35], v[42:43], v[38:39]
	v_mul_f64_e32 v[130:131], v[40:41], v[38:39]
	v_fma_f64 v[38:39], v[46:47], v[54:55], -v[102:103]
	v_fmac_f64_e32 v[104:105], v[48:49], v[54:55]
	v_fma_f64 v[102:103], v[46:47], v[58:59], -v[110:111]
	v_fmac_f64_e32 v[114:115], v[48:49], v[58:59]
	v_fma_f64 v[110:111], v[50:51], v[54:55], -v[116:117]
	v_fmac_f64_e32 v[118:119], v[52:53], v[54:55]
	v_fma_f64 v[116:117], v[50:51], v[58:59], -v[56:57]
	v_fmac_f64_e32 v[132:133], v[52:53], v[58:59]
	ds_load_b128 v[60:63], v45 offset:80
	ds_load_b128 v[64:67], v45 offset:2128
	ds_load_b128 v[68:71], v44 offset:2560
	ds_load_b128 v[72:75], v44 offset:2816
	v_add_f64_e32 v[2:3], v[2:3], v[120:121]
	v_add_f64_e32 v[58:59], v[122:123], v[86:87]
	;; [unrolled: 1-line block ×8, first 2 shown]
	v_fma_f64 v[100:101], v[24:25], v[32:33], -v[100:101]
	v_fmac_f64_e32 v[106:107], v[26:27], v[32:33]
	v_fma_f64 v[108:109], v[24:25], v[36:37], -v[108:109]
	s_wait_dscnt 0x1
	v_mul_f64_e32 v[92:93], v[62:63], v[70:71]
	v_mul_f64_e32 v[94:95], v[60:61], v[70:71]
	s_wait_dscnt 0x0
	v_mul_f64_e32 v[96:97], v[62:63], v[74:75]
	v_mul_f64_e32 v[98:99], v[60:61], v[74:75]
	;; [unrolled: 1-line block ×6, first 2 shown]
	v_fmac_f64_e32 v[112:113], v[26:27], v[36:37]
	v_fma_f64 v[124:125], v[40:41], v[32:33], -v[124:125]
	v_fmac_f64_e32 v[128:129], v[42:43], v[32:33]
	v_fma_f64 v[126:127], v[40:41], v[36:37], -v[34:35]
	v_fmac_f64_e32 v[130:131], v[42:43], v[36:37]
	ds_load_b128 v[46:49], v45 offset:96
	ds_load_b128 v[50:53], v44 offset:3072
	ds_load_b128 v[54:57], v44 offset:3328
	ds_load_b128 v[76:79], v45 offset:2144
	v_add_f64_e32 v[2:3], v[2:3], v[38:39]
	v_add_f64_e32 v[58:59], v[104:105], v[58:59]
	;; [unrolled: 1-line block ×8, first 2 shown]
	ds_load_b128 v[24:27], v45 offset:112
	ds_load_b128 v[32:35], v45 offset:2160
	ds_load_b128 v[36:39], v44 offset:3584
	ds_load_b128 v[40:43], v44 offset:3840
	s_wait_dscnt 0x0
	v_mul_f64_e32 v[102:103], v[48:49], v[52:53]
	v_mul_f64_e32 v[104:105], v[46:47], v[52:53]
	v_mul_f64_e32 v[110:111], v[48:49], v[56:57]
	v_mul_f64_e32 v[114:115], v[46:47], v[56:57]
	v_mul_f64_e32 v[116:117], v[78:79], v[52:53]
	v_mul_f64_e32 v[52:53], v[76:77], v[52:53]
	v_mul_f64_e32 v[118:119], v[78:79], v[56:57]
	v_mul_f64_e32 v[56:57], v[76:77], v[56:57]
	v_fma_f64 v[92:93], v[60:61], v[68:69], -v[92:93]
	v_fmac_f64_e32 v[94:95], v[62:63], v[68:69]
	v_fma_f64 v[60:61], v[60:61], v[72:73], -v[96:97]
	v_fmac_f64_e32 v[98:99], v[62:63], v[72:73]
	;; [unrolled: 2-line block ×4, first 2 shown]
	s_barrier_signal -1
	s_barrier_wait -1
	v_mul_f64_e32 v[96:97], v[24:25], v[42:43]
	v_add_f64_e32 v[2:3], v[2:3], v[100:101]
	v_add_f64_e32 v[58:59], v[106:107], v[58:59]
	v_add_f64_e32 v[66:67], v[86:87], v[108:109]
	v_add_f64_e32 v[68:69], v[112:113], v[90:91]
	v_add_f64_e32 v[72:73], v[80:81], v[124:125]
	v_add_f64_e32 v[80:81], v[128:129], v[84:85]
	v_add_f64_e32 v[82:83], v[82:83], v[126:127]
	v_add_f64_e32 v[84:85], v[130:131], v[88:89]
	v_mul_f64_e32 v[86:87], v[26:27], v[38:39]
	v_mul_f64_e32 v[88:89], v[24:25], v[38:39]
	v_mul_f64_e32 v[90:91], v[26:27], v[42:43]
	v_mul_f64_e32 v[100:101], v[34:35], v[38:39]
	v_mul_f64_e32 v[106:107], v[32:33], v[38:39]
	v_mul_f64_e32 v[38:39], v[34:35], v[42:43]
	v_mul_f64_e32 v[108:109], v[32:33], v[42:43]
	v_fma_f64 v[42:43], v[46:47], v[50:51], -v[102:103]
	v_fmac_f64_e32 v[104:105], v[48:49], v[50:51]
	v_fma_f64 v[46:47], v[46:47], v[54:55], -v[110:111]
	v_fmac_f64_e32 v[114:115], v[48:49], v[54:55]
	;; [unrolled: 2-line block ×4, first 2 shown]
	v_fmac_f64_e32 v[96:97], v[26:27], v[40:41]
	v_add_f64_e32 v[2:3], v[2:3], v[92:93]
	v_add_f64_e32 v[54:55], v[94:95], v[58:59]
	;; [unrolled: 1-line block ×8, first 2 shown]
	v_fma_f64 v[70:71], v[24:25], v[36:37], -v[86:87]
	v_fmac_f64_e32 v[88:89], v[26:27], v[36:37]
	v_fma_f64 v[24:25], v[24:25], v[40:41], -v[90:91]
	v_fma_f64 v[26:27], v[32:33], v[36:37], -v[100:101]
	v_fmac_f64_e32 v[106:107], v[34:35], v[36:37]
	v_fma_f64 v[72:73], v[32:33], v[40:41], -v[38:39]
	v_fmac_f64_e32 v[108:109], v[34:35], v[40:41]
	v_add_f64_e32 v[2:3], v[2:3], v[42:43]
	v_add_f64_e32 v[32:33], v[104:105], v[54:55]
	;; [unrolled: 1-line block ×16, first 2 shown]
	s_cbranch_vccz .LBB559_21
.LBB559_10:                             ;   Parent Loop BB559_7 Depth=1
                                        ; =>  This Inner Loop Header: Depth=2
	s_mov_b32 s25, 0
	s_mov_b32 s43, s36
	s_and_saveexec_b32 s42, s0
	s_cbranch_execnz .LBB559_18
; %bb.11:                               ;   in Loop: Header=BB559_10 Depth=2
	s_or_b32 exec_lo, exec_lo, s42
	s_and_saveexec_b32 s42, s43
	s_delay_alu instid0(SALU_CYCLE_1)
	s_xor_b32 s42, exec_lo, s42
	s_cbranch_execnz .LBB559_19
.LBB559_12:                             ;   in Loop: Header=BB559_10 Depth=2
	s_or_b32 exec_lo, exec_lo, s42
	s_and_saveexec_b32 s42, s25
	s_cbranch_execz .LBB559_14
.LBB559_13:                             ;   in Loop: Header=BB559_10 Depth=2
	v_mul_u64_e32 v[2:3], s[16:17], v[22:23]
	s_delay_alu instid0(VALU_DEP_1)
	v_lshl_add_u64 v[2:3], v[2:3], 4, v[28:29]
	flat_load_b128 v[46:49], v[2:3]
	s_wait_loadcnt_dscnt 0x0
	ds_store_2addr_b64 v7, v[46:47], v[48:49] offset1:1
.LBB559_14:                             ;   in Loop: Header=BB559_10 Depth=2
	s_wait_xcnt 0x0
	s_or_b32 exec_lo, exec_lo, s42
	v_add_nc_u32_e32 v0, s18, v6
	s_delay_alu instid0(VALU_DEP_1) | instskip(SKIP_1) | instid1(SALU_CYCLE_1)
	v_cmp_le_u64_e32 vcc_lo, s[8:9], v[0:1]
	s_or_b32 s25, vcc_lo, s24
	s_and_saveexec_b32 s42, s25
	s_delay_alu instid0(SALU_CYCLE_1)
	s_xor_b32 s25, exec_lo, s42
; %bb.15:                               ;   in Loop: Header=BB559_10 Depth=2
	v_dual_mov_b32 v0, v1 :: v_dual_mov_b32 v2, v1
	v_mov_b32_e32 v3, v1
	ds_store_b128 v9, v[0:3]
; %bb.16:                               ;   in Loop: Header=BB559_10 Depth=2
	s_and_not1_saveexec_b32 s25, s25
	s_cbranch_execz .LBB559_9
; %bb.17:                               ;   in Loop: Header=BB559_10 Depth=2
	v_mul_u64_e32 v[2:3], s[22:23], v[0:1]
	s_delay_alu instid0(VALU_DEP_1)
	v_lshl_add_u64 v[2:3], v[2:3], 4, v[30:31]
	flat_load_b128 v[46:49], v[2:3]
	s_wait_loadcnt_dscnt 0x0
	ds_store_2addr_b64 v9, v[46:47], v[48:49] offset1:1
	s_branch .LBB559_9
.LBB559_18:                             ;   in Loop: Header=BB559_10 Depth=2
	v_add_nc_u32_e32 v0, s18, v8
	s_and_not1_b32 s43, s36, exec_lo
	s_mov_b32 s25, exec_lo
	s_delay_alu instid0(VALU_DEP_1) | instskip(SKIP_2) | instid1(SALU_CYCLE_1)
	v_cmp_le_u64_e32 vcc_lo, s[8:9], v[0:1]
	v_mov_b64_e32 v[22:23], v[0:1]
	s_and_b32 s44, vcc_lo, exec_lo
	s_or_b32 s43, s43, s44
	s_or_b32 exec_lo, exec_lo, s42
	s_and_saveexec_b32 s42, s43
	s_delay_alu instid0(SALU_CYCLE_1)
	s_xor_b32 s42, exec_lo, s42
	s_cbranch_execz .LBB559_12
.LBB559_19:                             ;   in Loop: Header=BB559_10 Depth=2
	v_dual_mov_b32 v0, v1 :: v_dual_mov_b32 v2, v1
	v_mov_b32_e32 v3, v1
	s_and_not1_b32 s25, s25, exec_lo
	ds_store_b128 v7, v[0:3]
	s_or_b32 exec_lo, exec_lo, s42
	s_and_saveexec_b32 s42, s25
	s_cbranch_execnz .LBB559_13
	s_branch .LBB559_14
.LBB559_20:                             ;   in Loop: Header=BB559_7 Depth=1
	v_mov_b64_e32 v[42:43], 0
	v_mov_b64_e32 v[36:37], 0
	;; [unrolled: 1-line block ×7, first 2 shown]
.LBB559_21:                             ;   in Loop: Header=BB559_7 Depth=1
	s_wait_loadcnt 0x0
	v_add_nc_u64_e32 v[28:29], s[6:7], v[4:5]
	s_delay_alu instid0(VALU_DEP_1)
	v_lshl_add_u64 v[30:31], v[14:15], 4, v[28:29]
	s_wait_xcnt 0x0
	s_and_saveexec_b32 s18, s38
	s_cbranch_execz .LBB559_26
; %bb.22:                               ;   in Loop: Header=BB559_7 Depth=1
	v_mul_f64_e32 v[2:3], s[12:13], v[42:43]
	v_mul_f64_e32 v[4:5], s[10:11], v[42:43]
	s_and_b32 vcc_lo, exec_lo, s37
	s_mov_b32 s19, -1
	s_delay_alu instid0(VALU_DEP_2) | instskip(NEXT) | instid1(VALU_DEP_2)
	v_fma_f64 v[2:3], s[10:11], v[40:41], -v[2:3]
	v_fmac_f64_e32 v[4:5], s[12:13], v[40:41]
	v_lshl_add_u64 v[40:41], v[18:19], 4, v[30:31]
	s_cbranch_vccz .LBB559_24
; %bb.23:                               ;   in Loop: Header=BB559_7 Depth=1
	flat_load_b128 v[46:49], v[40:41]
	s_mov_b32 s19, 0
	s_wait_loadcnt_dscnt 0x0
	v_mul_f64_e32 v[42:43], s[28:29], v[48:49]
	v_mul_f64_e32 v[48:49], s[26:27], v[48:49]
	s_delay_alu instid0(VALU_DEP_2) | instskip(NEXT) | instid1(VALU_DEP_2)
	v_fma_f64 v[42:43], s[26:27], v[46:47], -v[42:43]
	v_fmac_f64_e32 v[48:49], s[28:29], v[46:47]
	s_delay_alu instid0(VALU_DEP_2) | instskip(NEXT) | instid1(VALU_DEP_2)
	v_add_f64_e32 v[46:47], v[2:3], v[42:43]
	v_add_f64_e32 v[48:49], v[4:5], v[48:49]
	flat_store_b128 v[40:41], v[46:49]
.LBB559_24:                             ;   in Loop: Header=BB559_7 Depth=1
	s_and_not1_b32 vcc_lo, exec_lo, s19
	s_cbranch_vccnz .LBB559_26
; %bb.25:                               ;   in Loop: Header=BB559_7 Depth=1
	flat_store_b128 v[40:41], v[2:5]
.LBB559_26:                             ;   in Loop: Header=BB559_7 Depth=1
	s_wait_xcnt 0x0
	s_or_b32 exec_lo, exec_lo, s18
	s_and_saveexec_b32 s18, s1
	s_cbranch_execz .LBB559_31
; %bb.27:                               ;   in Loop: Header=BB559_7 Depth=1
	v_mul_f64_e32 v[2:3], s[12:13], v[38:39]
	v_mul_f64_e32 v[4:5], s[10:11], v[38:39]
	v_lshl_add_u64 v[30:31], v[20:21], 4, v[30:31]
	s_and_not1_b32 vcc_lo, exec_lo, s37
	s_mov_b32 s19, -1
	s_delay_alu instid0(VALU_DEP_3) | instskip(NEXT) | instid1(VALU_DEP_3)
	v_fma_f64 v[2:3], s[10:11], v[36:37], -v[2:3]
	v_fmac_f64_e32 v[4:5], s[12:13], v[36:37]
	s_cbranch_vccnz .LBB559_29
; %bb.28:                               ;   in Loop: Header=BB559_7 Depth=1
	flat_load_b128 v[36:39], v[30:31]
	s_mov_b32 s19, 0
	s_wait_loadcnt_dscnt 0x0
	v_mul_f64_e32 v[40:41], s[28:29], v[38:39]
	v_mul_f64_e32 v[38:39], s[26:27], v[38:39]
	s_delay_alu instid0(VALU_DEP_2) | instskip(NEXT) | instid1(VALU_DEP_2)
	v_fma_f64 v[40:41], s[26:27], v[36:37], -v[40:41]
	v_fmac_f64_e32 v[38:39], s[28:29], v[36:37]
	s_delay_alu instid0(VALU_DEP_2) | instskip(NEXT) | instid1(VALU_DEP_2)
	v_add_f64_e32 v[36:37], v[2:3], v[40:41]
	v_add_f64_e32 v[38:39], v[4:5], v[38:39]
	flat_store_b128 v[30:31], v[36:39]
.LBB559_29:                             ;   in Loop: Header=BB559_7 Depth=1
	s_and_not1_b32 vcc_lo, exec_lo, s19
	s_cbranch_vccnz .LBB559_31
; %bb.30:                               ;   in Loop: Header=BB559_7 Depth=1
	flat_store_b128 v[30:31], v[2:5]
.LBB559_31:                             ;   in Loop: Header=BB559_7 Depth=1
	s_wait_xcnt 0x0
	s_or_b32 exec_lo, exec_lo, s18
	v_lshl_add_u64 v[28:29], v[16:17], 4, v[28:29]
	s_and_saveexec_b32 s18, s39
	s_cbranch_execz .LBB559_36
; %bb.32:                               ;   in Loop: Header=BB559_7 Depth=1
	v_mul_f64_e32 v[2:3], s[12:13], v[34:35]
	v_mul_f64_e32 v[4:5], s[10:11], v[34:35]
	v_lshl_add_u64 v[30:31], v[18:19], 4, v[28:29]
	s_and_not1_b32 vcc_lo, exec_lo, s37
	s_mov_b32 s19, -1
	s_delay_alu instid0(VALU_DEP_3) | instskip(NEXT) | instid1(VALU_DEP_3)
	v_fma_f64 v[2:3], s[10:11], v[32:33], -v[2:3]
	v_fmac_f64_e32 v[4:5], s[12:13], v[32:33]
	s_cbranch_vccnz .LBB559_34
; %bb.33:                               ;   in Loop: Header=BB559_7 Depth=1
	flat_load_b128 v[32:35], v[30:31]
	s_mov_b32 s19, 0
	s_wait_loadcnt_dscnt 0x0
	v_mul_f64_e32 v[36:37], s[28:29], v[34:35]
	v_mul_f64_e32 v[34:35], s[26:27], v[34:35]
	s_delay_alu instid0(VALU_DEP_2) | instskip(NEXT) | instid1(VALU_DEP_2)
	v_fma_f64 v[36:37], s[26:27], v[32:33], -v[36:37]
	v_fmac_f64_e32 v[34:35], s[28:29], v[32:33]
	s_delay_alu instid0(VALU_DEP_2) | instskip(NEXT) | instid1(VALU_DEP_2)
	v_add_f64_e32 v[32:33], v[2:3], v[36:37]
	v_add_f64_e32 v[34:35], v[4:5], v[34:35]
	flat_store_b128 v[30:31], v[32:35]
.LBB559_34:                             ;   in Loop: Header=BB559_7 Depth=1
	s_and_not1_b32 vcc_lo, exec_lo, s19
	s_cbranch_vccnz .LBB559_36
; %bb.35:                               ;   in Loop: Header=BB559_7 Depth=1
	flat_store_b128 v[30:31], v[2:5]
.LBB559_36:                             ;   in Loop: Header=BB559_7 Depth=1
	s_wait_xcnt 0x0
	s_or_b32 exec_lo, exec_lo, s18
	s_and_saveexec_b32 s18, s40
	s_cbranch_execz .LBB559_6
; %bb.37:                               ;   in Loop: Header=BB559_7 Depth=1
	s_delay_alu instid0(VALU_DEP_4) | instskip(SKIP_4) | instid1(VALU_DEP_3)
	v_mul_f64_e32 v[2:3], s[12:13], v[24:25]
	v_mul_f64_e32 v[4:5], s[10:11], v[24:25]
	v_lshl_add_u64 v[24:25], v[20:21], 4, v[28:29]
	s_and_not1_b32 vcc_lo, exec_lo, s37
	s_mov_b32 s19, -1
	v_fma_f64 v[2:3], s[10:11], v[26:27], -v[2:3]
	s_delay_alu instid0(VALU_DEP_3)
	v_fmac_f64_e32 v[4:5], s[12:13], v[26:27]
	s_cbranch_vccnz .LBB559_39
; %bb.38:                               ;   in Loop: Header=BB559_7 Depth=1
	flat_load_b128 v[26:29], v[24:25]
	s_mov_b32 s19, 0
	s_wait_loadcnt_dscnt 0x0
	v_mul_f64_e32 v[30:31], s[28:29], v[28:29]
	v_mul_f64_e32 v[28:29], s[26:27], v[28:29]
	s_delay_alu instid0(VALU_DEP_2) | instskip(NEXT) | instid1(VALU_DEP_2)
	v_fma_f64 v[30:31], s[26:27], v[26:27], -v[30:31]
	v_fmac_f64_e32 v[28:29], s[28:29], v[26:27]
	s_delay_alu instid0(VALU_DEP_2) | instskip(NEXT) | instid1(VALU_DEP_2)
	v_add_f64_e32 v[26:27], v[2:3], v[30:31]
	v_add_f64_e32 v[28:29], v[4:5], v[28:29]
	flat_store_b128 v[24:25], v[26:29]
.LBB559_39:                             ;   in Loop: Header=BB559_7 Depth=1
	s_and_not1_b32 vcc_lo, exec_lo, s19
	s_cbranch_vccnz .LBB559_6
; %bb.40:                               ;   in Loop: Header=BB559_7 Depth=1
	flat_store_b128 v[24:25], v[2:5]
	s_branch .LBB559_6
.LBB559_41:
.LBB559_42:
	s_sendmsg sendmsg(MSG_DEALLOC_VGPRS)
	s_endpgm
	.section	.rodata,"a",@progbits
	.p2align	6, 0x0
	.amdhsa_kernel _ZL29rocblas_internal_gemmt_kernelIlLi16ELi32ELi8ELc78ELc84ELc85ELb0ELb0E19rocblas_complex_numIdES1_PKPKS1_PKPS1_EviT_T9_T10_S9_lSB_S9_lSA_T11_S9_li
		.amdhsa_group_segment_fixed_size 8192
		.amdhsa_private_segment_fixed_size 0
		.amdhsa_kernarg_size 124
		.amdhsa_user_sgpr_count 2
		.amdhsa_user_sgpr_dispatch_ptr 0
		.amdhsa_user_sgpr_queue_ptr 0
		.amdhsa_user_sgpr_kernarg_segment_ptr 1
		.amdhsa_user_sgpr_dispatch_id 0
		.amdhsa_user_sgpr_kernarg_preload_length 0
		.amdhsa_user_sgpr_kernarg_preload_offset 0
		.amdhsa_user_sgpr_private_segment_size 0
		.amdhsa_wavefront_size32 1
		.amdhsa_uses_dynamic_stack 0
		.amdhsa_enable_private_segment 0
		.amdhsa_system_sgpr_workgroup_id_x 1
		.amdhsa_system_sgpr_workgroup_id_y 1
		.amdhsa_system_sgpr_workgroup_id_z 1
		.amdhsa_system_sgpr_workgroup_info 0
		.amdhsa_system_vgpr_workitem_id 1
		.amdhsa_next_free_vgpr 134
		.amdhsa_next_free_sgpr 45
		.amdhsa_named_barrier_count 0
		.amdhsa_reserve_vcc 1
		.amdhsa_float_round_mode_32 0
		.amdhsa_float_round_mode_16_64 0
		.amdhsa_float_denorm_mode_32 3
		.amdhsa_float_denorm_mode_16_64 3
		.amdhsa_fp16_overflow 0
		.amdhsa_memory_ordered 1
		.amdhsa_forward_progress 1
		.amdhsa_inst_pref_size 24
		.amdhsa_round_robin_scheduling 0
		.amdhsa_exception_fp_ieee_invalid_op 0
		.amdhsa_exception_fp_denorm_src 0
		.amdhsa_exception_fp_ieee_div_zero 0
		.amdhsa_exception_fp_ieee_overflow 0
		.amdhsa_exception_fp_ieee_underflow 0
		.amdhsa_exception_fp_ieee_inexact 0
		.amdhsa_exception_int_div_zero 0
	.end_amdhsa_kernel
	.section	.text._ZL29rocblas_internal_gemmt_kernelIlLi16ELi32ELi8ELc78ELc84ELc85ELb0ELb0E19rocblas_complex_numIdES1_PKPKS1_PKPS1_EviT_T9_T10_S9_lSB_S9_lSA_T11_S9_li,"axG",@progbits,_ZL29rocblas_internal_gemmt_kernelIlLi16ELi32ELi8ELc78ELc84ELc85ELb0ELb0E19rocblas_complex_numIdES1_PKPKS1_PKPS1_EviT_T9_T10_S9_lSB_S9_lSA_T11_S9_li,comdat
.Lfunc_end559:
	.size	_ZL29rocblas_internal_gemmt_kernelIlLi16ELi32ELi8ELc78ELc84ELc85ELb0ELb0E19rocblas_complex_numIdES1_PKPKS1_PKPS1_EviT_T9_T10_S9_lSB_S9_lSA_T11_S9_li, .Lfunc_end559-_ZL29rocblas_internal_gemmt_kernelIlLi16ELi32ELi8ELc78ELc84ELc85ELb0ELb0E19rocblas_complex_numIdES1_PKPKS1_PKPS1_EviT_T9_T10_S9_lSB_S9_lSA_T11_S9_li
                                        ; -- End function
	.set _ZL29rocblas_internal_gemmt_kernelIlLi16ELi32ELi8ELc78ELc84ELc85ELb0ELb0E19rocblas_complex_numIdES1_PKPKS1_PKPS1_EviT_T9_T10_S9_lSB_S9_lSA_T11_S9_li.num_vgpr, 134
	.set _ZL29rocblas_internal_gemmt_kernelIlLi16ELi32ELi8ELc78ELc84ELc85ELb0ELb0E19rocblas_complex_numIdES1_PKPKS1_PKPS1_EviT_T9_T10_S9_lSB_S9_lSA_T11_S9_li.num_agpr, 0
	.set _ZL29rocblas_internal_gemmt_kernelIlLi16ELi32ELi8ELc78ELc84ELc85ELb0ELb0E19rocblas_complex_numIdES1_PKPKS1_PKPS1_EviT_T9_T10_S9_lSB_S9_lSA_T11_S9_li.numbered_sgpr, 45
	.set _ZL29rocblas_internal_gemmt_kernelIlLi16ELi32ELi8ELc78ELc84ELc85ELb0ELb0E19rocblas_complex_numIdES1_PKPKS1_PKPS1_EviT_T9_T10_S9_lSB_S9_lSA_T11_S9_li.num_named_barrier, 0
	.set _ZL29rocblas_internal_gemmt_kernelIlLi16ELi32ELi8ELc78ELc84ELc85ELb0ELb0E19rocblas_complex_numIdES1_PKPKS1_PKPS1_EviT_T9_T10_S9_lSB_S9_lSA_T11_S9_li.private_seg_size, 0
	.set _ZL29rocblas_internal_gemmt_kernelIlLi16ELi32ELi8ELc78ELc84ELc85ELb0ELb0E19rocblas_complex_numIdES1_PKPKS1_PKPS1_EviT_T9_T10_S9_lSB_S9_lSA_T11_S9_li.uses_vcc, 1
	.set _ZL29rocblas_internal_gemmt_kernelIlLi16ELi32ELi8ELc78ELc84ELc85ELb0ELb0E19rocblas_complex_numIdES1_PKPKS1_PKPS1_EviT_T9_T10_S9_lSB_S9_lSA_T11_S9_li.uses_flat_scratch, 0
	.set _ZL29rocblas_internal_gemmt_kernelIlLi16ELi32ELi8ELc78ELc84ELc85ELb0ELb0E19rocblas_complex_numIdES1_PKPKS1_PKPS1_EviT_T9_T10_S9_lSB_S9_lSA_T11_S9_li.has_dyn_sized_stack, 0
	.set _ZL29rocblas_internal_gemmt_kernelIlLi16ELi32ELi8ELc78ELc84ELc85ELb0ELb0E19rocblas_complex_numIdES1_PKPKS1_PKPS1_EviT_T9_T10_S9_lSB_S9_lSA_T11_S9_li.has_recursion, 0
	.set _ZL29rocblas_internal_gemmt_kernelIlLi16ELi32ELi8ELc78ELc84ELc85ELb0ELb0E19rocblas_complex_numIdES1_PKPKS1_PKPS1_EviT_T9_T10_S9_lSB_S9_lSA_T11_S9_li.has_indirect_call, 0
	.section	.AMDGPU.csdata,"",@progbits
; Kernel info:
; codeLenInByte = 3024
; TotalNumSgprs: 47
; NumVgprs: 134
; ScratchSize: 0
; MemoryBound: 0
; FloatMode: 240
; IeeeMode: 1
; LDSByteSize: 8192 bytes/workgroup (compile time only)
; SGPRBlocks: 0
; VGPRBlocks: 8
; NumSGPRsForWavesPerEU: 47
; NumVGPRsForWavesPerEU: 134
; NamedBarCnt: 0
; Occupancy: 7
; WaveLimiterHint : 1
; COMPUTE_PGM_RSRC2:SCRATCH_EN: 0
; COMPUTE_PGM_RSRC2:USER_SGPR: 2
; COMPUTE_PGM_RSRC2:TRAP_HANDLER: 0
; COMPUTE_PGM_RSRC2:TGID_X_EN: 1
; COMPUTE_PGM_RSRC2:TGID_Y_EN: 1
; COMPUTE_PGM_RSRC2:TGID_Z_EN: 1
; COMPUTE_PGM_RSRC2:TIDIG_COMP_CNT: 1
	.section	.text._ZL29rocblas_internal_gemmt_kernelIlLi16ELi32ELi8ELc78ELc67ELc85ELb0ELb1E19rocblas_complex_numIdES1_PKPKS1_PKPS1_EviT_T9_T10_S9_lSB_S9_lSA_T11_S9_li,"axG",@progbits,_ZL29rocblas_internal_gemmt_kernelIlLi16ELi32ELi8ELc78ELc67ELc85ELb0ELb1E19rocblas_complex_numIdES1_PKPKS1_PKPS1_EviT_T9_T10_S9_lSB_S9_lSA_T11_S9_li,comdat
	.globl	_ZL29rocblas_internal_gemmt_kernelIlLi16ELi32ELi8ELc78ELc67ELc85ELb0ELb1E19rocblas_complex_numIdES1_PKPKS1_PKPS1_EviT_T9_T10_S9_lSB_S9_lSA_T11_S9_li ; -- Begin function _ZL29rocblas_internal_gemmt_kernelIlLi16ELi32ELi8ELc78ELc67ELc85ELb0ELb1E19rocblas_complex_numIdES1_PKPKS1_PKPS1_EviT_T9_T10_S9_lSB_S9_lSA_T11_S9_li
	.p2align	8
	.type	_ZL29rocblas_internal_gemmt_kernelIlLi16ELi32ELi8ELc78ELc67ELc85ELb0ELb1E19rocblas_complex_numIdES1_PKPKS1_PKPS1_EviT_T9_T10_S9_lSB_S9_lSA_T11_S9_li,@function
_ZL29rocblas_internal_gemmt_kernelIlLi16ELi32ELi8ELc78ELc67ELc85ELb0ELb1E19rocblas_complex_numIdES1_PKPKS1_PKPS1_EviT_T9_T10_S9_lSB_S9_lSA_T11_S9_li: ; @_ZL29rocblas_internal_gemmt_kernelIlLi16ELi32ELi8ELc78ELc67ELc85ELb0ELb1E19rocblas_complex_numIdES1_PKPKS1_PKPS1_EviT_T9_T10_S9_lSB_S9_lSA_T11_S9_li
; %bb.0:
	s_clause 0x1
	s_load_b256 s[24:31], s[0:1], 0x48
	s_load_b512 s[8:23], s[0:1], 0x8
	s_wait_kmcnt 0x0
	v_cmp_eq_f64_e64 s2, s[26:27], 1.0
	v_cmp_eq_f64_e64 s3, s[28:29], 0
	s_and_b32 s2, s2, s3
	s_delay_alu instid0(SALU_CYCLE_1)
	s_and_not1_b32 vcc_lo, exec_lo, s2
	s_mov_b32 s2, -1
	s_cbranch_vccnz .LBB560_3
; %bb.1:
	s_cmp_lg_u64 s[8:9], 0
	s_cbranch_scc0 .LBB560_39
; %bb.2:
	v_cmp_neq_f64_e64 s2, s[10:11], 0
	v_cmp_neq_f64_e64 s4, s[12:13], 0
	s_or_b32 s2, s2, s4
.LBB560_3:
	s_delay_alu instid0(SALU_CYCLE_1)
	s_and_b32 vcc_lo, exec_lo, s2
	s_cbranch_vccz .LBB560_40
; %bb.4:
	s_load_b32 s33, s[0:1], 0x78
	s_bfe_u32 s2, ttmp6, 0x40014
	s_lshr_b32 s4, ttmp7, 16
	s_add_co_i32 s2, s2, 1
	s_bfe_u32 s6, ttmp6, 0x40008
	s_mul_i32 s5, s4, s2
	s_getreg_b32 s2, hwreg(HW_REG_IB_STS2, 6, 4)
	s_add_co_i32 s6, s6, s5
	s_cmp_eq_u32 s2, 0
	s_mov_b32 s35, 0
	s_cselect_b32 s34, s4, s6
	s_wait_kmcnt 0x0
	s_cmp_ge_u32 s34, s33
	s_cbranch_scc1 .LBB560_40
; %bb.5:
	s_clause 0x1
	s_load_b128 s[4:7], s[0:1], 0x68
	s_load_b32 s39, s[0:1], 0x0
	s_wait_xcnt 0x0
	s_bfe_u32 s1, ttmp6, 0x4000c
	s_bfe_u32 s40, ttmp6, 0x40010
	s_and_b32 s38, ttmp7, 0xffff
	s_add_co_i32 s1, s1, 1
	s_add_co_i32 s40, s40, 1
	v_and_b32_e32 v4, 0x3ff, v0
	v_bfe_u32 v5, v0, 10, 10
	s_and_b32 s0, ttmp6, 15
	s_bfe_u32 s41, ttmp6, 0x40004
	s_mul_i32 s1, ttmp9, s1
	s_mul_i32 s40, s38, s40
	s_add_co_i32 s0, s0, s1
	s_add_co_i32 s41, s41, s40
	s_cmp_eq_u32 s2, 0
	v_lshl_add_u32 v1, v5, 4, v4
	s_cselect_b32 s1, s38, s41
	s_cselect_b32 s0, ttmp9, s0
	s_lshl_b32 s1, s1, 5
	s_delay_alu instid0(VALU_DEP_1) | instskip(SKIP_4) | instid1(VALU_DEP_3)
	v_dual_lshrrev_b32 v9, 3, v1 :: v_dual_bitop2_b32 v6, 7, v0 bitop3:0x40
	v_dual_lshrrev_b32 v8, 5, v1 :: v_dual_bitop2_b32 v7, 31, v1 bitop3:0x40
	s_lshl_b32 s2, s0, 5
	v_add_nc_u32_e32 v0, s1, v5
	v_cmp_neq_f64_e64 s36, s[10:11], 0
	v_dual_add_nc_u32 v12, s1, v9 :: v_dual_bitop2_b32 v10, s2, v7 bitop3:0x54
	v_cmp_neq_f64_e64 s37, s[12:13], 0
	s_delay_alu instid0(VALU_DEP_4) | instskip(SKIP_2) | instid1(VALU_DEP_3)
	v_add_nc_u32_e32 v2, 16, v0
	v_cmp_neq_f64_e64 s40, s[26:27], 0
	v_dual_ashrrev_i32 v1, 31, v0 :: v_dual_lshlrev_b32 v11, 4, v6
	v_dual_lshlrev_b32 v7, 4, v7 :: v_dual_ashrrev_i32 v3, 31, v2
	v_add_nc_u32_e32 v18, s2, v4
	s_wait_kmcnt 0x0
	s_delay_alu instid0(VALU_DEP_3)
	v_mul_u64_e32 v[14:15], s[4:5], v[0:1]
	v_lshl_or_b32 v1, v9, 7, v11
	v_ashrrev_i32_e32 v11, 31, v10
	v_mul_u64_e32 v[16:17], s[4:5], v[2:3]
	v_dual_ashrrev_i32 v13, 31, v12 :: v_dual_add_nc_u32 v20, 16, v18
	v_cmp_gt_i32_e32 vcc_lo, s39, v0
	v_cmp_le_i32_e64 s2, v18, v0
	v_cmp_gt_i64_e64 s43, s[8:9], 0
	s_xor_b32 s3, s3, -1
	v_cmp_le_i32_e64 s4, v18, v2
	v_cmp_le_i32_e64 s5, v20, v2
	s_and_b32 s38, vcc_lo, s2
	v_cmp_le_i32_e64 s2, v20, v0
	v_cmp_gt_i32_e64 s0, s39, v10
	v_lshl_or_b32 v7, v8, 9, v7
	v_cmp_gt_i32_e64 s1, s39, v12
	v_add_nc_u32_e32 v9, 0x1000, v1
	v_dual_lshlrev_b32 v46, 4, v4 :: v_dual_ashrrev_i32 v19, 31, v18
	v_lshl_add_u32 v47, v5, 7, 0x1000
	v_dual_ashrrev_i32 v21, 31, v20 :: v_dual_mov_b32 v1, 0
	s_lshl_b64 s[6:7], s[6:7], 4
	s_or_b32 s42, s36, s37
	v_cmp_le_i32_e64 s36, s39, v10
	s_or_b32 s37, s40, s3
	v_cmp_gt_i32_e64 s3, s39, v2
	s_and_b32 s39, vcc_lo, s2
	s_and_b32 s42, s42, s43
                                        ; implicit-def: $vgpr22_vgpr23
	s_and_b32 s40, s3, s4
	s_and_b32 s41, s3, s5
	s_lshl_b64 s[2:3], s[24:25], 4
	s_lshl_b64 s[4:5], s[18:19], 4
	s_branch .LBB560_7
.LBB560_6:                              ;   in Loop: Header=BB560_7 Depth=1
	s_wait_xcnt 0x0
	s_or_b32 exec_lo, exec_lo, s18
	s_add_co_i32 s34, s34, 0x10000
	s_delay_alu instid0(SALU_CYCLE_1)
	s_cmp_lt_u32 s34, s33
	s_cbranch_scc0 .LBB560_40
.LBB560_7:                              ; =>This Loop Header: Depth=1
                                        ;     Child Loop BB560_10 Depth 2
	v_mov_b32_e32 v0, s34
	v_mov_b64_e32 v[42:43], 0
	s_and_not1_b32 vcc_lo, exec_lo, s42
	global_load_b64 v[24:25], v0, s[30:31] scale_offset
	s_cbranch_vccnz .LBB560_18
; %bb.8:                                ;   in Loop: Header=BB560_7 Depth=1
	s_lshl_b64 s[18:19], s[34:35], 3
	v_mov_b64_e32 v[26:27], 0
	s_add_nc_u64 s[24:25], s[14:15], s[18:19]
	s_add_nc_u64 s[18:19], s[20:21], s[18:19]
	s_clause 0x1
	global_load_b64 v[2:3], v1, s[24:25]
	global_load_b64 v[4:5], v1, s[18:19]
	v_mov_b64_e32 v[28:29], 0
	v_mov_b64_e32 v[36:37], 0
	;; [unrolled: 1-line block ×7, first 2 shown]
	s_wait_xcnt 0x0
	s_mov_b64 s[18:19], 0
	s_wait_loadcnt 0x1
	v_add_nc_u64_e32 v[2:3], s[4:5], v[2:3]
	s_wait_loadcnt 0x0
	v_add_nc_u64_e32 v[4:5], s[2:3], v[4:5]
	s_delay_alu instid0(VALU_DEP_2) | instskip(NEXT) | instid1(VALU_DEP_2)
	v_lshl_add_u64 v[30:31], v[10:11], 4, v[2:3]
	v_lshl_add_u64 v[32:33], v[12:13], 4, v[4:5]
	s_branch .LBB560_10
.LBB560_9:                              ;   in Loop: Header=BB560_10 Depth=2
	s_wait_xcnt 0x0
	s_or_b32 exec_lo, exec_lo, s24
	ds_store_b128 v9, v[2:5]
	s_wait_dscnt 0x0
	s_barrier_signal -1
	s_barrier_wait -1
	ds_load_b128 v[2:5], v47
	ds_load_b128 v[48:51], v46
	ds_load_b128 v[52:55], v46 offset:256
	ds_load_b128 v[56:59], v47 offset:2048
	;; [unrolled: 1-line block ×10, first 2 shown]
	s_add_nc_u64 s[18:19], s[18:19], 8
	s_delay_alu instid0(SALU_CYCLE_1)
	v_cmp_gt_i64_e64 s24, s[8:9], s[18:19]
	s_and_b32 vcc_lo, exec_lo, s24
	s_wait_dscnt 0xa
	v_mul_f64_e32 v[92:93], v[4:5], v[50:51]
	v_mul_f64_e32 v[94:95], v[2:3], v[50:51]
	s_wait_dscnt 0x9
	v_mul_f64_e32 v[96:97], v[4:5], v[54:55]
	v_mul_f64_e32 v[98:99], v[2:3], v[54:55]
	s_wait_dscnt 0x8
	v_mul_f64_e32 v[100:101], v[58:59], v[50:51]
	v_mul_f64_e32 v[102:103], v[56:57], v[50:51]
	v_mul_f64_e32 v[50:51], v[58:59], v[54:55]
	v_mul_f64_e32 v[104:105], v[56:57], v[54:55]
	s_wait_dscnt 0x6
	v_mul_f64_e32 v[106:107], v[62:63], v[66:67]
	v_mul_f64_e32 v[108:109], v[60:61], v[66:67]
	s_wait_dscnt 0x5
	v_mul_f64_e32 v[110:111], v[62:63], v[70:71]
	v_mul_f64_e32 v[112:113], v[60:61], v[70:71]
	s_wait_dscnt 0x4
	v_mul_f64_e32 v[114:115], v[74:75], v[66:67]
	v_mul_f64_e32 v[66:67], v[72:73], v[66:67]
	v_mul_f64_e32 v[116:117], v[74:75], v[70:71]
	v_mul_f64_e32 v[70:71], v[72:73], v[70:71]
	;; [unrolled: 11-line block ×3, first 2 shown]
	v_fma_f64 v[92:93], v[2:3], v[48:49], -v[92:93]
	v_fmac_f64_e32 v[94:95], v[4:5], v[48:49]
	v_fma_f64 v[96:97], v[2:3], v[52:53], -v[96:97]
	v_fmac_f64_e32 v[98:99], v[4:5], v[52:53]
	;; [unrolled: 2-line block ×8, first 2 shown]
	ds_load_b128 v[2:5], v47 offset:48
	ds_load_b128 v[48:51], v47 offset:2096
	;; [unrolled: 1-line block ×4, first 2 shown]
	v_fma_f64 v[120:121], v[76:77], v[80:81], -v[120:121]
	v_fmac_f64_e32 v[122:123], v[78:79], v[80:81]
	v_fma_f64 v[76:77], v[76:77], v[84:85], -v[124:125]
	v_fmac_f64_e32 v[126:127], v[78:79], v[84:85]
	;; [unrolled: 2-line block ×4, first 2 shown]
	v_add_f64_e32 v[68:69], v[42:43], v[92:93]
	v_add_f64_e32 v[72:73], v[94:95], v[44:45]
	;; [unrolled: 1-line block ×8, first 2 shown]
	s_wait_dscnt 0x1
	v_mul_f64_e32 v[102:103], v[4:5], v[54:55]
	v_mul_f64_e32 v[104:105], v[2:3], v[54:55]
	s_wait_dscnt 0x0
	v_mul_f64_e32 v[110:111], v[4:5], v[58:59]
	v_mul_f64_e32 v[114:115], v[2:3], v[58:59]
	;; [unrolled: 1-line block ×6, first 2 shown]
	ds_load_b128 v[26:29], v47 offset:64
	ds_load_b128 v[34:37], v46 offset:2048
	;; [unrolled: 1-line block ×4, first 2 shown]
	v_add_f64_e32 v[84:85], v[68:69], v[106:107]
	v_add_f64_e32 v[88:89], v[108:109], v[72:73]
	v_add_f64_e32 v[74:75], v[74:75], v[60:61]
	v_add_f64_e32 v[90:91], v[112:113], v[92:93]
	v_add_f64_e32 v[92:93], v[94:95], v[62:63]
	v_add_f64_e32 v[94:95], v[66:67], v[96:97]
	v_add_f64_e32 v[96:97], v[98:99], v[64:65]
	v_add_f64_e32 v[98:99], v[70:71], v[100:101]
	s_wait_dscnt 0x2
	v_mul_f64_e32 v[100:101], v[28:29], v[36:37]
	v_mul_f64_e32 v[106:107], v[26:27], v[36:37]
	s_wait_dscnt 0x1
	v_mul_f64_e32 v[108:109], v[28:29], v[40:41]
	v_mul_f64_e32 v[112:113], v[26:27], v[40:41]
	s_wait_dscnt 0x0
	v_mul_f64_e32 v[124:125], v[44:45], v[36:37]
	v_mul_f64_e32 v[128:129], v[42:43], v[36:37]
	v_mul_f64_e32 v[36:37], v[44:45], v[40:41]
	v_mul_f64_e32 v[130:131], v[42:43], v[40:41]
	v_fma_f64 v[40:41], v[2:3], v[52:53], -v[102:103]
	v_fmac_f64_e32 v[104:105], v[4:5], v[52:53]
	v_fma_f64 v[102:103], v[2:3], v[56:57], -v[110:111]
	v_fmac_f64_e32 v[114:115], v[4:5], v[56:57]
	;; [unrolled: 2-line block ×4, first 2 shown]
	ds_load_b128 v[58:61], v47 offset:80
	ds_load_b128 v[62:65], v47 offset:2128
	;; [unrolled: 1-line block ×4, first 2 shown]
	v_add_f64_e32 v[56:57], v[84:85], v[120:121]
	v_add_f64_e32 v[84:85], v[122:123], v[88:89]
	v_add_f64_e32 v[88:89], v[74:75], v[76:77]
	v_add_f64_e32 v[90:91], v[126:127], v[90:91]
	v_add_f64_e32 v[78:79], v[92:93], v[78:79]
	v_add_f64_e32 v[82:83], v[82:83], v[94:95]
	v_add_f64_e32 v[80:81], v[96:97], v[80:81]
	v_add_f64_e32 v[86:87], v[86:87], v[98:99]
	v_fma_f64 v[100:101], v[26:27], v[34:35], -v[100:101]
	v_fmac_f64_e32 v[106:107], v[28:29], v[34:35]
	v_fma_f64 v[108:109], v[26:27], v[38:39], -v[108:109]
	s_wait_dscnt 0x1
	v_mul_f64_e32 v[92:93], v[60:61], v[68:69]
	v_mul_f64_e32 v[94:95], v[58:59], v[68:69]
	s_wait_dscnt 0x0
	v_mul_f64_e32 v[96:97], v[60:61], v[72:73]
	v_mul_f64_e32 v[98:99], v[58:59], v[72:73]
	;; [unrolled: 1-line block ×6, first 2 shown]
	v_fmac_f64_e32 v[112:113], v[28:29], v[38:39]
	v_fma_f64 v[124:125], v[42:43], v[34:35], -v[124:125]
	v_fmac_f64_e32 v[128:129], v[44:45], v[34:35]
	v_fma_f64 v[126:127], v[42:43], v[38:39], -v[36:37]
	v_fmac_f64_e32 v[130:131], v[44:45], v[38:39]
	ds_load_b128 v[2:5], v47 offset:96
	ds_load_b128 v[48:51], v46 offset:3072
	;; [unrolled: 1-line block ×4, first 2 shown]
	v_add_f64_e32 v[56:57], v[56:57], v[40:41]
	v_add_f64_e32 v[84:85], v[104:105], v[84:85]
	;; [unrolled: 1-line block ×8, first 2 shown]
	ds_load_b128 v[26:29], v47 offset:112
	ds_load_b128 v[34:37], v47 offset:2160
	;; [unrolled: 1-line block ×4, first 2 shown]
	s_wait_dscnt 0x0
	v_mul_f64_e32 v[102:103], v[4:5], v[50:51]
	v_mul_f64_e32 v[104:105], v[2:3], v[50:51]
	;; [unrolled: 1-line block ×8, first 2 shown]
	v_fma_f64 v[92:93], v[58:59], v[66:67], -v[92:93]
	v_fmac_f64_e32 v[94:95], v[60:61], v[66:67]
	v_fma_f64 v[58:59], v[58:59], v[70:71], -v[96:97]
	v_fmac_f64_e32 v[98:99], v[60:61], v[70:71]
	;; [unrolled: 2-line block ×4, first 2 shown]
	s_barrier_signal -1
	s_barrier_wait -1
	v_mul_f64_e32 v[96:97], v[26:27], v[44:45]
	v_add_f64_e32 v[56:57], v[56:57], v[100:101]
	v_add_f64_e32 v[64:65], v[106:107], v[84:85]
	v_add_f64_e32 v[66:67], v[88:89], v[108:109]
	v_add_f64_e32 v[70:71], v[112:113], v[90:91]
	v_add_f64_e32 v[78:79], v[78:79], v[124:125]
	v_add_f64_e32 v[82:83], v[128:129], v[82:83]
	v_add_f64_e32 v[80:81], v[80:81], v[126:127]
	v_add_f64_e32 v[84:85], v[130:131], v[86:87]
	v_mul_f64_e32 v[86:87], v[28:29], v[40:41]
	v_mul_f64_e32 v[88:89], v[26:27], v[40:41]
	;; [unrolled: 1-line block ×7, first 2 shown]
	v_fma_f64 v[44:45], v[2:3], v[48:49], -v[102:103]
	v_fmac_f64_e32 v[104:105], v[4:5], v[48:49]
	v_fma_f64 v[2:3], v[2:3], v[52:53], -v[110:111]
	v_fmac_f64_e32 v[114:115], v[4:5], v[52:53]
	v_fma_f64 v[4:5], v[74:75], v[48:49], -v[116:117]
	v_fmac_f64_e32 v[50:51], v[76:77], v[48:49]
	v_fma_f64 v[48:49], v[74:75], v[52:53], -v[118:119]
	v_fmac_f64_e32 v[54:55], v[76:77], v[52:53]
	v_fmac_f64_e32 v[96:97], v[28:29], v[42:43]
	v_add_f64_e32 v[52:53], v[56:57], v[92:93]
	v_add_f64_e32 v[56:57], v[94:95], v[64:65]
	;; [unrolled: 1-line block ×8, first 2 shown]
	v_fma_f64 v[70:71], v[26:27], v[38:39], -v[86:87]
	v_fmac_f64_e32 v[88:89], v[28:29], v[38:39]
	v_fma_f64 v[26:27], v[26:27], v[42:43], -v[90:91]
	v_fma_f64 v[28:29], v[34:35], v[38:39], -v[100:101]
	v_fmac_f64_e32 v[106:107], v[36:37], v[38:39]
	v_fma_f64 v[72:73], v[34:35], v[42:43], -v[40:41]
	v_fmac_f64_e32 v[108:109], v[36:37], v[42:43]
	v_add_f64_e32 v[34:35], v[52:53], v[44:45]
	v_add_f64_e32 v[36:37], v[104:105], v[56:57]
	;; [unrolled: 1-line block ×16, first 2 shown]
	s_cbranch_vccz .LBB560_19
.LBB560_10:                             ;   Parent Loop BB560_7 Depth=1
                                        ; =>  This Inner Loop Header: Depth=2
	s_mov_b32 s24, 0
	s_mov_b32 s43, s36
	s_and_saveexec_b32 s25, s0
	s_cbranch_execnz .LBB560_16
; %bb.11:                               ;   in Loop: Header=BB560_10 Depth=2
	s_or_b32 exec_lo, exec_lo, s25
	s_and_saveexec_b32 s25, s43
	s_delay_alu instid0(SALU_CYCLE_1)
	s_xor_b32 s25, exec_lo, s25
	s_cbranch_execnz .LBB560_17
.LBB560_12:                             ;   in Loop: Header=BB560_10 Depth=2
	s_or_b32 exec_lo, exec_lo, s25
	s_and_saveexec_b32 s25, s24
	s_cbranch_execz .LBB560_14
.LBB560_13:                             ;   in Loop: Header=BB560_10 Depth=2
	v_mul_u64_e32 v[2:3], s[16:17], v[22:23]
	s_delay_alu instid0(VALU_DEP_1)
	v_lshl_add_u64 v[2:3], v[2:3], 4, v[30:31]
	flat_load_b128 v[2:5], v[2:3]
	s_wait_loadcnt_dscnt 0x0
	ds_store_2addr_b64 v7, v[2:3], v[4:5] offset1:1
.LBB560_14:                             ;   in Loop: Header=BB560_10 Depth=2
	s_wait_xcnt 0x0
	s_or_b32 exec_lo, exec_lo, s25
	v_add_nc_u32_e32 v0, s18, v6
	v_mov_b64_e32 v[2:3], 0
	v_mov_b64_e32 v[4:5], 0
	s_delay_alu instid0(VALU_DEP_3) | instskip(SKIP_1) | instid1(SALU_CYCLE_1)
	v_cmp_gt_u64_e32 vcc_lo, s[8:9], v[0:1]
	s_and_b32 s25, vcc_lo, s1
	s_and_saveexec_b32 s24, s25
	s_cbranch_execz .LBB560_9
; %bb.15:                               ;   in Loop: Header=BB560_10 Depth=2
	v_mul_u64_e32 v[2:3], s[22:23], v[0:1]
	s_delay_alu instid0(VALU_DEP_1)
	v_lshl_add_u64 v[2:3], v[2:3], 4, v[32:33]
	flat_load_b128 v[2:5], v[2:3]
	s_wait_loadcnt_dscnt 0x0
	v_xor_b32_e32 v5, 0x80000000, v5
	s_branch .LBB560_9
.LBB560_16:                             ;   in Loop: Header=BB560_10 Depth=2
	v_add_nc_u32_e32 v0, s18, v8
	s_and_not1_b32 s43, s36, exec_lo
	s_mov_b32 s24, exec_lo
	s_delay_alu instid0(VALU_DEP_1) | instskip(SKIP_2) | instid1(SALU_CYCLE_1)
	v_cmp_le_u64_e32 vcc_lo, s[8:9], v[0:1]
	v_mov_b64_e32 v[22:23], v[0:1]
	s_and_b32 s44, vcc_lo, exec_lo
	s_or_b32 s43, s43, s44
	s_or_b32 exec_lo, exec_lo, s25
	s_and_saveexec_b32 s25, s43
	s_delay_alu instid0(SALU_CYCLE_1)
	s_xor_b32 s25, exec_lo, s25
	s_cbranch_execz .LBB560_12
.LBB560_17:                             ;   in Loop: Header=BB560_10 Depth=2
	v_dual_mov_b32 v0, v1 :: v_dual_mov_b32 v2, v1
	v_mov_b32_e32 v3, v1
	s_and_not1_b32 s24, s24, exec_lo
	ds_store_b128 v7, v[0:3]
	s_or_b32 exec_lo, exec_lo, s25
	s_and_saveexec_b32 s25, s24
	s_cbranch_execnz .LBB560_13
	s_branch .LBB560_14
.LBB560_18:                             ;   in Loop: Header=BB560_7 Depth=1
	v_mov_b64_e32 v[44:45], 0
	v_mov_b64_e32 v[38:39], 0
	;; [unrolled: 1-line block ×7, first 2 shown]
.LBB560_19:                             ;   in Loop: Header=BB560_7 Depth=1
	s_wait_loadcnt 0x0
	v_add_nc_u64_e32 v[24:25], s[6:7], v[24:25]
	s_delay_alu instid0(VALU_DEP_1)
	v_lshl_add_u64 v[30:31], v[14:15], 4, v[24:25]
	s_wait_xcnt 0x0
	s_and_saveexec_b32 s18, s38
	s_cbranch_execz .LBB560_24
; %bb.20:                               ;   in Loop: Header=BB560_7 Depth=1
	v_mul_f64_e32 v[2:3], s[12:13], v[44:45]
	v_mul_f64_e32 v[4:5], s[10:11], v[44:45]
	v_lshl_add_u64 v[32:33], v[18:19], 4, v[30:31]
	s_and_b32 vcc_lo, exec_lo, s37
	s_mov_b32 s19, -1
	s_delay_alu instid0(VALU_DEP_3) | instskip(NEXT) | instid1(VALU_DEP_3)
	v_fma_f64 v[2:3], s[10:11], v[42:43], -v[2:3]
	v_fmac_f64_e32 v[4:5], s[12:13], v[42:43]
	s_cbranch_vccz .LBB560_22
; %bb.21:                               ;   in Loop: Header=BB560_7 Depth=1
	flat_load_b128 v[42:45], v[32:33]
	s_mov_b32 s19, 0
	s_wait_loadcnt_dscnt 0x0
	v_mul_f64_e32 v[48:49], s[28:29], v[44:45]
	v_mul_f64_e32 v[44:45], s[26:27], v[44:45]
	s_delay_alu instid0(VALU_DEP_2) | instskip(NEXT) | instid1(VALU_DEP_2)
	v_fma_f64 v[48:49], s[26:27], v[42:43], -v[48:49]
	v_fmac_f64_e32 v[44:45], s[28:29], v[42:43]
	s_delay_alu instid0(VALU_DEP_2) | instskip(NEXT) | instid1(VALU_DEP_2)
	v_add_f64_e32 v[42:43], v[2:3], v[48:49]
	v_add_f64_e32 v[44:45], v[4:5], v[44:45]
	flat_store_b128 v[32:33], v[42:45]
.LBB560_22:                             ;   in Loop: Header=BB560_7 Depth=1
	s_and_not1_b32 vcc_lo, exec_lo, s19
	s_cbranch_vccnz .LBB560_24
; %bb.23:                               ;   in Loop: Header=BB560_7 Depth=1
	flat_store_b128 v[32:33], v[2:5]
.LBB560_24:                             ;   in Loop: Header=BB560_7 Depth=1
	s_wait_xcnt 0x0
	s_or_b32 exec_lo, exec_lo, s18
	s_and_saveexec_b32 s18, s39
	s_cbranch_execz .LBB560_29
; %bb.25:                               ;   in Loop: Header=BB560_7 Depth=1
	v_mul_f64_e32 v[2:3], s[12:13], v[40:41]
	v_mul_f64_e32 v[4:5], s[10:11], v[40:41]
	v_lshl_add_u64 v[30:31], v[20:21], 4, v[30:31]
	s_and_not1_b32 vcc_lo, exec_lo, s37
	s_mov_b32 s19, -1
	s_delay_alu instid0(VALU_DEP_3) | instskip(NEXT) | instid1(VALU_DEP_3)
	v_fma_f64 v[2:3], s[10:11], v[38:39], -v[2:3]
	v_fmac_f64_e32 v[4:5], s[12:13], v[38:39]
	s_cbranch_vccnz .LBB560_27
; %bb.26:                               ;   in Loop: Header=BB560_7 Depth=1
	flat_load_b128 v[38:41], v[30:31]
	s_mov_b32 s19, 0
	s_wait_loadcnt_dscnt 0x0
	v_mul_f64_e32 v[32:33], s[28:29], v[40:41]
	v_mul_f64_e32 v[40:41], s[26:27], v[40:41]
	s_delay_alu instid0(VALU_DEP_2) | instskip(NEXT) | instid1(VALU_DEP_2)
	v_fma_f64 v[32:33], s[26:27], v[38:39], -v[32:33]
	v_fmac_f64_e32 v[40:41], s[28:29], v[38:39]
	s_delay_alu instid0(VALU_DEP_2) | instskip(NEXT) | instid1(VALU_DEP_2)
	v_add_f64_e32 v[38:39], v[2:3], v[32:33]
	v_add_f64_e32 v[40:41], v[4:5], v[40:41]
	flat_store_b128 v[30:31], v[38:41]
.LBB560_27:                             ;   in Loop: Header=BB560_7 Depth=1
	s_and_not1_b32 vcc_lo, exec_lo, s19
	s_cbranch_vccnz .LBB560_29
; %bb.28:                               ;   in Loop: Header=BB560_7 Depth=1
	flat_store_b128 v[30:31], v[2:5]
.LBB560_29:                             ;   in Loop: Header=BB560_7 Depth=1
	s_wait_xcnt 0x0
	s_or_b32 exec_lo, exec_lo, s18
	v_lshl_add_u64 v[24:25], v[16:17], 4, v[24:25]
	s_and_saveexec_b32 s18, s40
	s_cbranch_execz .LBB560_34
; %bb.30:                               ;   in Loop: Header=BB560_7 Depth=1
	v_mul_f64_e32 v[2:3], s[12:13], v[36:37]
	v_mul_f64_e32 v[4:5], s[10:11], v[36:37]
	v_lshl_add_u64 v[30:31], v[18:19], 4, v[24:25]
	s_and_not1_b32 vcc_lo, exec_lo, s37
	s_mov_b32 s19, -1
	s_delay_alu instid0(VALU_DEP_3) | instskip(NEXT) | instid1(VALU_DEP_3)
	v_fma_f64 v[2:3], s[10:11], v[34:35], -v[2:3]
	v_fmac_f64_e32 v[4:5], s[12:13], v[34:35]
	s_cbranch_vccnz .LBB560_32
; %bb.31:                               ;   in Loop: Header=BB560_7 Depth=1
	flat_load_b128 v[32:35], v[30:31]
	s_mov_b32 s19, 0
	s_wait_loadcnt_dscnt 0x0
	v_mul_f64_e32 v[36:37], s[28:29], v[34:35]
	v_mul_f64_e32 v[34:35], s[26:27], v[34:35]
	s_delay_alu instid0(VALU_DEP_2) | instskip(NEXT) | instid1(VALU_DEP_2)
	v_fma_f64 v[36:37], s[26:27], v[32:33], -v[36:37]
	v_fmac_f64_e32 v[34:35], s[28:29], v[32:33]
	s_delay_alu instid0(VALU_DEP_2) | instskip(NEXT) | instid1(VALU_DEP_2)
	v_add_f64_e32 v[32:33], v[2:3], v[36:37]
	v_add_f64_e32 v[34:35], v[4:5], v[34:35]
	flat_store_b128 v[30:31], v[32:35]
.LBB560_32:                             ;   in Loop: Header=BB560_7 Depth=1
	s_and_not1_b32 vcc_lo, exec_lo, s19
	s_cbranch_vccnz .LBB560_34
; %bb.33:                               ;   in Loop: Header=BB560_7 Depth=1
	flat_store_b128 v[30:31], v[2:5]
.LBB560_34:                             ;   in Loop: Header=BB560_7 Depth=1
	s_wait_xcnt 0x0
	s_or_b32 exec_lo, exec_lo, s18
	s_and_saveexec_b32 s18, s41
	s_cbranch_execz .LBB560_6
; %bb.35:                               ;   in Loop: Header=BB560_7 Depth=1
	s_delay_alu instid0(VALU_DEP_4) | instskip(SKIP_4) | instid1(VALU_DEP_3)
	v_mul_f64_e32 v[2:3], s[12:13], v[26:27]
	v_mul_f64_e32 v[4:5], s[10:11], v[26:27]
	v_lshl_add_u64 v[24:25], v[20:21], 4, v[24:25]
	s_and_not1_b32 vcc_lo, exec_lo, s37
	s_mov_b32 s19, -1
	v_fma_f64 v[2:3], s[10:11], v[28:29], -v[2:3]
	s_delay_alu instid0(VALU_DEP_3)
	v_fmac_f64_e32 v[4:5], s[12:13], v[28:29]
	s_cbranch_vccnz .LBB560_37
; %bb.36:                               ;   in Loop: Header=BB560_7 Depth=1
	flat_load_b128 v[26:29], v[24:25]
	s_mov_b32 s19, 0
	s_wait_loadcnt_dscnt 0x0
	v_mul_f64_e32 v[30:31], s[28:29], v[28:29]
	v_mul_f64_e32 v[28:29], s[26:27], v[28:29]
	s_delay_alu instid0(VALU_DEP_2) | instskip(NEXT) | instid1(VALU_DEP_2)
	v_fma_f64 v[30:31], s[26:27], v[26:27], -v[30:31]
	v_fmac_f64_e32 v[28:29], s[28:29], v[26:27]
	s_delay_alu instid0(VALU_DEP_2) | instskip(NEXT) | instid1(VALU_DEP_2)
	v_add_f64_e32 v[26:27], v[2:3], v[30:31]
	v_add_f64_e32 v[28:29], v[4:5], v[28:29]
	flat_store_b128 v[24:25], v[26:29]
.LBB560_37:                             ;   in Loop: Header=BB560_7 Depth=1
	s_and_not1_b32 vcc_lo, exec_lo, s19
	s_cbranch_vccnz .LBB560_6
; %bb.38:                               ;   in Loop: Header=BB560_7 Depth=1
	flat_store_b128 v[24:25], v[2:5]
	s_branch .LBB560_6
.LBB560_39:
.LBB560_40:
	s_sendmsg sendmsg(MSG_DEALLOC_VGPRS)
	s_endpgm
	.section	.rodata,"a",@progbits
	.p2align	6, 0x0
	.amdhsa_kernel _ZL29rocblas_internal_gemmt_kernelIlLi16ELi32ELi8ELc78ELc67ELc85ELb0ELb1E19rocblas_complex_numIdES1_PKPKS1_PKPS1_EviT_T9_T10_S9_lSB_S9_lSA_T11_S9_li
		.amdhsa_group_segment_fixed_size 8192
		.amdhsa_private_segment_fixed_size 0
		.amdhsa_kernarg_size 124
		.amdhsa_user_sgpr_count 2
		.amdhsa_user_sgpr_dispatch_ptr 0
		.amdhsa_user_sgpr_queue_ptr 0
		.amdhsa_user_sgpr_kernarg_segment_ptr 1
		.amdhsa_user_sgpr_dispatch_id 0
		.amdhsa_user_sgpr_kernarg_preload_length 0
		.amdhsa_user_sgpr_kernarg_preload_offset 0
		.amdhsa_user_sgpr_private_segment_size 0
		.amdhsa_wavefront_size32 1
		.amdhsa_uses_dynamic_stack 0
		.amdhsa_enable_private_segment 0
		.amdhsa_system_sgpr_workgroup_id_x 1
		.amdhsa_system_sgpr_workgroup_id_y 1
		.amdhsa_system_sgpr_workgroup_id_z 1
		.amdhsa_system_sgpr_workgroup_info 0
		.amdhsa_system_vgpr_workitem_id 1
		.amdhsa_next_free_vgpr 134
		.amdhsa_next_free_sgpr 45
		.amdhsa_named_barrier_count 0
		.amdhsa_reserve_vcc 1
		.amdhsa_float_round_mode_32 0
		.amdhsa_float_round_mode_16_64 0
		.amdhsa_float_denorm_mode_32 3
		.amdhsa_float_denorm_mode_16_64 3
		.amdhsa_fp16_overflow 0
		.amdhsa_memory_ordered 1
		.amdhsa_forward_progress 1
		.amdhsa_inst_pref_size 24
		.amdhsa_round_robin_scheduling 0
		.amdhsa_exception_fp_ieee_invalid_op 0
		.amdhsa_exception_fp_denorm_src 0
		.amdhsa_exception_fp_ieee_div_zero 0
		.amdhsa_exception_fp_ieee_overflow 0
		.amdhsa_exception_fp_ieee_underflow 0
		.amdhsa_exception_fp_ieee_inexact 0
		.amdhsa_exception_int_div_zero 0
	.end_amdhsa_kernel
	.section	.text._ZL29rocblas_internal_gemmt_kernelIlLi16ELi32ELi8ELc78ELc67ELc85ELb0ELb1E19rocblas_complex_numIdES1_PKPKS1_PKPS1_EviT_T9_T10_S9_lSB_S9_lSA_T11_S9_li,"axG",@progbits,_ZL29rocblas_internal_gemmt_kernelIlLi16ELi32ELi8ELc78ELc67ELc85ELb0ELb1E19rocblas_complex_numIdES1_PKPKS1_PKPS1_EviT_T9_T10_S9_lSB_S9_lSA_T11_S9_li,comdat
.Lfunc_end560:
	.size	_ZL29rocblas_internal_gemmt_kernelIlLi16ELi32ELi8ELc78ELc67ELc85ELb0ELb1E19rocblas_complex_numIdES1_PKPKS1_PKPS1_EviT_T9_T10_S9_lSB_S9_lSA_T11_S9_li, .Lfunc_end560-_ZL29rocblas_internal_gemmt_kernelIlLi16ELi32ELi8ELc78ELc67ELc85ELb0ELb1E19rocblas_complex_numIdES1_PKPKS1_PKPS1_EviT_T9_T10_S9_lSB_S9_lSA_T11_S9_li
                                        ; -- End function
	.set _ZL29rocblas_internal_gemmt_kernelIlLi16ELi32ELi8ELc78ELc67ELc85ELb0ELb1E19rocblas_complex_numIdES1_PKPKS1_PKPS1_EviT_T9_T10_S9_lSB_S9_lSA_T11_S9_li.num_vgpr, 134
	.set _ZL29rocblas_internal_gemmt_kernelIlLi16ELi32ELi8ELc78ELc67ELc85ELb0ELb1E19rocblas_complex_numIdES1_PKPKS1_PKPS1_EviT_T9_T10_S9_lSB_S9_lSA_T11_S9_li.num_agpr, 0
	.set _ZL29rocblas_internal_gemmt_kernelIlLi16ELi32ELi8ELc78ELc67ELc85ELb0ELb1E19rocblas_complex_numIdES1_PKPKS1_PKPS1_EviT_T9_T10_S9_lSB_S9_lSA_T11_S9_li.numbered_sgpr, 45
	.set _ZL29rocblas_internal_gemmt_kernelIlLi16ELi32ELi8ELc78ELc67ELc85ELb0ELb1E19rocblas_complex_numIdES1_PKPKS1_PKPS1_EviT_T9_T10_S9_lSB_S9_lSA_T11_S9_li.num_named_barrier, 0
	.set _ZL29rocblas_internal_gemmt_kernelIlLi16ELi32ELi8ELc78ELc67ELc85ELb0ELb1E19rocblas_complex_numIdES1_PKPKS1_PKPS1_EviT_T9_T10_S9_lSB_S9_lSA_T11_S9_li.private_seg_size, 0
	.set _ZL29rocblas_internal_gemmt_kernelIlLi16ELi32ELi8ELc78ELc67ELc85ELb0ELb1E19rocblas_complex_numIdES1_PKPKS1_PKPS1_EviT_T9_T10_S9_lSB_S9_lSA_T11_S9_li.uses_vcc, 1
	.set _ZL29rocblas_internal_gemmt_kernelIlLi16ELi32ELi8ELc78ELc67ELc85ELb0ELb1E19rocblas_complex_numIdES1_PKPKS1_PKPS1_EviT_T9_T10_S9_lSB_S9_lSA_T11_S9_li.uses_flat_scratch, 0
	.set _ZL29rocblas_internal_gemmt_kernelIlLi16ELi32ELi8ELc78ELc67ELc85ELb0ELb1E19rocblas_complex_numIdES1_PKPKS1_PKPS1_EviT_T9_T10_S9_lSB_S9_lSA_T11_S9_li.has_dyn_sized_stack, 0
	.set _ZL29rocblas_internal_gemmt_kernelIlLi16ELi32ELi8ELc78ELc67ELc85ELb0ELb1E19rocblas_complex_numIdES1_PKPKS1_PKPS1_EviT_T9_T10_S9_lSB_S9_lSA_T11_S9_li.has_recursion, 0
	.set _ZL29rocblas_internal_gemmt_kernelIlLi16ELi32ELi8ELc78ELc67ELc85ELb0ELb1E19rocblas_complex_numIdES1_PKPKS1_PKPS1_EviT_T9_T10_S9_lSB_S9_lSA_T11_S9_li.has_indirect_call, 0
	.section	.AMDGPU.csdata,"",@progbits
; Kernel info:
; codeLenInByte = 3000
; TotalNumSgprs: 47
; NumVgprs: 134
; ScratchSize: 0
; MemoryBound: 1
; FloatMode: 240
; IeeeMode: 1
; LDSByteSize: 8192 bytes/workgroup (compile time only)
; SGPRBlocks: 0
; VGPRBlocks: 8
; NumSGPRsForWavesPerEU: 47
; NumVGPRsForWavesPerEU: 134
; NamedBarCnt: 0
; Occupancy: 7
; WaveLimiterHint : 1
; COMPUTE_PGM_RSRC2:SCRATCH_EN: 0
; COMPUTE_PGM_RSRC2:USER_SGPR: 2
; COMPUTE_PGM_RSRC2:TRAP_HANDLER: 0
; COMPUTE_PGM_RSRC2:TGID_X_EN: 1
; COMPUTE_PGM_RSRC2:TGID_Y_EN: 1
; COMPUTE_PGM_RSRC2:TGID_Z_EN: 1
; COMPUTE_PGM_RSRC2:TIDIG_COMP_CNT: 1
	.section	.text._ZL29rocblas_internal_gemmt_kernelIlLi16ELi32ELi8ELc84ELc78ELc85ELb0ELb0E19rocblas_complex_numIdES1_PKPKS1_PKPS1_EviT_T9_T10_S9_lSB_S9_lSA_T11_S9_li,"axG",@progbits,_ZL29rocblas_internal_gemmt_kernelIlLi16ELi32ELi8ELc84ELc78ELc85ELb0ELb0E19rocblas_complex_numIdES1_PKPKS1_PKPS1_EviT_T9_T10_S9_lSB_S9_lSA_T11_S9_li,comdat
	.globl	_ZL29rocblas_internal_gemmt_kernelIlLi16ELi32ELi8ELc84ELc78ELc85ELb0ELb0E19rocblas_complex_numIdES1_PKPKS1_PKPS1_EviT_T9_T10_S9_lSB_S9_lSA_T11_S9_li ; -- Begin function _ZL29rocblas_internal_gemmt_kernelIlLi16ELi32ELi8ELc84ELc78ELc85ELb0ELb0E19rocblas_complex_numIdES1_PKPKS1_PKPS1_EviT_T9_T10_S9_lSB_S9_lSA_T11_S9_li
	.p2align	8
	.type	_ZL29rocblas_internal_gemmt_kernelIlLi16ELi32ELi8ELc84ELc78ELc85ELb0ELb0E19rocblas_complex_numIdES1_PKPKS1_PKPS1_EviT_T9_T10_S9_lSB_S9_lSA_T11_S9_li,@function
_ZL29rocblas_internal_gemmt_kernelIlLi16ELi32ELi8ELc84ELc78ELc85ELb0ELb0E19rocblas_complex_numIdES1_PKPKS1_PKPS1_EviT_T9_T10_S9_lSB_S9_lSA_T11_S9_li: ; @_ZL29rocblas_internal_gemmt_kernelIlLi16ELi32ELi8ELc84ELc78ELc85ELb0ELb0E19rocblas_complex_numIdES1_PKPKS1_PKPS1_EviT_T9_T10_S9_lSB_S9_lSA_T11_S9_li
; %bb.0:
	s_clause 0x1
	s_load_b256 s[24:31], s[0:1], 0x48
	s_load_b512 s[8:23], s[0:1], 0x8
	s_wait_kmcnt 0x0
	v_cmp_eq_f64_e64 s2, s[26:27], 1.0
	v_cmp_eq_f64_e64 s3, s[28:29], 0
	s_and_b32 s2, s2, s3
	s_delay_alu instid0(SALU_CYCLE_1)
	s_and_not1_b32 vcc_lo, exec_lo, s2
	s_mov_b32 s2, -1
	s_cbranch_vccnz .LBB561_3
; %bb.1:
	s_cmp_lg_u64 s[8:9], 0
	s_cbranch_scc0 .LBB561_41
; %bb.2:
	v_cmp_neq_f64_e64 s2, s[10:11], 0
	v_cmp_neq_f64_e64 s4, s[12:13], 0
	s_or_b32 s2, s2, s4
.LBB561_3:
	s_delay_alu instid0(SALU_CYCLE_1)
	s_and_b32 vcc_lo, exec_lo, s2
	s_cbranch_vccz .LBB561_42
; %bb.4:
	s_load_b32 s33, s[0:1], 0x78
	s_bfe_u32 s2, ttmp6, 0x40014
	s_lshr_b32 s4, ttmp7, 16
	s_add_co_i32 s2, s2, 1
	s_bfe_u32 s6, ttmp6, 0x40008
	s_mul_i32 s5, s4, s2
	s_getreg_b32 s2, hwreg(HW_REG_IB_STS2, 6, 4)
	s_add_co_i32 s6, s6, s5
	s_cmp_eq_u32 s2, 0
	s_mov_b32 s35, 0
	s_cselect_b32 s34, s4, s6
	s_wait_kmcnt 0x0
	s_cmp_ge_u32 s34, s33
	s_cbranch_scc1 .LBB561_42
; %bb.5:
	v_and_b32_e32 v19, 0x3ff, v0
	v_bfe_u32 v21, v0, 10, 10
	s_clause 0x1
	s_load_b128 s[4:7], s[0:1], 0x68
	s_load_b32 s38, s[0:1], 0x0
	s_wait_xcnt 0x0
	s_bfe_u32 s1, ttmp6, 0x4000c
	s_bfe_u32 s40, ttmp6, 0x40010
	s_and_b32 s39, ttmp7, 0xffff
	s_add_co_i32 s1, s1, 1
	s_add_co_i32 s40, s40, 1
	v_lshl_add_u32 v1, v21, 4, v19
	s_and_b32 s0, ttmp6, 15
	s_bfe_u32 s41, ttmp6, 0x40004
	s_mul_i32 s1, ttmp9, s1
	s_mul_i32 s40, s39, s40
	s_add_co_i32 s0, s0, s1
	s_add_co_i32 s41, s41, s40
	s_cmp_eq_u32 s2, 0
	v_dual_lshrrev_b32 v8, 5, v1 :: v_dual_bitop2_b32 v3, 31, v1 bitop3:0x40
	s_cselect_b32 s1, s39, s41
	s_cselect_b32 s0, ttmp9, s0
	v_dual_lshrrev_b32 v7, 3, v1 :: v_dual_bitop2_b32 v6, 7, v0 bitop3:0x40
	s_lshl_b32 s2, s0, 5
	s_lshl_b32 s0, s1, 5
	s_delay_alu instid0(SALU_CYCLE_1) | instskip(NEXT) | instid1(VALU_DEP_2)
	v_dual_add_nc_u32 v2, s0, v21 :: v_dual_bitop2_b32 v0, s2, v3 bitop3:0x54
	v_add_nc_u32_e32 v4, s0, v7
	v_cmp_neq_f64_e64 s36, s[10:11], 0
	v_cmp_neq_f64_e64 s37, s[12:13], 0
	;; [unrolled: 1-line block ×3, first 2 shown]
	v_dual_add_nc_u32 v22, 16, v2 :: v_dual_lshlrev_b32 v9, 4, v3
	v_ashrrev_i32_e32 v1, 31, v0
	v_dual_ashrrev_i32 v5, 31, v4 :: v_dual_ashrrev_i32 v3, 31, v2
	s_delay_alu instid0(VALU_DEP_3) | instskip(SKIP_1) | instid1(VALU_DEP_4)
	v_ashrrev_i32_e32 v23, 31, v22
	v_dual_lshlrev_b32 v18, 4, v6 :: v_dual_lshlrev_b32 v44, 4, v19
	v_mul_u64_e32 v[10:11], s[16:17], v[0:1]
	s_delay_alu instid0(VALU_DEP_4)
	v_mul_u64_e32 v[12:13], s[22:23], v[4:5]
	s_wait_kmcnt 0x0
	v_mul_u64_e32 v[14:15], s[4:5], v[2:3]
	v_lshl_or_b32 v1, v7, 7, v18
	v_add_nc_u32_e32 v18, s2, v19
	v_mul_u64_e32 v[16:17], s[4:5], v[22:23]
	v_cmp_gt_i32_e64 s1, s38, v2
	v_cmp_gt_i64_e64 s42, s[8:9], 0
	s_xor_b32 s3, s3, -1
	v_cmp_le_i32_e64 s2, v18, v2
	v_dual_add_nc_u32 v20, 16, v18 :: v_dual_ashrrev_i32 v19, 31, v18
	v_cmp_gt_i32_e32 vcc_lo, s38, v4
	v_cmp_le_i32_e64 s4, v18, v22
	v_cmp_gt_i32_e64 s0, s38, v0
	s_delay_alu instid0(VALU_DEP_4)
	v_cmp_le_i32_e64 s5, v20, v22
	v_cmp_le_i32_e64 s22, s38, v0
	v_lshl_or_b32 v7, v8, 9, v9
	v_add_nc_u32_e32 v9, 0x1000, v1
	v_lshl_add_u32 v45, v21, 7, 0x1000
	v_dual_ashrrev_i32 v21, 31, v20 :: v_dual_mov_b32 v1, 0
	s_or_b32 s39, s36, s37
	s_or_b32 s23, s40, s3
	s_and_b32 s36, s1, s2
	v_cmp_le_i32_e64 s2, v20, v2
	v_cmp_gt_i32_e64 s3, s38, v22
	s_and_b32 s39, s39, s42
	s_lshl_b64 s[6:7], s[6:7], 4
                                        ; implicit-def: $vgpr22_vgpr23
	s_and_b32 s1, s1, s2
	s_and_b32 s37, s3, s4
	;; [unrolled: 1-line block ×3, first 2 shown]
	s_lshl_b64 s[2:3], s[24:25], 4
	s_lshl_b64 s[4:5], s[18:19], 4
	s_xor_b32 s18, vcc_lo, -1
	s_branch .LBB561_7
.LBB561_6:                              ;   in Loop: Header=BB561_7 Depth=1
	s_wait_xcnt 0x0
	s_or_b32 exec_lo, exec_lo, s16
	s_add_co_i32 s34, s34, 0x10000
	s_delay_alu instid0(SALU_CYCLE_1)
	s_cmp_lt_u32 s34, s33
	s_cbranch_scc0 .LBB561_42
.LBB561_7:                              ; =>This Loop Header: Depth=1
                                        ;     Child Loop BB561_10 Depth 2
	v_mov_b32_e32 v0, s34
	v_mov_b64_e32 v[40:41], 0
	s_and_not1_b32 vcc_lo, exec_lo, s39
	global_load_b64 v[4:5], v0, s[30:31] scale_offset
	s_cbranch_vccnz .LBB561_20
; %bb.8:                                ;   in Loop: Header=BB561_7 Depth=1
	s_lshl_b64 s[16:17], s[34:35], 3
	v_mov_b64_e32 v[24:25], 0
	s_add_nc_u64 s[24:25], s[14:15], s[16:17]
	s_add_nc_u64 s[16:17], s[20:21], s[16:17]
	s_clause 0x1
	global_load_b64 v[2:3], v1, s[24:25]
	global_load_b64 v[28:29], v1, s[16:17]
	v_mov_b64_e32 v[26:27], 0
	v_mov_b64_e32 v[34:35], 0
	;; [unrolled: 1-line block ×7, first 2 shown]
	s_wait_xcnt 0x0
	s_mov_b64 s[16:17], 0
	s_wait_loadcnt 0x1
	v_add_nc_u64_e32 v[2:3], s[4:5], v[2:3]
	s_wait_loadcnt 0x0
	v_add_nc_u64_e32 v[30:31], s[2:3], v[28:29]
	s_delay_alu instid0(VALU_DEP_2) | instskip(NEXT) | instid1(VALU_DEP_2)
	v_lshl_add_u64 v[28:29], v[10:11], 4, v[2:3]
	v_lshl_add_u64 v[30:31], v[12:13], 4, v[30:31]
	s_branch .LBB561_10
.LBB561_9:                              ;   in Loop: Header=BB561_10 Depth=2
	s_wait_xcnt 0x0
	s_or_b32 exec_lo, exec_lo, s19
	s_wait_dscnt 0x0
	s_barrier_signal -1
	s_barrier_wait -1
	ds_load_b128 v[46:49], v45
	ds_load_b128 v[50:53], v44
	ds_load_b128 v[54:57], v44 offset:256
	ds_load_b128 v[58:61], v45 offset:2048
	ds_load_b128 v[62:65], v45 offset:16
	ds_load_b128 v[66:69], v44 offset:512
	ds_load_b128 v[70:73], v44 offset:768
	ds_load_b128 v[74:77], v45 offset:2064
	ds_load_b128 v[78:81], v45 offset:32
	ds_load_b128 v[82:85], v44 offset:1024
	ds_load_b128 v[86:89], v44 offset:1280
	ds_load_b128 v[90:93], v45 offset:2080
	s_add_nc_u64 s[16:17], s[16:17], 8
	s_delay_alu instid0(SALU_CYCLE_1)
	v_cmp_gt_i64_e64 s19, s[8:9], s[16:17]
	s_and_b32 vcc_lo, exec_lo, s19
	s_wait_dscnt 0xa
	v_mul_f64_e32 v[2:3], v[48:49], v[52:53]
	v_mul_f64_e32 v[94:95], v[46:47], v[52:53]
	s_wait_dscnt 0x9
	v_mul_f64_e32 v[96:97], v[48:49], v[56:57]
	v_mul_f64_e32 v[98:99], v[46:47], v[56:57]
	s_wait_dscnt 0x8
	v_mul_f64_e32 v[100:101], v[60:61], v[52:53]
	v_mul_f64_e32 v[102:103], v[58:59], v[52:53]
	v_mul_f64_e32 v[52:53], v[60:61], v[56:57]
	v_mul_f64_e32 v[104:105], v[58:59], v[56:57]
	s_wait_dscnt 0x6
	v_mul_f64_e32 v[106:107], v[64:65], v[68:69]
	v_mul_f64_e32 v[108:109], v[62:63], v[68:69]
	s_wait_dscnt 0x5
	v_mul_f64_e32 v[110:111], v[64:65], v[72:73]
	v_mul_f64_e32 v[112:113], v[62:63], v[72:73]
	s_wait_dscnt 0x4
	v_mul_f64_e32 v[114:115], v[76:77], v[68:69]
	v_mul_f64_e32 v[68:69], v[74:75], v[68:69]
	v_mul_f64_e32 v[116:117], v[76:77], v[72:73]
	v_mul_f64_e32 v[72:73], v[74:75], v[72:73]
	s_wait_dscnt 0x2
	v_mul_f64_e32 v[120:121], v[80:81], v[84:85]
	v_mul_f64_e32 v[122:123], v[78:79], v[84:85]
	s_wait_dscnt 0x1
	v_mul_f64_e32 v[124:125], v[80:81], v[88:89]
	v_mul_f64_e32 v[126:127], v[78:79], v[88:89]
	s_wait_dscnt 0x0
	v_mul_f64_e32 v[128:129], v[92:93], v[84:85]
	v_mul_f64_e32 v[84:85], v[90:91], v[84:85]
	v_mul_f64_e32 v[130:131], v[92:93], v[88:89]
	v_mul_f64_e32 v[88:89], v[90:91], v[88:89]
	v_fma_f64 v[2:3], v[46:47], v[50:51], -v[2:3]
	v_fmac_f64_e32 v[94:95], v[48:49], v[50:51]
	v_fma_f64 v[96:97], v[46:47], v[54:55], -v[96:97]
	v_fmac_f64_e32 v[98:99], v[48:49], v[54:55]
	;; [unrolled: 2-line block ×8, first 2 shown]
	ds_load_b128 v[46:49], v45 offset:48
	ds_load_b128 v[50:53], v45 offset:2096
	;; [unrolled: 1-line block ×4, first 2 shown]
	v_fma_f64 v[120:121], v[78:79], v[82:83], -v[120:121]
	v_fmac_f64_e32 v[122:123], v[80:81], v[82:83]
	v_fma_f64 v[78:79], v[78:79], v[86:87], -v[124:125]
	v_fmac_f64_e32 v[126:127], v[80:81], v[86:87]
	;; [unrolled: 2-line block ×4, first 2 shown]
	v_add_f64_e32 v[2:3], v[40:41], v[2:3]
	v_add_f64_e32 v[70:71], v[94:95], v[42:43]
	;; [unrolled: 1-line block ×8, first 2 shown]
	s_wait_dscnt 0x1
	v_mul_f64_e32 v[102:103], v[48:49], v[56:57]
	v_mul_f64_e32 v[104:105], v[46:47], v[56:57]
	s_wait_dscnt 0x0
	v_mul_f64_e32 v[110:111], v[48:49], v[60:61]
	v_mul_f64_e32 v[114:115], v[46:47], v[60:61]
	;; [unrolled: 1-line block ×6, first 2 shown]
	ds_load_b128 v[24:27], v45 offset:64
	ds_load_b128 v[32:35], v44 offset:2048
	;; [unrolled: 1-line block ×4, first 2 shown]
	v_add_f64_e32 v[2:3], v[2:3], v[106:107]
	v_add_f64_e32 v[86:87], v[108:109], v[70:71]
	;; [unrolled: 1-line block ×8, first 2 shown]
	s_wait_dscnt 0x2
	v_mul_f64_e32 v[100:101], v[26:27], v[34:35]
	v_mul_f64_e32 v[106:107], v[24:25], v[34:35]
	s_wait_dscnt 0x1
	v_mul_f64_e32 v[108:109], v[26:27], v[38:39]
	v_mul_f64_e32 v[112:113], v[24:25], v[38:39]
	;; [unrolled: 3-line block ×3, first 2 shown]
	v_mul_f64_e32 v[34:35], v[42:43], v[38:39]
	v_mul_f64_e32 v[130:131], v[40:41], v[38:39]
	v_fma_f64 v[38:39], v[46:47], v[54:55], -v[102:103]
	v_fmac_f64_e32 v[104:105], v[48:49], v[54:55]
	v_fma_f64 v[102:103], v[46:47], v[58:59], -v[110:111]
	v_fmac_f64_e32 v[114:115], v[48:49], v[58:59]
	;; [unrolled: 2-line block ×4, first 2 shown]
	ds_load_b128 v[60:63], v45 offset:80
	ds_load_b128 v[64:67], v45 offset:2128
	;; [unrolled: 1-line block ×4, first 2 shown]
	v_add_f64_e32 v[2:3], v[2:3], v[120:121]
	v_add_f64_e32 v[58:59], v[122:123], v[86:87]
	;; [unrolled: 1-line block ×8, first 2 shown]
	v_fma_f64 v[100:101], v[24:25], v[32:33], -v[100:101]
	v_fmac_f64_e32 v[106:107], v[26:27], v[32:33]
	v_fma_f64 v[108:109], v[24:25], v[36:37], -v[108:109]
	s_wait_dscnt 0x1
	v_mul_f64_e32 v[92:93], v[62:63], v[70:71]
	v_mul_f64_e32 v[94:95], v[60:61], v[70:71]
	s_wait_dscnt 0x0
	v_mul_f64_e32 v[96:97], v[62:63], v[74:75]
	v_mul_f64_e32 v[98:99], v[60:61], v[74:75]
	;; [unrolled: 1-line block ×6, first 2 shown]
	v_fmac_f64_e32 v[112:113], v[26:27], v[36:37]
	v_fma_f64 v[124:125], v[40:41], v[32:33], -v[124:125]
	v_fmac_f64_e32 v[128:129], v[42:43], v[32:33]
	v_fma_f64 v[126:127], v[40:41], v[36:37], -v[34:35]
	v_fmac_f64_e32 v[130:131], v[42:43], v[36:37]
	ds_load_b128 v[46:49], v45 offset:96
	ds_load_b128 v[50:53], v44 offset:3072
	;; [unrolled: 1-line block ×4, first 2 shown]
	v_add_f64_e32 v[2:3], v[2:3], v[38:39]
	v_add_f64_e32 v[58:59], v[104:105], v[58:59]
	;; [unrolled: 1-line block ×8, first 2 shown]
	ds_load_b128 v[24:27], v45 offset:112
	ds_load_b128 v[32:35], v45 offset:2160
	;; [unrolled: 1-line block ×4, first 2 shown]
	s_wait_dscnt 0x0
	v_mul_f64_e32 v[102:103], v[48:49], v[52:53]
	v_mul_f64_e32 v[104:105], v[46:47], v[52:53]
	;; [unrolled: 1-line block ×8, first 2 shown]
	v_fma_f64 v[92:93], v[60:61], v[68:69], -v[92:93]
	v_fmac_f64_e32 v[94:95], v[62:63], v[68:69]
	v_fma_f64 v[60:61], v[60:61], v[72:73], -v[96:97]
	v_fmac_f64_e32 v[98:99], v[62:63], v[72:73]
	;; [unrolled: 2-line block ×4, first 2 shown]
	s_barrier_signal -1
	s_barrier_wait -1
	v_mul_f64_e32 v[96:97], v[24:25], v[42:43]
	v_add_f64_e32 v[2:3], v[2:3], v[100:101]
	v_add_f64_e32 v[58:59], v[106:107], v[58:59]
	;; [unrolled: 1-line block ×8, first 2 shown]
	v_mul_f64_e32 v[86:87], v[26:27], v[38:39]
	v_mul_f64_e32 v[88:89], v[24:25], v[38:39]
	;; [unrolled: 1-line block ×7, first 2 shown]
	v_fma_f64 v[42:43], v[46:47], v[50:51], -v[102:103]
	v_fmac_f64_e32 v[104:105], v[48:49], v[50:51]
	v_fma_f64 v[46:47], v[46:47], v[54:55], -v[110:111]
	v_fmac_f64_e32 v[114:115], v[48:49], v[54:55]
	;; [unrolled: 2-line block ×4, first 2 shown]
	v_fmac_f64_e32 v[96:97], v[26:27], v[40:41]
	v_add_f64_e32 v[2:3], v[2:3], v[92:93]
	v_add_f64_e32 v[54:55], v[94:95], v[58:59]
	;; [unrolled: 1-line block ×8, first 2 shown]
	v_fma_f64 v[70:71], v[24:25], v[36:37], -v[86:87]
	v_fmac_f64_e32 v[88:89], v[26:27], v[36:37]
	v_fma_f64 v[24:25], v[24:25], v[40:41], -v[90:91]
	v_fma_f64 v[26:27], v[32:33], v[36:37], -v[100:101]
	v_fmac_f64_e32 v[106:107], v[34:35], v[36:37]
	v_fma_f64 v[72:73], v[32:33], v[40:41], -v[38:39]
	v_fmac_f64_e32 v[108:109], v[34:35], v[40:41]
	v_add_f64_e32 v[2:3], v[2:3], v[42:43]
	v_add_f64_e32 v[32:33], v[104:105], v[54:55]
	;; [unrolled: 1-line block ×16, first 2 shown]
	s_cbranch_vccz .LBB561_21
.LBB561_10:                             ;   Parent Loop BB561_7 Depth=1
                                        ; =>  This Inner Loop Header: Depth=2
	s_mov_b32 s19, 0
	s_mov_b32 s25, s22
	s_and_saveexec_b32 s24, s0
	s_cbranch_execnz .LBB561_18
; %bb.11:                               ;   in Loop: Header=BB561_10 Depth=2
	s_or_b32 exec_lo, exec_lo, s24
	s_and_saveexec_b32 s24, s25
	s_delay_alu instid0(SALU_CYCLE_1)
	s_xor_b32 s24, exec_lo, s24
	s_cbranch_execnz .LBB561_19
.LBB561_12:                             ;   in Loop: Header=BB561_10 Depth=2
	s_or_b32 exec_lo, exec_lo, s24
	s_and_saveexec_b32 s24, s19
	s_cbranch_execz .LBB561_14
.LBB561_13:                             ;   in Loop: Header=BB561_10 Depth=2
	v_lshl_add_u64 v[2:3], v[22:23], 4, v[28:29]
	flat_load_b128 v[46:49], v[2:3]
	s_wait_loadcnt_dscnt 0x0
	ds_store_2addr_b64 v7, v[46:47], v[48:49] offset1:1
.LBB561_14:                             ;   in Loop: Header=BB561_10 Depth=2
	s_wait_xcnt 0x0
	s_or_b32 exec_lo, exec_lo, s24
	v_add_nc_u32_e32 v0, s16, v6
	s_delay_alu instid0(VALU_DEP_1) | instskip(SKIP_1) | instid1(SALU_CYCLE_1)
	v_cmp_le_u64_e32 vcc_lo, s[8:9], v[0:1]
	s_or_b32 s19, vcc_lo, s18
	s_and_saveexec_b32 s24, s19
	s_delay_alu instid0(SALU_CYCLE_1)
	s_xor_b32 s19, exec_lo, s24
; %bb.15:                               ;   in Loop: Header=BB561_10 Depth=2
	v_dual_mov_b32 v0, v1 :: v_dual_mov_b32 v2, v1
	v_mov_b32_e32 v3, v1
	ds_store_b128 v9, v[0:3]
; %bb.16:                               ;   in Loop: Header=BB561_10 Depth=2
	s_and_not1_saveexec_b32 s19, s19
	s_cbranch_execz .LBB561_9
; %bb.17:                               ;   in Loop: Header=BB561_10 Depth=2
	v_lshl_add_u64 v[2:3], v[0:1], 4, v[30:31]
	flat_load_b128 v[46:49], v[2:3]
	s_wait_loadcnt_dscnt 0x0
	ds_store_2addr_b64 v9, v[46:47], v[48:49] offset1:1
	s_branch .LBB561_9
.LBB561_18:                             ;   in Loop: Header=BB561_10 Depth=2
	v_add_nc_u32_e32 v0, s16, v8
	s_and_not1_b32 s25, s22, exec_lo
	s_mov_b32 s19, exec_lo
	s_delay_alu instid0(VALU_DEP_1) | instskip(SKIP_2) | instid1(SALU_CYCLE_1)
	v_cmp_le_u64_e32 vcc_lo, s[8:9], v[0:1]
	v_mov_b64_e32 v[22:23], v[0:1]
	s_and_b32 s40, vcc_lo, exec_lo
	s_or_b32 s25, s25, s40
	s_or_b32 exec_lo, exec_lo, s24
	s_and_saveexec_b32 s24, s25
	s_delay_alu instid0(SALU_CYCLE_1)
	s_xor_b32 s24, exec_lo, s24
	s_cbranch_execz .LBB561_12
.LBB561_19:                             ;   in Loop: Header=BB561_10 Depth=2
	v_dual_mov_b32 v0, v1 :: v_dual_mov_b32 v2, v1
	v_mov_b32_e32 v3, v1
	s_and_not1_b32 s19, s19, exec_lo
	ds_store_b128 v7, v[0:3]
	s_or_b32 exec_lo, exec_lo, s24
	s_and_saveexec_b32 s24, s19
	s_cbranch_execnz .LBB561_13
	s_branch .LBB561_14
.LBB561_20:                             ;   in Loop: Header=BB561_7 Depth=1
	v_mov_b64_e32 v[42:43], 0
	v_mov_b64_e32 v[36:37], 0
	;; [unrolled: 1-line block ×7, first 2 shown]
.LBB561_21:                             ;   in Loop: Header=BB561_7 Depth=1
	s_wait_loadcnt 0x0
	v_add_nc_u64_e32 v[28:29], s[6:7], v[4:5]
	s_delay_alu instid0(VALU_DEP_1)
	v_lshl_add_u64 v[30:31], v[14:15], 4, v[28:29]
	s_wait_xcnt 0x0
	s_and_saveexec_b32 s16, s36
	s_cbranch_execz .LBB561_26
; %bb.22:                               ;   in Loop: Header=BB561_7 Depth=1
	v_mul_f64_e32 v[2:3], s[12:13], v[42:43]
	v_mul_f64_e32 v[4:5], s[10:11], v[42:43]
	s_and_b32 vcc_lo, exec_lo, s23
	s_mov_b32 s17, -1
	s_delay_alu instid0(VALU_DEP_2) | instskip(NEXT) | instid1(VALU_DEP_2)
	v_fma_f64 v[2:3], s[10:11], v[40:41], -v[2:3]
	v_fmac_f64_e32 v[4:5], s[12:13], v[40:41]
	v_lshl_add_u64 v[40:41], v[18:19], 4, v[30:31]
	s_cbranch_vccz .LBB561_24
; %bb.23:                               ;   in Loop: Header=BB561_7 Depth=1
	flat_load_b128 v[46:49], v[40:41]
	s_mov_b32 s17, 0
	s_wait_loadcnt_dscnt 0x0
	v_mul_f64_e32 v[42:43], s[28:29], v[48:49]
	v_mul_f64_e32 v[48:49], s[26:27], v[48:49]
	s_delay_alu instid0(VALU_DEP_2) | instskip(NEXT) | instid1(VALU_DEP_2)
	v_fma_f64 v[42:43], s[26:27], v[46:47], -v[42:43]
	v_fmac_f64_e32 v[48:49], s[28:29], v[46:47]
	s_delay_alu instid0(VALU_DEP_2) | instskip(NEXT) | instid1(VALU_DEP_2)
	v_add_f64_e32 v[46:47], v[2:3], v[42:43]
	v_add_f64_e32 v[48:49], v[4:5], v[48:49]
	flat_store_b128 v[40:41], v[46:49]
.LBB561_24:                             ;   in Loop: Header=BB561_7 Depth=1
	s_and_not1_b32 vcc_lo, exec_lo, s17
	s_cbranch_vccnz .LBB561_26
; %bb.25:                               ;   in Loop: Header=BB561_7 Depth=1
	flat_store_b128 v[40:41], v[2:5]
.LBB561_26:                             ;   in Loop: Header=BB561_7 Depth=1
	s_wait_xcnt 0x0
	s_or_b32 exec_lo, exec_lo, s16
	s_and_saveexec_b32 s16, s1
	s_cbranch_execz .LBB561_31
; %bb.27:                               ;   in Loop: Header=BB561_7 Depth=1
	v_mul_f64_e32 v[2:3], s[12:13], v[38:39]
	v_mul_f64_e32 v[4:5], s[10:11], v[38:39]
	v_lshl_add_u64 v[30:31], v[20:21], 4, v[30:31]
	s_and_not1_b32 vcc_lo, exec_lo, s23
	s_mov_b32 s17, -1
	s_delay_alu instid0(VALU_DEP_3) | instskip(NEXT) | instid1(VALU_DEP_3)
	v_fma_f64 v[2:3], s[10:11], v[36:37], -v[2:3]
	v_fmac_f64_e32 v[4:5], s[12:13], v[36:37]
	s_cbranch_vccnz .LBB561_29
; %bb.28:                               ;   in Loop: Header=BB561_7 Depth=1
	flat_load_b128 v[36:39], v[30:31]
	s_mov_b32 s17, 0
	s_wait_loadcnt_dscnt 0x0
	v_mul_f64_e32 v[40:41], s[28:29], v[38:39]
	v_mul_f64_e32 v[38:39], s[26:27], v[38:39]
	s_delay_alu instid0(VALU_DEP_2) | instskip(NEXT) | instid1(VALU_DEP_2)
	v_fma_f64 v[40:41], s[26:27], v[36:37], -v[40:41]
	v_fmac_f64_e32 v[38:39], s[28:29], v[36:37]
	s_delay_alu instid0(VALU_DEP_2) | instskip(NEXT) | instid1(VALU_DEP_2)
	v_add_f64_e32 v[36:37], v[2:3], v[40:41]
	v_add_f64_e32 v[38:39], v[4:5], v[38:39]
	flat_store_b128 v[30:31], v[36:39]
.LBB561_29:                             ;   in Loop: Header=BB561_7 Depth=1
	s_and_not1_b32 vcc_lo, exec_lo, s17
	s_cbranch_vccnz .LBB561_31
; %bb.30:                               ;   in Loop: Header=BB561_7 Depth=1
	flat_store_b128 v[30:31], v[2:5]
.LBB561_31:                             ;   in Loop: Header=BB561_7 Depth=1
	s_wait_xcnt 0x0
	s_or_b32 exec_lo, exec_lo, s16
	v_lshl_add_u64 v[28:29], v[16:17], 4, v[28:29]
	s_and_saveexec_b32 s16, s37
	s_cbranch_execz .LBB561_36
; %bb.32:                               ;   in Loop: Header=BB561_7 Depth=1
	v_mul_f64_e32 v[2:3], s[12:13], v[34:35]
	v_mul_f64_e32 v[4:5], s[10:11], v[34:35]
	v_lshl_add_u64 v[30:31], v[18:19], 4, v[28:29]
	s_and_not1_b32 vcc_lo, exec_lo, s23
	s_mov_b32 s17, -1
	s_delay_alu instid0(VALU_DEP_3) | instskip(NEXT) | instid1(VALU_DEP_3)
	v_fma_f64 v[2:3], s[10:11], v[32:33], -v[2:3]
	v_fmac_f64_e32 v[4:5], s[12:13], v[32:33]
	s_cbranch_vccnz .LBB561_34
; %bb.33:                               ;   in Loop: Header=BB561_7 Depth=1
	flat_load_b128 v[32:35], v[30:31]
	s_mov_b32 s17, 0
	s_wait_loadcnt_dscnt 0x0
	v_mul_f64_e32 v[36:37], s[28:29], v[34:35]
	v_mul_f64_e32 v[34:35], s[26:27], v[34:35]
	s_delay_alu instid0(VALU_DEP_2) | instskip(NEXT) | instid1(VALU_DEP_2)
	v_fma_f64 v[36:37], s[26:27], v[32:33], -v[36:37]
	v_fmac_f64_e32 v[34:35], s[28:29], v[32:33]
	s_delay_alu instid0(VALU_DEP_2) | instskip(NEXT) | instid1(VALU_DEP_2)
	v_add_f64_e32 v[32:33], v[2:3], v[36:37]
	v_add_f64_e32 v[34:35], v[4:5], v[34:35]
	flat_store_b128 v[30:31], v[32:35]
.LBB561_34:                             ;   in Loop: Header=BB561_7 Depth=1
	s_and_not1_b32 vcc_lo, exec_lo, s17
	s_cbranch_vccnz .LBB561_36
; %bb.35:                               ;   in Loop: Header=BB561_7 Depth=1
	flat_store_b128 v[30:31], v[2:5]
.LBB561_36:                             ;   in Loop: Header=BB561_7 Depth=1
	s_wait_xcnt 0x0
	s_or_b32 exec_lo, exec_lo, s16
	s_and_saveexec_b32 s16, s38
	s_cbranch_execz .LBB561_6
; %bb.37:                               ;   in Loop: Header=BB561_7 Depth=1
	s_delay_alu instid0(VALU_DEP_4) | instskip(SKIP_4) | instid1(VALU_DEP_3)
	v_mul_f64_e32 v[2:3], s[12:13], v[24:25]
	v_mul_f64_e32 v[4:5], s[10:11], v[24:25]
	v_lshl_add_u64 v[24:25], v[20:21], 4, v[28:29]
	s_and_not1_b32 vcc_lo, exec_lo, s23
	s_mov_b32 s17, -1
	v_fma_f64 v[2:3], s[10:11], v[26:27], -v[2:3]
	s_delay_alu instid0(VALU_DEP_3)
	v_fmac_f64_e32 v[4:5], s[12:13], v[26:27]
	s_cbranch_vccnz .LBB561_39
; %bb.38:                               ;   in Loop: Header=BB561_7 Depth=1
	flat_load_b128 v[26:29], v[24:25]
	s_mov_b32 s17, 0
	s_wait_loadcnt_dscnt 0x0
	v_mul_f64_e32 v[30:31], s[28:29], v[28:29]
	v_mul_f64_e32 v[28:29], s[26:27], v[28:29]
	s_delay_alu instid0(VALU_DEP_2) | instskip(NEXT) | instid1(VALU_DEP_2)
	v_fma_f64 v[30:31], s[26:27], v[26:27], -v[30:31]
	v_fmac_f64_e32 v[28:29], s[28:29], v[26:27]
	s_delay_alu instid0(VALU_DEP_2) | instskip(NEXT) | instid1(VALU_DEP_2)
	v_add_f64_e32 v[26:27], v[2:3], v[30:31]
	v_add_f64_e32 v[28:29], v[4:5], v[28:29]
	flat_store_b128 v[24:25], v[26:29]
.LBB561_39:                             ;   in Loop: Header=BB561_7 Depth=1
	s_and_not1_b32 vcc_lo, exec_lo, s17
	s_cbranch_vccnz .LBB561_6
; %bb.40:                               ;   in Loop: Header=BB561_7 Depth=1
	flat_store_b128 v[24:25], v[2:5]
	s_branch .LBB561_6
.LBB561_41:
.LBB561_42:
	s_sendmsg sendmsg(MSG_DEALLOC_VGPRS)
	s_endpgm
	.section	.rodata,"a",@progbits
	.p2align	6, 0x0
	.amdhsa_kernel _ZL29rocblas_internal_gemmt_kernelIlLi16ELi32ELi8ELc84ELc78ELc85ELb0ELb0E19rocblas_complex_numIdES1_PKPKS1_PKPS1_EviT_T9_T10_S9_lSB_S9_lSA_T11_S9_li
		.amdhsa_group_segment_fixed_size 8192
		.amdhsa_private_segment_fixed_size 0
		.amdhsa_kernarg_size 124
		.amdhsa_user_sgpr_count 2
		.amdhsa_user_sgpr_dispatch_ptr 0
		.amdhsa_user_sgpr_queue_ptr 0
		.amdhsa_user_sgpr_kernarg_segment_ptr 1
		.amdhsa_user_sgpr_dispatch_id 0
		.amdhsa_user_sgpr_kernarg_preload_length 0
		.amdhsa_user_sgpr_kernarg_preload_offset 0
		.amdhsa_user_sgpr_private_segment_size 0
		.amdhsa_wavefront_size32 1
		.amdhsa_uses_dynamic_stack 0
		.amdhsa_enable_private_segment 0
		.amdhsa_system_sgpr_workgroup_id_x 1
		.amdhsa_system_sgpr_workgroup_id_y 1
		.amdhsa_system_sgpr_workgroup_id_z 1
		.amdhsa_system_sgpr_workgroup_info 0
		.amdhsa_system_vgpr_workitem_id 1
		.amdhsa_next_free_vgpr 134
		.amdhsa_next_free_sgpr 43
		.amdhsa_named_barrier_count 0
		.amdhsa_reserve_vcc 1
		.amdhsa_float_round_mode_32 0
		.amdhsa_float_round_mode_16_64 0
		.amdhsa_float_denorm_mode_32 3
		.amdhsa_float_denorm_mode_16_64 3
		.amdhsa_fp16_overflow 0
		.amdhsa_memory_ordered 1
		.amdhsa_forward_progress 1
		.amdhsa_inst_pref_size 24
		.amdhsa_round_robin_scheduling 0
		.amdhsa_exception_fp_ieee_invalid_op 0
		.amdhsa_exception_fp_denorm_src 0
		.amdhsa_exception_fp_ieee_div_zero 0
		.amdhsa_exception_fp_ieee_overflow 0
		.amdhsa_exception_fp_ieee_underflow 0
		.amdhsa_exception_fp_ieee_inexact 0
		.amdhsa_exception_int_div_zero 0
	.end_amdhsa_kernel
	.section	.text._ZL29rocblas_internal_gemmt_kernelIlLi16ELi32ELi8ELc84ELc78ELc85ELb0ELb0E19rocblas_complex_numIdES1_PKPKS1_PKPS1_EviT_T9_T10_S9_lSB_S9_lSA_T11_S9_li,"axG",@progbits,_ZL29rocblas_internal_gemmt_kernelIlLi16ELi32ELi8ELc84ELc78ELc85ELb0ELb0E19rocblas_complex_numIdES1_PKPKS1_PKPS1_EviT_T9_T10_S9_lSB_S9_lSA_T11_S9_li,comdat
.Lfunc_end561:
	.size	_ZL29rocblas_internal_gemmt_kernelIlLi16ELi32ELi8ELc84ELc78ELc85ELb0ELb0E19rocblas_complex_numIdES1_PKPKS1_PKPS1_EviT_T9_T10_S9_lSB_S9_lSA_T11_S9_li, .Lfunc_end561-_ZL29rocblas_internal_gemmt_kernelIlLi16ELi32ELi8ELc84ELc78ELc85ELb0ELb0E19rocblas_complex_numIdES1_PKPKS1_PKPS1_EviT_T9_T10_S9_lSB_S9_lSA_T11_S9_li
                                        ; -- End function
	.set _ZL29rocblas_internal_gemmt_kernelIlLi16ELi32ELi8ELc84ELc78ELc85ELb0ELb0E19rocblas_complex_numIdES1_PKPKS1_PKPS1_EviT_T9_T10_S9_lSB_S9_lSA_T11_S9_li.num_vgpr, 134
	.set _ZL29rocblas_internal_gemmt_kernelIlLi16ELi32ELi8ELc84ELc78ELc85ELb0ELb0E19rocblas_complex_numIdES1_PKPKS1_PKPS1_EviT_T9_T10_S9_lSB_S9_lSA_T11_S9_li.num_agpr, 0
	.set _ZL29rocblas_internal_gemmt_kernelIlLi16ELi32ELi8ELc84ELc78ELc85ELb0ELb0E19rocblas_complex_numIdES1_PKPKS1_PKPS1_EviT_T9_T10_S9_lSB_S9_lSA_T11_S9_li.numbered_sgpr, 43
	.set _ZL29rocblas_internal_gemmt_kernelIlLi16ELi32ELi8ELc84ELc78ELc85ELb0ELb0E19rocblas_complex_numIdES1_PKPKS1_PKPS1_EviT_T9_T10_S9_lSB_S9_lSA_T11_S9_li.num_named_barrier, 0
	.set _ZL29rocblas_internal_gemmt_kernelIlLi16ELi32ELi8ELc84ELc78ELc85ELb0ELb0E19rocblas_complex_numIdES1_PKPKS1_PKPS1_EviT_T9_T10_S9_lSB_S9_lSA_T11_S9_li.private_seg_size, 0
	.set _ZL29rocblas_internal_gemmt_kernelIlLi16ELi32ELi8ELc84ELc78ELc85ELb0ELb0E19rocblas_complex_numIdES1_PKPKS1_PKPS1_EviT_T9_T10_S9_lSB_S9_lSA_T11_S9_li.uses_vcc, 1
	.set _ZL29rocblas_internal_gemmt_kernelIlLi16ELi32ELi8ELc84ELc78ELc85ELb0ELb0E19rocblas_complex_numIdES1_PKPKS1_PKPS1_EviT_T9_T10_S9_lSB_S9_lSA_T11_S9_li.uses_flat_scratch, 0
	.set _ZL29rocblas_internal_gemmt_kernelIlLi16ELi32ELi8ELc84ELc78ELc85ELb0ELb0E19rocblas_complex_numIdES1_PKPKS1_PKPS1_EviT_T9_T10_S9_lSB_S9_lSA_T11_S9_li.has_dyn_sized_stack, 0
	.set _ZL29rocblas_internal_gemmt_kernelIlLi16ELi32ELi8ELc84ELc78ELc85ELb0ELb0E19rocblas_complex_numIdES1_PKPKS1_PKPS1_EviT_T9_T10_S9_lSB_S9_lSA_T11_S9_li.has_recursion, 0
	.set _ZL29rocblas_internal_gemmt_kernelIlLi16ELi32ELi8ELc84ELc78ELc85ELb0ELb0E19rocblas_complex_numIdES1_PKPKS1_PKPS1_EviT_T9_T10_S9_lSB_S9_lSA_T11_S9_li.has_indirect_call, 0
	.section	.AMDGPU.csdata,"",@progbits
; Kernel info:
; codeLenInByte = 3020
; TotalNumSgprs: 45
; NumVgprs: 134
; ScratchSize: 0
; MemoryBound: 0
; FloatMode: 240
; IeeeMode: 1
; LDSByteSize: 8192 bytes/workgroup (compile time only)
; SGPRBlocks: 0
; VGPRBlocks: 8
; NumSGPRsForWavesPerEU: 45
; NumVGPRsForWavesPerEU: 134
; NamedBarCnt: 0
; Occupancy: 7
; WaveLimiterHint : 1
; COMPUTE_PGM_RSRC2:SCRATCH_EN: 0
; COMPUTE_PGM_RSRC2:USER_SGPR: 2
; COMPUTE_PGM_RSRC2:TRAP_HANDLER: 0
; COMPUTE_PGM_RSRC2:TGID_X_EN: 1
; COMPUTE_PGM_RSRC2:TGID_Y_EN: 1
; COMPUTE_PGM_RSRC2:TGID_Z_EN: 1
; COMPUTE_PGM_RSRC2:TIDIG_COMP_CNT: 1
	.section	.text._ZL29rocblas_internal_gemmt_kernelIlLi16ELi32ELi8ELc84ELc84ELc85ELb0ELb0E19rocblas_complex_numIdES1_PKPKS1_PKPS1_EviT_T9_T10_S9_lSB_S9_lSA_T11_S9_li,"axG",@progbits,_ZL29rocblas_internal_gemmt_kernelIlLi16ELi32ELi8ELc84ELc84ELc85ELb0ELb0E19rocblas_complex_numIdES1_PKPKS1_PKPS1_EviT_T9_T10_S9_lSB_S9_lSA_T11_S9_li,comdat
	.globl	_ZL29rocblas_internal_gemmt_kernelIlLi16ELi32ELi8ELc84ELc84ELc85ELb0ELb0E19rocblas_complex_numIdES1_PKPKS1_PKPS1_EviT_T9_T10_S9_lSB_S9_lSA_T11_S9_li ; -- Begin function _ZL29rocblas_internal_gemmt_kernelIlLi16ELi32ELi8ELc84ELc84ELc85ELb0ELb0E19rocblas_complex_numIdES1_PKPKS1_PKPS1_EviT_T9_T10_S9_lSB_S9_lSA_T11_S9_li
	.p2align	8
	.type	_ZL29rocblas_internal_gemmt_kernelIlLi16ELi32ELi8ELc84ELc84ELc85ELb0ELb0E19rocblas_complex_numIdES1_PKPKS1_PKPS1_EviT_T9_T10_S9_lSB_S9_lSA_T11_S9_li,@function
_ZL29rocblas_internal_gemmt_kernelIlLi16ELi32ELi8ELc84ELc84ELc85ELb0ELb0E19rocblas_complex_numIdES1_PKPKS1_PKPS1_EviT_T9_T10_S9_lSB_S9_lSA_T11_S9_li: ; @_ZL29rocblas_internal_gemmt_kernelIlLi16ELi32ELi8ELc84ELc84ELc85ELb0ELb0E19rocblas_complex_numIdES1_PKPKS1_PKPS1_EviT_T9_T10_S9_lSB_S9_lSA_T11_S9_li
; %bb.0:
	s_clause 0x1
	s_load_b256 s[24:31], s[0:1], 0x48
	s_load_b512 s[8:23], s[0:1], 0x8
	s_wait_kmcnt 0x0
	v_cmp_eq_f64_e64 s2, s[26:27], 1.0
	v_cmp_eq_f64_e64 s3, s[28:29], 0
	s_and_b32 s2, s2, s3
	s_delay_alu instid0(SALU_CYCLE_1)
	s_and_not1_b32 vcc_lo, exec_lo, s2
	s_mov_b32 s2, -1
	s_cbranch_vccnz .LBB562_3
; %bb.1:
	s_cmp_lg_u64 s[8:9], 0
	s_cbranch_scc0 .LBB562_41
; %bb.2:
	v_cmp_neq_f64_e64 s2, s[10:11], 0
	v_cmp_neq_f64_e64 s4, s[12:13], 0
	s_or_b32 s2, s2, s4
.LBB562_3:
	s_delay_alu instid0(SALU_CYCLE_1)
	s_and_b32 vcc_lo, exec_lo, s2
	s_cbranch_vccz .LBB562_42
; %bb.4:
	s_load_b32 s33, s[0:1], 0x78
	s_bfe_u32 s2, ttmp6, 0x40014
	s_lshr_b32 s4, ttmp7, 16
	s_add_co_i32 s2, s2, 1
	s_bfe_u32 s6, ttmp6, 0x40008
	s_mul_i32 s5, s4, s2
	s_getreg_b32 s2, hwreg(HW_REG_IB_STS2, 6, 4)
	s_add_co_i32 s6, s6, s5
	s_cmp_eq_u32 s2, 0
	s_mov_b32 s35, 0
	s_cselect_b32 s34, s4, s6
	s_wait_kmcnt 0x0
	s_cmp_ge_u32 s34, s33
	s_cbranch_scc1 .LBB562_42
; %bb.5:
	s_clause 0x1
	s_load_b128 s[4:7], s[0:1], 0x68
	s_load_b32 s39, s[0:1], 0x0
	s_wait_xcnt 0x0
	s_bfe_u32 s1, ttmp6, 0x4000c
	s_bfe_u32 s40, ttmp6, 0x40010
	s_and_b32 s38, ttmp7, 0xffff
	s_add_co_i32 s1, s1, 1
	s_add_co_i32 s40, s40, 1
	v_and_b32_e32 v19, 0x3ff, v0
	v_bfe_u32 v21, v0, 10, 10
	s_and_b32 s0, ttmp6, 15
	s_bfe_u32 s41, ttmp6, 0x40004
	s_mul_i32 s1, ttmp9, s1
	s_mul_i32 s40, s38, s40
	s_add_co_i32 s0, s0, s1
	s_add_co_i32 s41, s41, s40
	s_cmp_eq_u32 s2, 0
	v_lshl_add_u32 v1, v21, 4, v19
	s_cselect_b32 s1, s38, s41
	s_cselect_b32 s0, ttmp9, s0
	s_lshl_b32 s1, s1, 5
	s_delay_alu instid0(VALU_DEP_1) | instskip(SKIP_4) | instid1(VALU_DEP_3)
	v_dual_lshrrev_b32 v9, 3, v1 :: v_dual_bitop2_b32 v6, 7, v0 bitop3:0x40
	v_dual_lshrrev_b32 v8, 5, v1 :: v_dual_bitop2_b32 v7, 31, v1 bitop3:0x40
	s_lshl_b32 s2, s0, 5
	v_add_nc_u32_e32 v0, s1, v21
	v_cmp_neq_f64_e64 s36, s[10:11], 0
	v_dual_add_nc_u32 v10, s1, v9 :: v_dual_bitop2_b32 v2, s2, v7 bitop3:0x54
	v_cmp_neq_f64_e64 s37, s[12:13], 0
	s_delay_alu instid0(VALU_DEP_4) | instskip(SKIP_1) | instid1(VALU_DEP_4)
	v_add_nc_u32_e32 v4, 16, v0
	v_cmp_neq_f64_e64 s40, s[26:27], 0
	v_dual_ashrrev_i32 v3, 31, v2 :: v_dual_ashrrev_i32 v1, 31, v0
	s_delay_alu instid0(VALU_DEP_3) | instskip(SKIP_1) | instid1(VALU_DEP_3)
	v_dual_lshlrev_b32 v11, 4, v6 :: v_dual_ashrrev_i32 v5, 31, v4
	v_dual_add_nc_u32 v18, s2, v19 :: v_dual_lshlrev_b32 v44, 4, v19
	v_mul_u64_e32 v[12:13], s[16:17], v[2:3]
	s_wait_kmcnt 0x0
	v_mul_u64_e32 v[14:15], s[4:5], v[0:1]
	v_mul_u64_e32 v[16:17], s[4:5], v[4:5]
	v_cmp_gt_i32_e64 s1, s39, v0
	v_cmp_le_i32_e64 s2, v18, v0
	v_dual_add_nc_u32 v20, 16, v18 :: v_dual_ashrrev_i32 v19, 31, v18
	v_lshlrev_b32_e32 v7, 4, v7
	v_lshl_or_b32 v3, v9, 7, v11
	v_cmp_gt_i64_e64 s42, s[8:9], 0
	s_xor_b32 s3, s3, -1
	v_cmp_gt_i32_e32 vcc_lo, s39, v10
	s_and_b32 s38, s1, s2
	v_cmp_le_i32_e64 s2, v20, v0
	v_cmp_le_i32_e64 s4, v18, v4
	;; [unrolled: 1-line block ×3, first 2 shown]
	v_cmp_gt_i32_e64 s0, s39, v2
	v_add_nc_u32_e32 v9, 0x1000, v3
	v_ashrrev_i32_e32 v11, 31, v10
	v_lshl_or_b32 v7, v8, 9, v7
	v_lshl_add_u32 v45, v21, 7, 0x1000
	v_dual_ashrrev_i32 v21, 31, v20 :: v_dual_mov_b32 v1, 0
	s_or_b32 s41, s36, s37
	v_cmp_le_i32_e64 s36, s39, v2
	s_or_b32 s37, s40, s3
	v_cmp_gt_i32_e64 s3, s39, v4
	s_and_b32 s1, s1, s2
	s_and_b32 s41, s41, s42
	s_lshl_b64 s[6:7], s[6:7], 4
                                        ; implicit-def: $vgpr22_vgpr23
	s_and_b32 s39, s3, s4
	s_and_b32 s40, s3, s5
	s_lshl_b64 s[2:3], s[24:25], 4
	s_lshl_b64 s[4:5], s[18:19], 4
	s_xor_b32 s18, vcc_lo, -1
	s_branch .LBB562_7
.LBB562_6:                              ;   in Loop: Header=BB562_7 Depth=1
	s_wait_xcnt 0x0
	s_or_b32 exec_lo, exec_lo, s16
	s_add_co_i32 s34, s34, 0x10000
	s_delay_alu instid0(SALU_CYCLE_1)
	s_cmp_lt_u32 s34, s33
	s_cbranch_scc0 .LBB562_42
.LBB562_7:                              ; =>This Loop Header: Depth=1
                                        ;     Child Loop BB562_10 Depth 2
	v_mov_b32_e32 v0, s34
	v_mov_b64_e32 v[40:41], 0
	s_and_not1_b32 vcc_lo, exec_lo, s41
	global_load_b64 v[4:5], v0, s[30:31] scale_offset
	s_cbranch_vccnz .LBB562_20
; %bb.8:                                ;   in Loop: Header=BB562_7 Depth=1
	s_lshl_b64 s[16:17], s[34:35], 3
	v_mov_b64_e32 v[24:25], 0
	s_add_nc_u64 s[24:25], s[14:15], s[16:17]
	s_add_nc_u64 s[16:17], s[20:21], s[16:17]
	s_clause 0x1
	global_load_b64 v[2:3], v1, s[24:25]
	global_load_b64 v[28:29], v1, s[16:17]
	v_mov_b64_e32 v[26:27], 0
	v_mov_b64_e32 v[34:35], 0
	;; [unrolled: 1-line block ×7, first 2 shown]
	s_wait_xcnt 0x0
	s_mov_b64 s[16:17], 0
	s_wait_loadcnt 0x1
	v_add_nc_u64_e32 v[2:3], s[4:5], v[2:3]
	s_wait_loadcnt 0x0
	v_add_nc_u64_e32 v[30:31], s[2:3], v[28:29]
	s_delay_alu instid0(VALU_DEP_2) | instskip(NEXT) | instid1(VALU_DEP_2)
	v_lshl_add_u64 v[28:29], v[12:13], 4, v[2:3]
	v_lshl_add_u64 v[30:31], v[10:11], 4, v[30:31]
	s_branch .LBB562_10
.LBB562_9:                              ;   in Loop: Header=BB562_10 Depth=2
	s_wait_xcnt 0x0
	s_or_b32 exec_lo, exec_lo, s19
	s_wait_dscnt 0x0
	s_barrier_signal -1
	s_barrier_wait -1
	ds_load_b128 v[46:49], v45
	ds_load_b128 v[50:53], v44
	ds_load_b128 v[54:57], v44 offset:256
	ds_load_b128 v[58:61], v45 offset:2048
	;; [unrolled: 1-line block ×10, first 2 shown]
	s_add_nc_u64 s[16:17], s[16:17], 8
	s_delay_alu instid0(SALU_CYCLE_1)
	v_cmp_gt_i64_e64 s19, s[8:9], s[16:17]
	s_and_b32 vcc_lo, exec_lo, s19
	s_wait_dscnt 0xa
	v_mul_f64_e32 v[2:3], v[48:49], v[52:53]
	v_mul_f64_e32 v[94:95], v[46:47], v[52:53]
	s_wait_dscnt 0x9
	v_mul_f64_e32 v[96:97], v[48:49], v[56:57]
	v_mul_f64_e32 v[98:99], v[46:47], v[56:57]
	s_wait_dscnt 0x8
	v_mul_f64_e32 v[100:101], v[60:61], v[52:53]
	v_mul_f64_e32 v[102:103], v[58:59], v[52:53]
	v_mul_f64_e32 v[52:53], v[60:61], v[56:57]
	v_mul_f64_e32 v[104:105], v[58:59], v[56:57]
	s_wait_dscnt 0x6
	v_mul_f64_e32 v[106:107], v[64:65], v[68:69]
	v_mul_f64_e32 v[108:109], v[62:63], v[68:69]
	s_wait_dscnt 0x5
	v_mul_f64_e32 v[110:111], v[64:65], v[72:73]
	v_mul_f64_e32 v[112:113], v[62:63], v[72:73]
	s_wait_dscnt 0x4
	v_mul_f64_e32 v[114:115], v[76:77], v[68:69]
	v_mul_f64_e32 v[68:69], v[74:75], v[68:69]
	v_mul_f64_e32 v[116:117], v[76:77], v[72:73]
	v_mul_f64_e32 v[72:73], v[74:75], v[72:73]
	;; [unrolled: 11-line block ×3, first 2 shown]
	v_fma_f64 v[2:3], v[46:47], v[50:51], -v[2:3]
	v_fmac_f64_e32 v[94:95], v[48:49], v[50:51]
	v_fma_f64 v[96:97], v[46:47], v[54:55], -v[96:97]
	v_fmac_f64_e32 v[98:99], v[48:49], v[54:55]
	v_fma_f64 v[100:101], v[58:59], v[50:51], -v[100:101]
	v_fmac_f64_e32 v[102:103], v[60:61], v[50:51]
	v_fma_f64 v[118:119], v[58:59], v[54:55], -v[52:53]
	v_fmac_f64_e32 v[104:105], v[60:61], v[54:55]
	v_fma_f64 v[106:107], v[62:63], v[66:67], -v[106:107]
	v_fmac_f64_e32 v[108:109], v[64:65], v[66:67]
	v_fma_f64 v[62:63], v[62:63], v[70:71], -v[110:111]
	v_fmac_f64_e32 v[112:113], v[64:65], v[70:71]
	v_fma_f64 v[64:65], v[74:75], v[66:67], -v[114:115]
	v_fmac_f64_e32 v[68:69], v[76:77], v[66:67]
	v_fma_f64 v[66:67], v[74:75], v[70:71], -v[116:117]
	v_fmac_f64_e32 v[72:73], v[76:77], v[70:71]
	ds_load_b128 v[46:49], v45 offset:48
	ds_load_b128 v[50:53], v45 offset:2096
	;; [unrolled: 1-line block ×4, first 2 shown]
	v_fma_f64 v[120:121], v[78:79], v[82:83], -v[120:121]
	v_fmac_f64_e32 v[122:123], v[80:81], v[82:83]
	v_fma_f64 v[78:79], v[78:79], v[86:87], -v[124:125]
	v_fmac_f64_e32 v[126:127], v[80:81], v[86:87]
	;; [unrolled: 2-line block ×4, first 2 shown]
	v_add_f64_e32 v[2:3], v[40:41], v[2:3]
	v_add_f64_e32 v[70:71], v[94:95], v[42:43]
	;; [unrolled: 1-line block ×8, first 2 shown]
	s_wait_dscnt 0x1
	v_mul_f64_e32 v[102:103], v[48:49], v[56:57]
	v_mul_f64_e32 v[104:105], v[46:47], v[56:57]
	s_wait_dscnt 0x0
	v_mul_f64_e32 v[110:111], v[48:49], v[60:61]
	v_mul_f64_e32 v[114:115], v[46:47], v[60:61]
	;; [unrolled: 1-line block ×6, first 2 shown]
	ds_load_b128 v[24:27], v45 offset:64
	ds_load_b128 v[32:35], v44 offset:2048
	;; [unrolled: 1-line block ×4, first 2 shown]
	v_add_f64_e32 v[2:3], v[2:3], v[106:107]
	v_add_f64_e32 v[86:87], v[108:109], v[70:71]
	;; [unrolled: 1-line block ×8, first 2 shown]
	s_wait_dscnt 0x2
	v_mul_f64_e32 v[100:101], v[26:27], v[34:35]
	v_mul_f64_e32 v[106:107], v[24:25], v[34:35]
	s_wait_dscnt 0x1
	v_mul_f64_e32 v[108:109], v[26:27], v[38:39]
	v_mul_f64_e32 v[112:113], v[24:25], v[38:39]
	;; [unrolled: 3-line block ×3, first 2 shown]
	v_mul_f64_e32 v[34:35], v[42:43], v[38:39]
	v_mul_f64_e32 v[130:131], v[40:41], v[38:39]
	v_fma_f64 v[38:39], v[46:47], v[54:55], -v[102:103]
	v_fmac_f64_e32 v[104:105], v[48:49], v[54:55]
	v_fma_f64 v[102:103], v[46:47], v[58:59], -v[110:111]
	v_fmac_f64_e32 v[114:115], v[48:49], v[58:59]
	;; [unrolled: 2-line block ×4, first 2 shown]
	ds_load_b128 v[60:63], v45 offset:80
	ds_load_b128 v[64:67], v45 offset:2128
	;; [unrolled: 1-line block ×4, first 2 shown]
	v_add_f64_e32 v[2:3], v[2:3], v[120:121]
	v_add_f64_e32 v[58:59], v[122:123], v[86:87]
	;; [unrolled: 1-line block ×8, first 2 shown]
	v_fma_f64 v[100:101], v[24:25], v[32:33], -v[100:101]
	v_fmac_f64_e32 v[106:107], v[26:27], v[32:33]
	v_fma_f64 v[108:109], v[24:25], v[36:37], -v[108:109]
	s_wait_dscnt 0x1
	v_mul_f64_e32 v[92:93], v[62:63], v[70:71]
	v_mul_f64_e32 v[94:95], v[60:61], v[70:71]
	s_wait_dscnt 0x0
	v_mul_f64_e32 v[96:97], v[62:63], v[74:75]
	v_mul_f64_e32 v[98:99], v[60:61], v[74:75]
	;; [unrolled: 1-line block ×6, first 2 shown]
	v_fmac_f64_e32 v[112:113], v[26:27], v[36:37]
	v_fma_f64 v[124:125], v[40:41], v[32:33], -v[124:125]
	v_fmac_f64_e32 v[128:129], v[42:43], v[32:33]
	v_fma_f64 v[126:127], v[40:41], v[36:37], -v[34:35]
	v_fmac_f64_e32 v[130:131], v[42:43], v[36:37]
	ds_load_b128 v[46:49], v45 offset:96
	ds_load_b128 v[50:53], v44 offset:3072
	;; [unrolled: 1-line block ×4, first 2 shown]
	v_add_f64_e32 v[2:3], v[2:3], v[38:39]
	v_add_f64_e32 v[58:59], v[104:105], v[58:59]
	;; [unrolled: 1-line block ×8, first 2 shown]
	ds_load_b128 v[24:27], v45 offset:112
	ds_load_b128 v[32:35], v45 offset:2160
	ds_load_b128 v[36:39], v44 offset:3584
	ds_load_b128 v[40:43], v44 offset:3840
	s_wait_dscnt 0x0
	v_mul_f64_e32 v[102:103], v[48:49], v[52:53]
	v_mul_f64_e32 v[104:105], v[46:47], v[52:53]
	;; [unrolled: 1-line block ×8, first 2 shown]
	v_fma_f64 v[92:93], v[60:61], v[68:69], -v[92:93]
	v_fmac_f64_e32 v[94:95], v[62:63], v[68:69]
	v_fma_f64 v[60:61], v[60:61], v[72:73], -v[96:97]
	v_fmac_f64_e32 v[98:99], v[62:63], v[72:73]
	;; [unrolled: 2-line block ×4, first 2 shown]
	s_barrier_signal -1
	s_barrier_wait -1
	v_mul_f64_e32 v[96:97], v[24:25], v[42:43]
	v_add_f64_e32 v[2:3], v[2:3], v[100:101]
	v_add_f64_e32 v[58:59], v[106:107], v[58:59]
	;; [unrolled: 1-line block ×8, first 2 shown]
	v_mul_f64_e32 v[86:87], v[26:27], v[38:39]
	v_mul_f64_e32 v[88:89], v[24:25], v[38:39]
	;; [unrolled: 1-line block ×7, first 2 shown]
	v_fma_f64 v[42:43], v[46:47], v[50:51], -v[102:103]
	v_fmac_f64_e32 v[104:105], v[48:49], v[50:51]
	v_fma_f64 v[46:47], v[46:47], v[54:55], -v[110:111]
	v_fmac_f64_e32 v[114:115], v[48:49], v[54:55]
	;; [unrolled: 2-line block ×4, first 2 shown]
	v_fmac_f64_e32 v[96:97], v[26:27], v[40:41]
	v_add_f64_e32 v[2:3], v[2:3], v[92:93]
	v_add_f64_e32 v[54:55], v[94:95], v[58:59]
	;; [unrolled: 1-line block ×8, first 2 shown]
	v_fma_f64 v[70:71], v[24:25], v[36:37], -v[86:87]
	v_fmac_f64_e32 v[88:89], v[26:27], v[36:37]
	v_fma_f64 v[24:25], v[24:25], v[40:41], -v[90:91]
	v_fma_f64 v[26:27], v[32:33], v[36:37], -v[100:101]
	v_fmac_f64_e32 v[106:107], v[34:35], v[36:37]
	v_fma_f64 v[72:73], v[32:33], v[40:41], -v[38:39]
	v_fmac_f64_e32 v[108:109], v[34:35], v[40:41]
	v_add_f64_e32 v[2:3], v[2:3], v[42:43]
	v_add_f64_e32 v[32:33], v[104:105], v[54:55]
	;; [unrolled: 1-line block ×16, first 2 shown]
	s_cbranch_vccz .LBB562_21
.LBB562_10:                             ;   Parent Loop BB562_7 Depth=1
                                        ; =>  This Inner Loop Header: Depth=2
	s_mov_b32 s19, 0
	s_mov_b32 s25, s36
	s_and_saveexec_b32 s24, s0
	s_cbranch_execnz .LBB562_18
; %bb.11:                               ;   in Loop: Header=BB562_10 Depth=2
	s_or_b32 exec_lo, exec_lo, s24
	s_and_saveexec_b32 s24, s25
	s_delay_alu instid0(SALU_CYCLE_1)
	s_xor_b32 s24, exec_lo, s24
	s_cbranch_execnz .LBB562_19
.LBB562_12:                             ;   in Loop: Header=BB562_10 Depth=2
	s_or_b32 exec_lo, exec_lo, s24
	s_and_saveexec_b32 s24, s19
	s_cbranch_execz .LBB562_14
.LBB562_13:                             ;   in Loop: Header=BB562_10 Depth=2
	v_lshl_add_u64 v[2:3], v[22:23], 4, v[28:29]
	flat_load_b128 v[46:49], v[2:3]
	s_wait_loadcnt_dscnt 0x0
	ds_store_2addr_b64 v7, v[46:47], v[48:49] offset1:1
.LBB562_14:                             ;   in Loop: Header=BB562_10 Depth=2
	s_wait_xcnt 0x0
	s_or_b32 exec_lo, exec_lo, s24
	v_add_nc_u32_e32 v0, s16, v6
	s_delay_alu instid0(VALU_DEP_1) | instskip(SKIP_1) | instid1(SALU_CYCLE_1)
	v_cmp_le_u64_e32 vcc_lo, s[8:9], v[0:1]
	s_or_b32 s19, vcc_lo, s18
	s_and_saveexec_b32 s24, s19
	s_delay_alu instid0(SALU_CYCLE_1)
	s_xor_b32 s19, exec_lo, s24
; %bb.15:                               ;   in Loop: Header=BB562_10 Depth=2
	v_dual_mov_b32 v0, v1 :: v_dual_mov_b32 v2, v1
	v_mov_b32_e32 v3, v1
	ds_store_b128 v9, v[0:3]
; %bb.16:                               ;   in Loop: Header=BB562_10 Depth=2
	s_and_not1_saveexec_b32 s19, s19
	s_cbranch_execz .LBB562_9
; %bb.17:                               ;   in Loop: Header=BB562_10 Depth=2
	v_mul_u64_e32 v[2:3], s[22:23], v[0:1]
	s_delay_alu instid0(VALU_DEP_1)
	v_lshl_add_u64 v[2:3], v[2:3], 4, v[30:31]
	flat_load_b128 v[46:49], v[2:3]
	s_wait_loadcnt_dscnt 0x0
	ds_store_2addr_b64 v9, v[46:47], v[48:49] offset1:1
	s_branch .LBB562_9
.LBB562_18:                             ;   in Loop: Header=BB562_10 Depth=2
	v_add_nc_u32_e32 v0, s16, v8
	s_and_not1_b32 s25, s36, exec_lo
	s_mov_b32 s19, exec_lo
	s_delay_alu instid0(VALU_DEP_1) | instskip(SKIP_2) | instid1(SALU_CYCLE_1)
	v_cmp_le_u64_e32 vcc_lo, s[8:9], v[0:1]
	v_mov_b64_e32 v[22:23], v[0:1]
	s_and_b32 s42, vcc_lo, exec_lo
	s_or_b32 s25, s25, s42
	s_or_b32 exec_lo, exec_lo, s24
	s_and_saveexec_b32 s24, s25
	s_delay_alu instid0(SALU_CYCLE_1)
	s_xor_b32 s24, exec_lo, s24
	s_cbranch_execz .LBB562_12
.LBB562_19:                             ;   in Loop: Header=BB562_10 Depth=2
	v_dual_mov_b32 v0, v1 :: v_dual_mov_b32 v2, v1
	v_mov_b32_e32 v3, v1
	s_and_not1_b32 s19, s19, exec_lo
	ds_store_b128 v7, v[0:3]
	s_or_b32 exec_lo, exec_lo, s24
	s_and_saveexec_b32 s24, s19
	s_cbranch_execnz .LBB562_13
	s_branch .LBB562_14
.LBB562_20:                             ;   in Loop: Header=BB562_7 Depth=1
	v_mov_b64_e32 v[42:43], 0
	v_mov_b64_e32 v[36:37], 0
	;; [unrolled: 1-line block ×7, first 2 shown]
.LBB562_21:                             ;   in Loop: Header=BB562_7 Depth=1
	s_wait_loadcnt 0x0
	v_add_nc_u64_e32 v[28:29], s[6:7], v[4:5]
	s_delay_alu instid0(VALU_DEP_1)
	v_lshl_add_u64 v[30:31], v[14:15], 4, v[28:29]
	s_wait_xcnt 0x0
	s_and_saveexec_b32 s16, s38
	s_cbranch_execz .LBB562_26
; %bb.22:                               ;   in Loop: Header=BB562_7 Depth=1
	v_mul_f64_e32 v[2:3], s[12:13], v[42:43]
	v_mul_f64_e32 v[4:5], s[10:11], v[42:43]
	s_and_b32 vcc_lo, exec_lo, s37
	s_mov_b32 s17, -1
	s_delay_alu instid0(VALU_DEP_2) | instskip(NEXT) | instid1(VALU_DEP_2)
	v_fma_f64 v[2:3], s[10:11], v[40:41], -v[2:3]
	v_fmac_f64_e32 v[4:5], s[12:13], v[40:41]
	v_lshl_add_u64 v[40:41], v[18:19], 4, v[30:31]
	s_cbranch_vccz .LBB562_24
; %bb.23:                               ;   in Loop: Header=BB562_7 Depth=1
	flat_load_b128 v[46:49], v[40:41]
	s_mov_b32 s17, 0
	s_wait_loadcnt_dscnt 0x0
	v_mul_f64_e32 v[42:43], s[28:29], v[48:49]
	v_mul_f64_e32 v[48:49], s[26:27], v[48:49]
	s_delay_alu instid0(VALU_DEP_2) | instskip(NEXT) | instid1(VALU_DEP_2)
	v_fma_f64 v[42:43], s[26:27], v[46:47], -v[42:43]
	v_fmac_f64_e32 v[48:49], s[28:29], v[46:47]
	s_delay_alu instid0(VALU_DEP_2) | instskip(NEXT) | instid1(VALU_DEP_2)
	v_add_f64_e32 v[46:47], v[2:3], v[42:43]
	v_add_f64_e32 v[48:49], v[4:5], v[48:49]
	flat_store_b128 v[40:41], v[46:49]
.LBB562_24:                             ;   in Loop: Header=BB562_7 Depth=1
	s_and_not1_b32 vcc_lo, exec_lo, s17
	s_cbranch_vccnz .LBB562_26
; %bb.25:                               ;   in Loop: Header=BB562_7 Depth=1
	flat_store_b128 v[40:41], v[2:5]
.LBB562_26:                             ;   in Loop: Header=BB562_7 Depth=1
	s_wait_xcnt 0x0
	s_or_b32 exec_lo, exec_lo, s16
	s_and_saveexec_b32 s16, s1
	s_cbranch_execz .LBB562_31
; %bb.27:                               ;   in Loop: Header=BB562_7 Depth=1
	v_mul_f64_e32 v[2:3], s[12:13], v[38:39]
	v_mul_f64_e32 v[4:5], s[10:11], v[38:39]
	v_lshl_add_u64 v[30:31], v[20:21], 4, v[30:31]
	s_and_not1_b32 vcc_lo, exec_lo, s37
	s_mov_b32 s17, -1
	s_delay_alu instid0(VALU_DEP_3) | instskip(NEXT) | instid1(VALU_DEP_3)
	v_fma_f64 v[2:3], s[10:11], v[36:37], -v[2:3]
	v_fmac_f64_e32 v[4:5], s[12:13], v[36:37]
	s_cbranch_vccnz .LBB562_29
; %bb.28:                               ;   in Loop: Header=BB562_7 Depth=1
	flat_load_b128 v[36:39], v[30:31]
	s_mov_b32 s17, 0
	s_wait_loadcnt_dscnt 0x0
	v_mul_f64_e32 v[40:41], s[28:29], v[38:39]
	v_mul_f64_e32 v[38:39], s[26:27], v[38:39]
	s_delay_alu instid0(VALU_DEP_2) | instskip(NEXT) | instid1(VALU_DEP_2)
	v_fma_f64 v[40:41], s[26:27], v[36:37], -v[40:41]
	v_fmac_f64_e32 v[38:39], s[28:29], v[36:37]
	s_delay_alu instid0(VALU_DEP_2) | instskip(NEXT) | instid1(VALU_DEP_2)
	v_add_f64_e32 v[36:37], v[2:3], v[40:41]
	v_add_f64_e32 v[38:39], v[4:5], v[38:39]
	flat_store_b128 v[30:31], v[36:39]
.LBB562_29:                             ;   in Loop: Header=BB562_7 Depth=1
	s_and_not1_b32 vcc_lo, exec_lo, s17
	s_cbranch_vccnz .LBB562_31
; %bb.30:                               ;   in Loop: Header=BB562_7 Depth=1
	flat_store_b128 v[30:31], v[2:5]
.LBB562_31:                             ;   in Loop: Header=BB562_7 Depth=1
	s_wait_xcnt 0x0
	s_or_b32 exec_lo, exec_lo, s16
	v_lshl_add_u64 v[28:29], v[16:17], 4, v[28:29]
	s_and_saveexec_b32 s16, s39
	s_cbranch_execz .LBB562_36
; %bb.32:                               ;   in Loop: Header=BB562_7 Depth=1
	v_mul_f64_e32 v[2:3], s[12:13], v[34:35]
	v_mul_f64_e32 v[4:5], s[10:11], v[34:35]
	v_lshl_add_u64 v[30:31], v[18:19], 4, v[28:29]
	s_and_not1_b32 vcc_lo, exec_lo, s37
	s_mov_b32 s17, -1
	s_delay_alu instid0(VALU_DEP_3) | instskip(NEXT) | instid1(VALU_DEP_3)
	v_fma_f64 v[2:3], s[10:11], v[32:33], -v[2:3]
	v_fmac_f64_e32 v[4:5], s[12:13], v[32:33]
	s_cbranch_vccnz .LBB562_34
; %bb.33:                               ;   in Loop: Header=BB562_7 Depth=1
	flat_load_b128 v[32:35], v[30:31]
	s_mov_b32 s17, 0
	s_wait_loadcnt_dscnt 0x0
	v_mul_f64_e32 v[36:37], s[28:29], v[34:35]
	v_mul_f64_e32 v[34:35], s[26:27], v[34:35]
	s_delay_alu instid0(VALU_DEP_2) | instskip(NEXT) | instid1(VALU_DEP_2)
	v_fma_f64 v[36:37], s[26:27], v[32:33], -v[36:37]
	v_fmac_f64_e32 v[34:35], s[28:29], v[32:33]
	s_delay_alu instid0(VALU_DEP_2) | instskip(NEXT) | instid1(VALU_DEP_2)
	v_add_f64_e32 v[32:33], v[2:3], v[36:37]
	v_add_f64_e32 v[34:35], v[4:5], v[34:35]
	flat_store_b128 v[30:31], v[32:35]
.LBB562_34:                             ;   in Loop: Header=BB562_7 Depth=1
	s_and_not1_b32 vcc_lo, exec_lo, s17
	s_cbranch_vccnz .LBB562_36
; %bb.35:                               ;   in Loop: Header=BB562_7 Depth=1
	flat_store_b128 v[30:31], v[2:5]
.LBB562_36:                             ;   in Loop: Header=BB562_7 Depth=1
	s_wait_xcnt 0x0
	s_or_b32 exec_lo, exec_lo, s16
	s_and_saveexec_b32 s16, s40
	s_cbranch_execz .LBB562_6
; %bb.37:                               ;   in Loop: Header=BB562_7 Depth=1
	s_delay_alu instid0(VALU_DEP_4) | instskip(SKIP_4) | instid1(VALU_DEP_3)
	v_mul_f64_e32 v[2:3], s[12:13], v[24:25]
	v_mul_f64_e32 v[4:5], s[10:11], v[24:25]
	v_lshl_add_u64 v[24:25], v[20:21], 4, v[28:29]
	s_and_not1_b32 vcc_lo, exec_lo, s37
	s_mov_b32 s17, -1
	v_fma_f64 v[2:3], s[10:11], v[26:27], -v[2:3]
	s_delay_alu instid0(VALU_DEP_3)
	v_fmac_f64_e32 v[4:5], s[12:13], v[26:27]
	s_cbranch_vccnz .LBB562_39
; %bb.38:                               ;   in Loop: Header=BB562_7 Depth=1
	flat_load_b128 v[26:29], v[24:25]
	s_mov_b32 s17, 0
	s_wait_loadcnt_dscnt 0x0
	v_mul_f64_e32 v[30:31], s[28:29], v[28:29]
	v_mul_f64_e32 v[28:29], s[26:27], v[28:29]
	s_delay_alu instid0(VALU_DEP_2) | instskip(NEXT) | instid1(VALU_DEP_2)
	v_fma_f64 v[30:31], s[26:27], v[26:27], -v[30:31]
	v_fmac_f64_e32 v[28:29], s[28:29], v[26:27]
	s_delay_alu instid0(VALU_DEP_2) | instskip(NEXT) | instid1(VALU_DEP_2)
	v_add_f64_e32 v[26:27], v[2:3], v[30:31]
	v_add_f64_e32 v[28:29], v[4:5], v[28:29]
	flat_store_b128 v[24:25], v[26:29]
.LBB562_39:                             ;   in Loop: Header=BB562_7 Depth=1
	s_and_not1_b32 vcc_lo, exec_lo, s17
	s_cbranch_vccnz .LBB562_6
; %bb.40:                               ;   in Loop: Header=BB562_7 Depth=1
	flat_store_b128 v[24:25], v[2:5]
	s_branch .LBB562_6
.LBB562_41:
.LBB562_42:
	s_sendmsg sendmsg(MSG_DEALLOC_VGPRS)
	s_endpgm
	.section	.rodata,"a",@progbits
	.p2align	6, 0x0
	.amdhsa_kernel _ZL29rocblas_internal_gemmt_kernelIlLi16ELi32ELi8ELc84ELc84ELc85ELb0ELb0E19rocblas_complex_numIdES1_PKPKS1_PKPS1_EviT_T9_T10_S9_lSB_S9_lSA_T11_S9_li
		.amdhsa_group_segment_fixed_size 8192
		.amdhsa_private_segment_fixed_size 0
		.amdhsa_kernarg_size 124
		.amdhsa_user_sgpr_count 2
		.amdhsa_user_sgpr_dispatch_ptr 0
		.amdhsa_user_sgpr_queue_ptr 0
		.amdhsa_user_sgpr_kernarg_segment_ptr 1
		.amdhsa_user_sgpr_dispatch_id 0
		.amdhsa_user_sgpr_kernarg_preload_length 0
		.amdhsa_user_sgpr_kernarg_preload_offset 0
		.amdhsa_user_sgpr_private_segment_size 0
		.amdhsa_wavefront_size32 1
		.amdhsa_uses_dynamic_stack 0
		.amdhsa_enable_private_segment 0
		.amdhsa_system_sgpr_workgroup_id_x 1
		.amdhsa_system_sgpr_workgroup_id_y 1
		.amdhsa_system_sgpr_workgroup_id_z 1
		.amdhsa_system_sgpr_workgroup_info 0
		.amdhsa_system_vgpr_workitem_id 1
		.amdhsa_next_free_vgpr 134
		.amdhsa_next_free_sgpr 43
		.amdhsa_named_barrier_count 0
		.amdhsa_reserve_vcc 1
		.amdhsa_float_round_mode_32 0
		.amdhsa_float_round_mode_16_64 0
		.amdhsa_float_denorm_mode_32 3
		.amdhsa_float_denorm_mode_16_64 3
		.amdhsa_fp16_overflow 0
		.amdhsa_memory_ordered 1
		.amdhsa_forward_progress 1
		.amdhsa_inst_pref_size 24
		.amdhsa_round_robin_scheduling 0
		.amdhsa_exception_fp_ieee_invalid_op 0
		.amdhsa_exception_fp_denorm_src 0
		.amdhsa_exception_fp_ieee_div_zero 0
		.amdhsa_exception_fp_ieee_overflow 0
		.amdhsa_exception_fp_ieee_underflow 0
		.amdhsa_exception_fp_ieee_inexact 0
		.amdhsa_exception_int_div_zero 0
	.end_amdhsa_kernel
	.section	.text._ZL29rocblas_internal_gemmt_kernelIlLi16ELi32ELi8ELc84ELc84ELc85ELb0ELb0E19rocblas_complex_numIdES1_PKPKS1_PKPS1_EviT_T9_T10_S9_lSB_S9_lSA_T11_S9_li,"axG",@progbits,_ZL29rocblas_internal_gemmt_kernelIlLi16ELi32ELi8ELc84ELc84ELc85ELb0ELb0E19rocblas_complex_numIdES1_PKPKS1_PKPS1_EviT_T9_T10_S9_lSB_S9_lSA_T11_S9_li,comdat
.Lfunc_end562:
	.size	_ZL29rocblas_internal_gemmt_kernelIlLi16ELi32ELi8ELc84ELc84ELc85ELb0ELb0E19rocblas_complex_numIdES1_PKPKS1_PKPS1_EviT_T9_T10_S9_lSB_S9_lSA_T11_S9_li, .Lfunc_end562-_ZL29rocblas_internal_gemmt_kernelIlLi16ELi32ELi8ELc84ELc84ELc85ELb0ELb0E19rocblas_complex_numIdES1_PKPKS1_PKPS1_EviT_T9_T10_S9_lSB_S9_lSA_T11_S9_li
                                        ; -- End function
	.set _ZL29rocblas_internal_gemmt_kernelIlLi16ELi32ELi8ELc84ELc84ELc85ELb0ELb0E19rocblas_complex_numIdES1_PKPKS1_PKPS1_EviT_T9_T10_S9_lSB_S9_lSA_T11_S9_li.num_vgpr, 134
	.set _ZL29rocblas_internal_gemmt_kernelIlLi16ELi32ELi8ELc84ELc84ELc85ELb0ELb0E19rocblas_complex_numIdES1_PKPKS1_PKPS1_EviT_T9_T10_S9_lSB_S9_lSA_T11_S9_li.num_agpr, 0
	.set _ZL29rocblas_internal_gemmt_kernelIlLi16ELi32ELi8ELc84ELc84ELc85ELb0ELb0E19rocblas_complex_numIdES1_PKPKS1_PKPS1_EviT_T9_T10_S9_lSB_S9_lSA_T11_S9_li.numbered_sgpr, 43
	.set _ZL29rocblas_internal_gemmt_kernelIlLi16ELi32ELi8ELc84ELc84ELc85ELb0ELb0E19rocblas_complex_numIdES1_PKPKS1_PKPS1_EviT_T9_T10_S9_lSB_S9_lSA_T11_S9_li.num_named_barrier, 0
	.set _ZL29rocblas_internal_gemmt_kernelIlLi16ELi32ELi8ELc84ELc84ELc85ELb0ELb0E19rocblas_complex_numIdES1_PKPKS1_PKPS1_EviT_T9_T10_S9_lSB_S9_lSA_T11_S9_li.private_seg_size, 0
	.set _ZL29rocblas_internal_gemmt_kernelIlLi16ELi32ELi8ELc84ELc84ELc85ELb0ELb0E19rocblas_complex_numIdES1_PKPKS1_PKPS1_EviT_T9_T10_S9_lSB_S9_lSA_T11_S9_li.uses_vcc, 1
	.set _ZL29rocblas_internal_gemmt_kernelIlLi16ELi32ELi8ELc84ELc84ELc85ELb0ELb0E19rocblas_complex_numIdES1_PKPKS1_PKPS1_EviT_T9_T10_S9_lSB_S9_lSA_T11_S9_li.uses_flat_scratch, 0
	.set _ZL29rocblas_internal_gemmt_kernelIlLi16ELi32ELi8ELc84ELc84ELc85ELb0ELb0E19rocblas_complex_numIdES1_PKPKS1_PKPS1_EviT_T9_T10_S9_lSB_S9_lSA_T11_S9_li.has_dyn_sized_stack, 0
	.set _ZL29rocblas_internal_gemmt_kernelIlLi16ELi32ELi8ELc84ELc84ELc85ELb0ELb0E19rocblas_complex_numIdES1_PKPKS1_PKPS1_EviT_T9_T10_S9_lSB_S9_lSA_T11_S9_li.has_recursion, 0
	.set _ZL29rocblas_internal_gemmt_kernelIlLi16ELi32ELi8ELc84ELc84ELc85ELb0ELb0E19rocblas_complex_numIdES1_PKPKS1_PKPS1_EviT_T9_T10_S9_lSB_S9_lSA_T11_S9_li.has_indirect_call, 0
	.section	.AMDGPU.csdata,"",@progbits
; Kernel info:
; codeLenInByte = 3020
; TotalNumSgprs: 45
; NumVgprs: 134
; ScratchSize: 0
; MemoryBound: 0
; FloatMode: 240
; IeeeMode: 1
; LDSByteSize: 8192 bytes/workgroup (compile time only)
; SGPRBlocks: 0
; VGPRBlocks: 8
; NumSGPRsForWavesPerEU: 45
; NumVGPRsForWavesPerEU: 134
; NamedBarCnt: 0
; Occupancy: 7
; WaveLimiterHint : 1
; COMPUTE_PGM_RSRC2:SCRATCH_EN: 0
; COMPUTE_PGM_RSRC2:USER_SGPR: 2
; COMPUTE_PGM_RSRC2:TRAP_HANDLER: 0
; COMPUTE_PGM_RSRC2:TGID_X_EN: 1
; COMPUTE_PGM_RSRC2:TGID_Y_EN: 1
; COMPUTE_PGM_RSRC2:TGID_Z_EN: 1
; COMPUTE_PGM_RSRC2:TIDIG_COMP_CNT: 1
	.section	.text._ZL29rocblas_internal_gemmt_kernelIlLi16ELi32ELi8ELc84ELc67ELc85ELb0ELb1E19rocblas_complex_numIdES1_PKPKS1_PKPS1_EviT_T9_T10_S9_lSB_S9_lSA_T11_S9_li,"axG",@progbits,_ZL29rocblas_internal_gemmt_kernelIlLi16ELi32ELi8ELc84ELc67ELc85ELb0ELb1E19rocblas_complex_numIdES1_PKPKS1_PKPS1_EviT_T9_T10_S9_lSB_S9_lSA_T11_S9_li,comdat
	.globl	_ZL29rocblas_internal_gemmt_kernelIlLi16ELi32ELi8ELc84ELc67ELc85ELb0ELb1E19rocblas_complex_numIdES1_PKPKS1_PKPS1_EviT_T9_T10_S9_lSB_S9_lSA_T11_S9_li ; -- Begin function _ZL29rocblas_internal_gemmt_kernelIlLi16ELi32ELi8ELc84ELc67ELc85ELb0ELb1E19rocblas_complex_numIdES1_PKPKS1_PKPS1_EviT_T9_T10_S9_lSB_S9_lSA_T11_S9_li
	.p2align	8
	.type	_ZL29rocblas_internal_gemmt_kernelIlLi16ELi32ELi8ELc84ELc67ELc85ELb0ELb1E19rocblas_complex_numIdES1_PKPKS1_PKPS1_EviT_T9_T10_S9_lSB_S9_lSA_T11_S9_li,@function
_ZL29rocblas_internal_gemmt_kernelIlLi16ELi32ELi8ELc84ELc67ELc85ELb0ELb1E19rocblas_complex_numIdES1_PKPKS1_PKPS1_EviT_T9_T10_S9_lSB_S9_lSA_T11_S9_li: ; @_ZL29rocblas_internal_gemmt_kernelIlLi16ELi32ELi8ELc84ELc67ELc85ELb0ELb1E19rocblas_complex_numIdES1_PKPKS1_PKPS1_EviT_T9_T10_S9_lSB_S9_lSA_T11_S9_li
; %bb.0:
	s_clause 0x1
	s_load_b256 s[24:31], s[0:1], 0x48
	s_load_b512 s[8:23], s[0:1], 0x8
	s_wait_kmcnt 0x0
	v_cmp_eq_f64_e64 s2, s[26:27], 1.0
	v_cmp_eq_f64_e64 s3, s[28:29], 0
	s_and_b32 s2, s2, s3
	s_delay_alu instid0(SALU_CYCLE_1)
	s_and_not1_b32 vcc_lo, exec_lo, s2
	s_mov_b32 s2, -1
	s_cbranch_vccnz .LBB563_3
; %bb.1:
	s_cmp_lg_u64 s[8:9], 0
	s_cbranch_scc0 .LBB563_39
; %bb.2:
	v_cmp_neq_f64_e64 s2, s[10:11], 0
	v_cmp_neq_f64_e64 s4, s[12:13], 0
	s_or_b32 s2, s2, s4
.LBB563_3:
	s_delay_alu instid0(SALU_CYCLE_1)
	s_and_b32 vcc_lo, exec_lo, s2
	s_cbranch_vccz .LBB563_40
; %bb.4:
	s_load_b32 s33, s[0:1], 0x78
	s_bfe_u32 s2, ttmp6, 0x40014
	s_lshr_b32 s4, ttmp7, 16
	s_add_co_i32 s2, s2, 1
	s_bfe_u32 s6, ttmp6, 0x40008
	s_mul_i32 s5, s4, s2
	s_getreg_b32 s2, hwreg(HW_REG_IB_STS2, 6, 4)
	s_add_co_i32 s6, s6, s5
	s_cmp_eq_u32 s2, 0
	s_mov_b32 s35, 0
	s_cselect_b32 s34, s4, s6
	s_wait_kmcnt 0x0
	s_cmp_ge_u32 s34, s33
	s_cbranch_scc1 .LBB563_40
; %bb.5:
	s_clause 0x1
	s_load_b128 s[4:7], s[0:1], 0x68
	s_load_b32 s39, s[0:1], 0x0
	s_wait_xcnt 0x0
	s_bfe_u32 s1, ttmp6, 0x4000c
	s_bfe_u32 s40, ttmp6, 0x40010
	s_and_b32 s38, ttmp7, 0xffff
	s_add_co_i32 s1, s1, 1
	s_add_co_i32 s40, s40, 1
	v_and_b32_e32 v19, 0x3ff, v0
	v_bfe_u32 v21, v0, 10, 10
	s_and_b32 s0, ttmp6, 15
	s_bfe_u32 s41, ttmp6, 0x40004
	s_mul_i32 s1, ttmp9, s1
	s_mul_i32 s40, s38, s40
	s_add_co_i32 s0, s0, s1
	s_add_co_i32 s41, s41, s40
	s_cmp_eq_u32 s2, 0
	v_lshl_add_u32 v1, v21, 4, v19
	s_cselect_b32 s1, s38, s41
	s_cselect_b32 s0, ttmp9, s0
	s_lshl_b32 s1, s1, 5
	s_delay_alu instid0(VALU_DEP_1) | instskip(SKIP_4) | instid1(VALU_DEP_3)
	v_dual_lshrrev_b32 v9, 3, v1 :: v_dual_bitop2_b32 v6, 7, v0 bitop3:0x40
	v_dual_lshrrev_b32 v8, 5, v1 :: v_dual_bitop2_b32 v7, 31, v1 bitop3:0x40
	s_lshl_b32 s2, s0, 5
	v_add_nc_u32_e32 v0, s1, v21
	v_cmp_neq_f64_e64 s36, s[10:11], 0
	v_dual_add_nc_u32 v10, s1, v9 :: v_dual_bitop2_b32 v2, s2, v7 bitop3:0x54
	v_cmp_neq_f64_e64 s37, s[12:13], 0
	s_delay_alu instid0(VALU_DEP_4) | instskip(SKIP_1) | instid1(VALU_DEP_4)
	v_add_nc_u32_e32 v4, 16, v0
	v_cmp_neq_f64_e64 s40, s[26:27], 0
	v_dual_ashrrev_i32 v3, 31, v2 :: v_dual_ashrrev_i32 v1, 31, v0
	s_delay_alu instid0(VALU_DEP_3) | instskip(SKIP_1) | instid1(VALU_DEP_3)
	v_dual_lshlrev_b32 v11, 4, v6 :: v_dual_ashrrev_i32 v5, 31, v4
	v_dual_add_nc_u32 v18, s2, v19 :: v_dual_lshlrev_b32 v46, 4, v19
	v_mul_u64_e32 v[12:13], s[16:17], v[2:3]
	s_wait_kmcnt 0x0
	v_mul_u64_e32 v[14:15], s[4:5], v[0:1]
	v_mul_u64_e32 v[16:17], s[4:5], v[4:5]
	v_cmp_gt_i32_e32 vcc_lo, s39, v0
	v_cmp_le_i32_e64 s2, v18, v0
	v_dual_add_nc_u32 v20, 16, v18 :: v_dual_ashrrev_i32 v19, 31, v18
	v_lshlrev_b32_e32 v7, 4, v7
	v_lshl_or_b32 v1, v9, 7, v11
	v_cmp_gt_i64_e64 s43, s[8:9], 0
	s_xor_b32 s3, s3, -1
	s_and_b32 s38, vcc_lo, s2
	v_cmp_le_i32_e64 s2, v20, v0
	v_cmp_le_i32_e64 s4, v18, v4
	;; [unrolled: 1-line block ×3, first 2 shown]
	v_cmp_gt_i32_e64 s0, s39, v2
	v_cmp_gt_i32_e64 s1, s39, v10
	v_add_nc_u32_e32 v9, 0x1000, v1
	v_ashrrev_i32_e32 v11, 31, v10
	v_lshl_or_b32 v7, v8, 9, v7
	v_lshl_add_u32 v47, v21, 7, 0x1000
	v_dual_ashrrev_i32 v21, 31, v20 :: v_dual_mov_b32 v1, 0
	s_or_b32 s42, s36, s37
	v_cmp_le_i32_e64 s36, s39, v2
	s_or_b32 s37, s40, s3
	v_cmp_gt_i32_e64 s3, s39, v4
	s_and_b32 s39, vcc_lo, s2
	s_and_b32 s42, s42, s43
	s_lshl_b64 s[6:7], s[6:7], 4
                                        ; implicit-def: $vgpr22_vgpr23
	s_and_b32 s40, s3, s4
	s_and_b32 s41, s3, s5
	s_lshl_b64 s[2:3], s[24:25], 4
	s_lshl_b64 s[4:5], s[18:19], 4
	s_branch .LBB563_7
.LBB563_6:                              ;   in Loop: Header=BB563_7 Depth=1
	s_wait_xcnt 0x0
	s_or_b32 exec_lo, exec_lo, s16
	s_add_co_i32 s34, s34, 0x10000
	s_delay_alu instid0(SALU_CYCLE_1)
	s_cmp_lt_u32 s34, s33
	s_cbranch_scc0 .LBB563_40
.LBB563_7:                              ; =>This Loop Header: Depth=1
                                        ;     Child Loop BB563_10 Depth 2
	v_mov_b32_e32 v0, s34
	v_mov_b64_e32 v[42:43], 0
	s_and_not1_b32 vcc_lo, exec_lo, s42
	global_load_b64 v[24:25], v0, s[30:31] scale_offset
	s_cbranch_vccnz .LBB563_18
; %bb.8:                                ;   in Loop: Header=BB563_7 Depth=1
	s_lshl_b64 s[16:17], s[34:35], 3
	v_mov_b64_e32 v[26:27], 0
	s_add_nc_u64 s[18:19], s[14:15], s[16:17]
	s_add_nc_u64 s[16:17], s[20:21], s[16:17]
	s_clause 0x1
	global_load_b64 v[2:3], v1, s[18:19]
	global_load_b64 v[4:5], v1, s[16:17]
	v_mov_b64_e32 v[28:29], 0
	v_mov_b64_e32 v[36:37], 0
	;; [unrolled: 1-line block ×7, first 2 shown]
	s_wait_xcnt 0x0
	s_mov_b64 s[16:17], 0
	s_wait_loadcnt 0x1
	v_add_nc_u64_e32 v[2:3], s[4:5], v[2:3]
	s_wait_loadcnt 0x0
	v_add_nc_u64_e32 v[4:5], s[2:3], v[4:5]
	s_delay_alu instid0(VALU_DEP_2) | instskip(NEXT) | instid1(VALU_DEP_2)
	v_lshl_add_u64 v[30:31], v[12:13], 4, v[2:3]
	v_lshl_add_u64 v[32:33], v[10:11], 4, v[4:5]
	s_branch .LBB563_10
.LBB563_9:                              ;   in Loop: Header=BB563_10 Depth=2
	s_wait_xcnt 0x0
	s_or_b32 exec_lo, exec_lo, s18
	ds_store_b128 v9, v[2:5]
	s_wait_dscnt 0x0
	s_barrier_signal -1
	s_barrier_wait -1
	ds_load_b128 v[2:5], v47
	ds_load_b128 v[48:51], v46
	ds_load_b128 v[52:55], v46 offset:256
	ds_load_b128 v[56:59], v47 offset:2048
	;; [unrolled: 1-line block ×10, first 2 shown]
	s_add_nc_u64 s[16:17], s[16:17], 8
	s_delay_alu instid0(SALU_CYCLE_1)
	v_cmp_gt_i64_e64 s18, s[8:9], s[16:17]
	s_and_b32 vcc_lo, exec_lo, s18
	s_wait_dscnt 0xa
	v_mul_f64_e32 v[92:93], v[4:5], v[50:51]
	v_mul_f64_e32 v[94:95], v[2:3], v[50:51]
	s_wait_dscnt 0x9
	v_mul_f64_e32 v[96:97], v[4:5], v[54:55]
	v_mul_f64_e32 v[98:99], v[2:3], v[54:55]
	s_wait_dscnt 0x8
	v_mul_f64_e32 v[100:101], v[58:59], v[50:51]
	v_mul_f64_e32 v[102:103], v[56:57], v[50:51]
	v_mul_f64_e32 v[50:51], v[58:59], v[54:55]
	v_mul_f64_e32 v[104:105], v[56:57], v[54:55]
	s_wait_dscnt 0x6
	v_mul_f64_e32 v[106:107], v[62:63], v[66:67]
	v_mul_f64_e32 v[108:109], v[60:61], v[66:67]
	s_wait_dscnt 0x5
	v_mul_f64_e32 v[110:111], v[62:63], v[70:71]
	v_mul_f64_e32 v[112:113], v[60:61], v[70:71]
	s_wait_dscnt 0x4
	v_mul_f64_e32 v[114:115], v[74:75], v[66:67]
	v_mul_f64_e32 v[66:67], v[72:73], v[66:67]
	v_mul_f64_e32 v[116:117], v[74:75], v[70:71]
	v_mul_f64_e32 v[70:71], v[72:73], v[70:71]
	;; [unrolled: 11-line block ×3, first 2 shown]
	v_fma_f64 v[92:93], v[2:3], v[48:49], -v[92:93]
	v_fmac_f64_e32 v[94:95], v[4:5], v[48:49]
	v_fma_f64 v[96:97], v[2:3], v[52:53], -v[96:97]
	v_fmac_f64_e32 v[98:99], v[4:5], v[52:53]
	;; [unrolled: 2-line block ×8, first 2 shown]
	ds_load_b128 v[2:5], v47 offset:48
	ds_load_b128 v[48:51], v47 offset:2096
	;; [unrolled: 1-line block ×4, first 2 shown]
	v_fma_f64 v[120:121], v[76:77], v[80:81], -v[120:121]
	v_fmac_f64_e32 v[122:123], v[78:79], v[80:81]
	v_fma_f64 v[76:77], v[76:77], v[84:85], -v[124:125]
	v_fmac_f64_e32 v[126:127], v[78:79], v[84:85]
	;; [unrolled: 2-line block ×4, first 2 shown]
	v_add_f64_e32 v[68:69], v[42:43], v[92:93]
	v_add_f64_e32 v[72:73], v[94:95], v[44:45]
	;; [unrolled: 1-line block ×8, first 2 shown]
	s_wait_dscnt 0x1
	v_mul_f64_e32 v[102:103], v[4:5], v[54:55]
	v_mul_f64_e32 v[104:105], v[2:3], v[54:55]
	s_wait_dscnt 0x0
	v_mul_f64_e32 v[110:111], v[4:5], v[58:59]
	v_mul_f64_e32 v[114:115], v[2:3], v[58:59]
	;; [unrolled: 1-line block ×6, first 2 shown]
	ds_load_b128 v[26:29], v47 offset:64
	ds_load_b128 v[34:37], v46 offset:2048
	;; [unrolled: 1-line block ×4, first 2 shown]
	v_add_f64_e32 v[84:85], v[68:69], v[106:107]
	v_add_f64_e32 v[88:89], v[108:109], v[72:73]
	;; [unrolled: 1-line block ×8, first 2 shown]
	s_wait_dscnt 0x2
	v_mul_f64_e32 v[100:101], v[28:29], v[36:37]
	v_mul_f64_e32 v[106:107], v[26:27], v[36:37]
	s_wait_dscnt 0x1
	v_mul_f64_e32 v[108:109], v[28:29], v[40:41]
	v_mul_f64_e32 v[112:113], v[26:27], v[40:41]
	;; [unrolled: 3-line block ×3, first 2 shown]
	v_mul_f64_e32 v[36:37], v[44:45], v[40:41]
	v_mul_f64_e32 v[130:131], v[42:43], v[40:41]
	v_fma_f64 v[40:41], v[2:3], v[52:53], -v[102:103]
	v_fmac_f64_e32 v[104:105], v[4:5], v[52:53]
	v_fma_f64 v[102:103], v[2:3], v[56:57], -v[110:111]
	v_fmac_f64_e32 v[114:115], v[4:5], v[56:57]
	;; [unrolled: 2-line block ×4, first 2 shown]
	ds_load_b128 v[58:61], v47 offset:80
	ds_load_b128 v[62:65], v47 offset:2128
	;; [unrolled: 1-line block ×4, first 2 shown]
	v_add_f64_e32 v[56:57], v[84:85], v[120:121]
	v_add_f64_e32 v[84:85], v[122:123], v[88:89]
	;; [unrolled: 1-line block ×8, first 2 shown]
	v_fma_f64 v[100:101], v[26:27], v[34:35], -v[100:101]
	v_fmac_f64_e32 v[106:107], v[28:29], v[34:35]
	v_fma_f64 v[108:109], v[26:27], v[38:39], -v[108:109]
	s_wait_dscnt 0x1
	v_mul_f64_e32 v[92:93], v[60:61], v[68:69]
	v_mul_f64_e32 v[94:95], v[58:59], v[68:69]
	s_wait_dscnt 0x0
	v_mul_f64_e32 v[96:97], v[60:61], v[72:73]
	v_mul_f64_e32 v[98:99], v[58:59], v[72:73]
	;; [unrolled: 1-line block ×6, first 2 shown]
	v_fmac_f64_e32 v[112:113], v[28:29], v[38:39]
	v_fma_f64 v[124:125], v[42:43], v[34:35], -v[124:125]
	v_fmac_f64_e32 v[128:129], v[44:45], v[34:35]
	v_fma_f64 v[126:127], v[42:43], v[38:39], -v[36:37]
	v_fmac_f64_e32 v[130:131], v[44:45], v[38:39]
	ds_load_b128 v[2:5], v47 offset:96
	ds_load_b128 v[48:51], v46 offset:3072
	;; [unrolled: 1-line block ×4, first 2 shown]
	v_add_f64_e32 v[56:57], v[56:57], v[40:41]
	v_add_f64_e32 v[84:85], v[104:105], v[84:85]
	;; [unrolled: 1-line block ×8, first 2 shown]
	ds_load_b128 v[26:29], v47 offset:112
	ds_load_b128 v[34:37], v47 offset:2160
	;; [unrolled: 1-line block ×4, first 2 shown]
	s_wait_dscnt 0x0
	v_mul_f64_e32 v[102:103], v[4:5], v[50:51]
	v_mul_f64_e32 v[104:105], v[2:3], v[50:51]
	v_mul_f64_e32 v[110:111], v[4:5], v[54:55]
	v_mul_f64_e32 v[114:115], v[2:3], v[54:55]
	v_mul_f64_e32 v[116:117], v[76:77], v[50:51]
	v_mul_f64_e32 v[50:51], v[74:75], v[50:51]
	v_mul_f64_e32 v[118:119], v[76:77], v[54:55]
	v_mul_f64_e32 v[54:55], v[74:75], v[54:55]
	v_fma_f64 v[92:93], v[58:59], v[66:67], -v[92:93]
	v_fmac_f64_e32 v[94:95], v[60:61], v[66:67]
	v_fma_f64 v[58:59], v[58:59], v[70:71], -v[96:97]
	v_fmac_f64_e32 v[98:99], v[60:61], v[70:71]
	;; [unrolled: 2-line block ×4, first 2 shown]
	s_barrier_signal -1
	s_barrier_wait -1
	v_mul_f64_e32 v[96:97], v[26:27], v[44:45]
	v_add_f64_e32 v[56:57], v[56:57], v[100:101]
	v_add_f64_e32 v[64:65], v[106:107], v[84:85]
	;; [unrolled: 1-line block ×8, first 2 shown]
	v_mul_f64_e32 v[86:87], v[28:29], v[40:41]
	v_mul_f64_e32 v[88:89], v[26:27], v[40:41]
	;; [unrolled: 1-line block ×7, first 2 shown]
	v_fma_f64 v[44:45], v[2:3], v[48:49], -v[102:103]
	v_fmac_f64_e32 v[104:105], v[4:5], v[48:49]
	v_fma_f64 v[2:3], v[2:3], v[52:53], -v[110:111]
	v_fmac_f64_e32 v[114:115], v[4:5], v[52:53]
	;; [unrolled: 2-line block ×4, first 2 shown]
	v_fmac_f64_e32 v[96:97], v[28:29], v[42:43]
	v_add_f64_e32 v[52:53], v[56:57], v[92:93]
	v_add_f64_e32 v[56:57], v[94:95], v[64:65]
	;; [unrolled: 1-line block ×8, first 2 shown]
	v_fma_f64 v[70:71], v[26:27], v[38:39], -v[86:87]
	v_fmac_f64_e32 v[88:89], v[28:29], v[38:39]
	v_fma_f64 v[26:27], v[26:27], v[42:43], -v[90:91]
	v_fma_f64 v[28:29], v[34:35], v[38:39], -v[100:101]
	v_fmac_f64_e32 v[106:107], v[36:37], v[38:39]
	v_fma_f64 v[72:73], v[34:35], v[42:43], -v[40:41]
	v_fmac_f64_e32 v[108:109], v[36:37], v[42:43]
	v_add_f64_e32 v[34:35], v[52:53], v[44:45]
	v_add_f64_e32 v[36:37], v[104:105], v[56:57]
	;; [unrolled: 1-line block ×16, first 2 shown]
	s_cbranch_vccz .LBB563_19
.LBB563_10:                             ;   Parent Loop BB563_7 Depth=1
                                        ; =>  This Inner Loop Header: Depth=2
	s_mov_b32 s18, 0
	s_mov_b32 s24, s36
	s_and_saveexec_b32 s19, s0
	s_cbranch_execnz .LBB563_16
; %bb.11:                               ;   in Loop: Header=BB563_10 Depth=2
	s_or_b32 exec_lo, exec_lo, s19
	s_and_saveexec_b32 s19, s24
	s_delay_alu instid0(SALU_CYCLE_1)
	s_xor_b32 s19, exec_lo, s19
	s_cbranch_execnz .LBB563_17
.LBB563_12:                             ;   in Loop: Header=BB563_10 Depth=2
	s_or_b32 exec_lo, exec_lo, s19
	s_and_saveexec_b32 s19, s18
	s_cbranch_execz .LBB563_14
.LBB563_13:                             ;   in Loop: Header=BB563_10 Depth=2
	v_lshl_add_u64 v[2:3], v[22:23], 4, v[30:31]
	flat_load_b128 v[2:5], v[2:3]
	s_wait_loadcnt_dscnt 0x0
	ds_store_2addr_b64 v7, v[2:3], v[4:5] offset1:1
.LBB563_14:                             ;   in Loop: Header=BB563_10 Depth=2
	s_wait_xcnt 0x0
	s_or_b32 exec_lo, exec_lo, s19
	v_add_nc_u32_e32 v0, s16, v6
	v_mov_b64_e32 v[2:3], 0
	v_mov_b64_e32 v[4:5], 0
	s_delay_alu instid0(VALU_DEP_3) | instskip(SKIP_1) | instid1(SALU_CYCLE_1)
	v_cmp_gt_u64_e32 vcc_lo, s[8:9], v[0:1]
	s_and_b32 s19, vcc_lo, s1
	s_and_saveexec_b32 s18, s19
	s_cbranch_execz .LBB563_9
; %bb.15:                               ;   in Loop: Header=BB563_10 Depth=2
	v_mul_u64_e32 v[2:3], s[22:23], v[0:1]
	s_delay_alu instid0(VALU_DEP_1)
	v_lshl_add_u64 v[2:3], v[2:3], 4, v[32:33]
	flat_load_b128 v[2:5], v[2:3]
	s_wait_loadcnt_dscnt 0x0
	v_xor_b32_e32 v5, 0x80000000, v5
	s_branch .LBB563_9
.LBB563_16:                             ;   in Loop: Header=BB563_10 Depth=2
	v_add_nc_u32_e32 v0, s16, v8
	s_and_not1_b32 s24, s36, exec_lo
	s_mov_b32 s18, exec_lo
	s_delay_alu instid0(VALU_DEP_1) | instskip(SKIP_2) | instid1(SALU_CYCLE_1)
	v_cmp_le_u64_e32 vcc_lo, s[8:9], v[0:1]
	v_mov_b64_e32 v[22:23], v[0:1]
	s_and_b32 s25, vcc_lo, exec_lo
	s_or_b32 s24, s24, s25
	s_or_b32 exec_lo, exec_lo, s19
	s_and_saveexec_b32 s19, s24
	s_delay_alu instid0(SALU_CYCLE_1)
	s_xor_b32 s19, exec_lo, s19
	s_cbranch_execz .LBB563_12
.LBB563_17:                             ;   in Loop: Header=BB563_10 Depth=2
	v_dual_mov_b32 v0, v1 :: v_dual_mov_b32 v2, v1
	v_mov_b32_e32 v3, v1
	s_and_not1_b32 s18, s18, exec_lo
	ds_store_b128 v7, v[0:3]
	s_or_b32 exec_lo, exec_lo, s19
	s_and_saveexec_b32 s19, s18
	s_cbranch_execnz .LBB563_13
	s_branch .LBB563_14
.LBB563_18:                             ;   in Loop: Header=BB563_7 Depth=1
	v_mov_b64_e32 v[44:45], 0
	v_mov_b64_e32 v[38:39], 0
	;; [unrolled: 1-line block ×7, first 2 shown]
.LBB563_19:                             ;   in Loop: Header=BB563_7 Depth=1
	s_wait_loadcnt 0x0
	v_add_nc_u64_e32 v[24:25], s[6:7], v[24:25]
	s_delay_alu instid0(VALU_DEP_1)
	v_lshl_add_u64 v[30:31], v[14:15], 4, v[24:25]
	s_wait_xcnt 0x0
	s_and_saveexec_b32 s16, s38
	s_cbranch_execz .LBB563_24
; %bb.20:                               ;   in Loop: Header=BB563_7 Depth=1
	v_mul_f64_e32 v[2:3], s[12:13], v[44:45]
	v_mul_f64_e32 v[4:5], s[10:11], v[44:45]
	v_lshl_add_u64 v[32:33], v[18:19], 4, v[30:31]
	s_and_b32 vcc_lo, exec_lo, s37
	s_mov_b32 s17, -1
	s_delay_alu instid0(VALU_DEP_3) | instskip(NEXT) | instid1(VALU_DEP_3)
	v_fma_f64 v[2:3], s[10:11], v[42:43], -v[2:3]
	v_fmac_f64_e32 v[4:5], s[12:13], v[42:43]
	s_cbranch_vccz .LBB563_22
; %bb.21:                               ;   in Loop: Header=BB563_7 Depth=1
	flat_load_b128 v[42:45], v[32:33]
	s_mov_b32 s17, 0
	s_wait_loadcnt_dscnt 0x0
	v_mul_f64_e32 v[48:49], s[28:29], v[44:45]
	v_mul_f64_e32 v[44:45], s[26:27], v[44:45]
	s_delay_alu instid0(VALU_DEP_2) | instskip(NEXT) | instid1(VALU_DEP_2)
	v_fma_f64 v[48:49], s[26:27], v[42:43], -v[48:49]
	v_fmac_f64_e32 v[44:45], s[28:29], v[42:43]
	s_delay_alu instid0(VALU_DEP_2) | instskip(NEXT) | instid1(VALU_DEP_2)
	v_add_f64_e32 v[42:43], v[2:3], v[48:49]
	v_add_f64_e32 v[44:45], v[4:5], v[44:45]
	flat_store_b128 v[32:33], v[42:45]
.LBB563_22:                             ;   in Loop: Header=BB563_7 Depth=1
	s_and_not1_b32 vcc_lo, exec_lo, s17
	s_cbranch_vccnz .LBB563_24
; %bb.23:                               ;   in Loop: Header=BB563_7 Depth=1
	flat_store_b128 v[32:33], v[2:5]
.LBB563_24:                             ;   in Loop: Header=BB563_7 Depth=1
	s_wait_xcnt 0x0
	s_or_b32 exec_lo, exec_lo, s16
	s_and_saveexec_b32 s16, s39
	s_cbranch_execz .LBB563_29
; %bb.25:                               ;   in Loop: Header=BB563_7 Depth=1
	v_mul_f64_e32 v[2:3], s[12:13], v[40:41]
	v_mul_f64_e32 v[4:5], s[10:11], v[40:41]
	v_lshl_add_u64 v[30:31], v[20:21], 4, v[30:31]
	s_and_not1_b32 vcc_lo, exec_lo, s37
	s_mov_b32 s17, -1
	s_delay_alu instid0(VALU_DEP_3) | instskip(NEXT) | instid1(VALU_DEP_3)
	v_fma_f64 v[2:3], s[10:11], v[38:39], -v[2:3]
	v_fmac_f64_e32 v[4:5], s[12:13], v[38:39]
	s_cbranch_vccnz .LBB563_27
; %bb.26:                               ;   in Loop: Header=BB563_7 Depth=1
	flat_load_b128 v[38:41], v[30:31]
	s_mov_b32 s17, 0
	s_wait_loadcnt_dscnt 0x0
	v_mul_f64_e32 v[32:33], s[28:29], v[40:41]
	v_mul_f64_e32 v[40:41], s[26:27], v[40:41]
	s_delay_alu instid0(VALU_DEP_2) | instskip(NEXT) | instid1(VALU_DEP_2)
	v_fma_f64 v[32:33], s[26:27], v[38:39], -v[32:33]
	v_fmac_f64_e32 v[40:41], s[28:29], v[38:39]
	s_delay_alu instid0(VALU_DEP_2) | instskip(NEXT) | instid1(VALU_DEP_2)
	v_add_f64_e32 v[38:39], v[2:3], v[32:33]
	v_add_f64_e32 v[40:41], v[4:5], v[40:41]
	flat_store_b128 v[30:31], v[38:41]
.LBB563_27:                             ;   in Loop: Header=BB563_7 Depth=1
	s_and_not1_b32 vcc_lo, exec_lo, s17
	s_cbranch_vccnz .LBB563_29
; %bb.28:                               ;   in Loop: Header=BB563_7 Depth=1
	flat_store_b128 v[30:31], v[2:5]
.LBB563_29:                             ;   in Loop: Header=BB563_7 Depth=1
	s_wait_xcnt 0x0
	s_or_b32 exec_lo, exec_lo, s16
	v_lshl_add_u64 v[24:25], v[16:17], 4, v[24:25]
	s_and_saveexec_b32 s16, s40
	s_cbranch_execz .LBB563_34
; %bb.30:                               ;   in Loop: Header=BB563_7 Depth=1
	v_mul_f64_e32 v[2:3], s[12:13], v[36:37]
	v_mul_f64_e32 v[4:5], s[10:11], v[36:37]
	v_lshl_add_u64 v[30:31], v[18:19], 4, v[24:25]
	s_and_not1_b32 vcc_lo, exec_lo, s37
	s_mov_b32 s17, -1
	s_delay_alu instid0(VALU_DEP_3) | instskip(NEXT) | instid1(VALU_DEP_3)
	v_fma_f64 v[2:3], s[10:11], v[34:35], -v[2:3]
	v_fmac_f64_e32 v[4:5], s[12:13], v[34:35]
	s_cbranch_vccnz .LBB563_32
; %bb.31:                               ;   in Loop: Header=BB563_7 Depth=1
	flat_load_b128 v[32:35], v[30:31]
	s_mov_b32 s17, 0
	s_wait_loadcnt_dscnt 0x0
	v_mul_f64_e32 v[36:37], s[28:29], v[34:35]
	v_mul_f64_e32 v[34:35], s[26:27], v[34:35]
	s_delay_alu instid0(VALU_DEP_2) | instskip(NEXT) | instid1(VALU_DEP_2)
	v_fma_f64 v[36:37], s[26:27], v[32:33], -v[36:37]
	v_fmac_f64_e32 v[34:35], s[28:29], v[32:33]
	s_delay_alu instid0(VALU_DEP_2) | instskip(NEXT) | instid1(VALU_DEP_2)
	v_add_f64_e32 v[32:33], v[2:3], v[36:37]
	v_add_f64_e32 v[34:35], v[4:5], v[34:35]
	flat_store_b128 v[30:31], v[32:35]
.LBB563_32:                             ;   in Loop: Header=BB563_7 Depth=1
	s_and_not1_b32 vcc_lo, exec_lo, s17
	s_cbranch_vccnz .LBB563_34
; %bb.33:                               ;   in Loop: Header=BB563_7 Depth=1
	flat_store_b128 v[30:31], v[2:5]
.LBB563_34:                             ;   in Loop: Header=BB563_7 Depth=1
	s_wait_xcnt 0x0
	s_or_b32 exec_lo, exec_lo, s16
	s_and_saveexec_b32 s16, s41
	s_cbranch_execz .LBB563_6
; %bb.35:                               ;   in Loop: Header=BB563_7 Depth=1
	s_delay_alu instid0(VALU_DEP_4) | instskip(SKIP_4) | instid1(VALU_DEP_3)
	v_mul_f64_e32 v[2:3], s[12:13], v[26:27]
	v_mul_f64_e32 v[4:5], s[10:11], v[26:27]
	v_lshl_add_u64 v[24:25], v[20:21], 4, v[24:25]
	s_and_not1_b32 vcc_lo, exec_lo, s37
	s_mov_b32 s17, -1
	v_fma_f64 v[2:3], s[10:11], v[28:29], -v[2:3]
	s_delay_alu instid0(VALU_DEP_3)
	v_fmac_f64_e32 v[4:5], s[12:13], v[28:29]
	s_cbranch_vccnz .LBB563_37
; %bb.36:                               ;   in Loop: Header=BB563_7 Depth=1
	flat_load_b128 v[26:29], v[24:25]
	s_mov_b32 s17, 0
	s_wait_loadcnt_dscnt 0x0
	v_mul_f64_e32 v[30:31], s[28:29], v[28:29]
	v_mul_f64_e32 v[28:29], s[26:27], v[28:29]
	s_delay_alu instid0(VALU_DEP_2) | instskip(NEXT) | instid1(VALU_DEP_2)
	v_fma_f64 v[30:31], s[26:27], v[26:27], -v[30:31]
	v_fmac_f64_e32 v[28:29], s[28:29], v[26:27]
	s_delay_alu instid0(VALU_DEP_2) | instskip(NEXT) | instid1(VALU_DEP_2)
	v_add_f64_e32 v[26:27], v[2:3], v[30:31]
	v_add_f64_e32 v[28:29], v[4:5], v[28:29]
	flat_store_b128 v[24:25], v[26:29]
.LBB563_37:                             ;   in Loop: Header=BB563_7 Depth=1
	s_and_not1_b32 vcc_lo, exec_lo, s17
	s_cbranch_vccnz .LBB563_6
; %bb.38:                               ;   in Loop: Header=BB563_7 Depth=1
	flat_store_b128 v[24:25], v[2:5]
	s_branch .LBB563_6
.LBB563_39:
.LBB563_40:
	s_sendmsg sendmsg(MSG_DEALLOC_VGPRS)
	s_endpgm
	.section	.rodata,"a",@progbits
	.p2align	6, 0x0
	.amdhsa_kernel _ZL29rocblas_internal_gemmt_kernelIlLi16ELi32ELi8ELc84ELc67ELc85ELb0ELb1E19rocblas_complex_numIdES1_PKPKS1_PKPS1_EviT_T9_T10_S9_lSB_S9_lSA_T11_S9_li
		.amdhsa_group_segment_fixed_size 8192
		.amdhsa_private_segment_fixed_size 0
		.amdhsa_kernarg_size 124
		.amdhsa_user_sgpr_count 2
		.amdhsa_user_sgpr_dispatch_ptr 0
		.amdhsa_user_sgpr_queue_ptr 0
		.amdhsa_user_sgpr_kernarg_segment_ptr 1
		.amdhsa_user_sgpr_dispatch_id 0
		.amdhsa_user_sgpr_kernarg_preload_length 0
		.amdhsa_user_sgpr_kernarg_preload_offset 0
		.amdhsa_user_sgpr_private_segment_size 0
		.amdhsa_wavefront_size32 1
		.amdhsa_uses_dynamic_stack 0
		.amdhsa_enable_private_segment 0
		.amdhsa_system_sgpr_workgroup_id_x 1
		.amdhsa_system_sgpr_workgroup_id_y 1
		.amdhsa_system_sgpr_workgroup_id_z 1
		.amdhsa_system_sgpr_workgroup_info 0
		.amdhsa_system_vgpr_workitem_id 1
		.amdhsa_next_free_vgpr 134
		.amdhsa_next_free_sgpr 44
		.amdhsa_named_barrier_count 0
		.amdhsa_reserve_vcc 1
		.amdhsa_float_round_mode_32 0
		.amdhsa_float_round_mode_16_64 0
		.amdhsa_float_denorm_mode_32 3
		.amdhsa_float_denorm_mode_16_64 3
		.amdhsa_fp16_overflow 0
		.amdhsa_memory_ordered 1
		.amdhsa_forward_progress 1
		.amdhsa_inst_pref_size 24
		.amdhsa_round_robin_scheduling 0
		.amdhsa_exception_fp_ieee_invalid_op 0
		.amdhsa_exception_fp_denorm_src 0
		.amdhsa_exception_fp_ieee_div_zero 0
		.amdhsa_exception_fp_ieee_overflow 0
		.amdhsa_exception_fp_ieee_underflow 0
		.amdhsa_exception_fp_ieee_inexact 0
		.amdhsa_exception_int_div_zero 0
	.end_amdhsa_kernel
	.section	.text._ZL29rocblas_internal_gemmt_kernelIlLi16ELi32ELi8ELc84ELc67ELc85ELb0ELb1E19rocblas_complex_numIdES1_PKPKS1_PKPS1_EviT_T9_T10_S9_lSB_S9_lSA_T11_S9_li,"axG",@progbits,_ZL29rocblas_internal_gemmt_kernelIlLi16ELi32ELi8ELc84ELc67ELc85ELb0ELb1E19rocblas_complex_numIdES1_PKPKS1_PKPS1_EviT_T9_T10_S9_lSB_S9_lSA_T11_S9_li,comdat
.Lfunc_end563:
	.size	_ZL29rocblas_internal_gemmt_kernelIlLi16ELi32ELi8ELc84ELc67ELc85ELb0ELb1E19rocblas_complex_numIdES1_PKPKS1_PKPS1_EviT_T9_T10_S9_lSB_S9_lSA_T11_S9_li, .Lfunc_end563-_ZL29rocblas_internal_gemmt_kernelIlLi16ELi32ELi8ELc84ELc67ELc85ELb0ELb1E19rocblas_complex_numIdES1_PKPKS1_PKPS1_EviT_T9_T10_S9_lSB_S9_lSA_T11_S9_li
                                        ; -- End function
	.set _ZL29rocblas_internal_gemmt_kernelIlLi16ELi32ELi8ELc84ELc67ELc85ELb0ELb1E19rocblas_complex_numIdES1_PKPKS1_PKPS1_EviT_T9_T10_S9_lSB_S9_lSA_T11_S9_li.num_vgpr, 134
	.set _ZL29rocblas_internal_gemmt_kernelIlLi16ELi32ELi8ELc84ELc67ELc85ELb0ELb1E19rocblas_complex_numIdES1_PKPKS1_PKPS1_EviT_T9_T10_S9_lSB_S9_lSA_T11_S9_li.num_agpr, 0
	.set _ZL29rocblas_internal_gemmt_kernelIlLi16ELi32ELi8ELc84ELc67ELc85ELb0ELb1E19rocblas_complex_numIdES1_PKPKS1_PKPS1_EviT_T9_T10_S9_lSB_S9_lSA_T11_S9_li.numbered_sgpr, 44
	.set _ZL29rocblas_internal_gemmt_kernelIlLi16ELi32ELi8ELc84ELc67ELc85ELb0ELb1E19rocblas_complex_numIdES1_PKPKS1_PKPS1_EviT_T9_T10_S9_lSB_S9_lSA_T11_S9_li.num_named_barrier, 0
	.set _ZL29rocblas_internal_gemmt_kernelIlLi16ELi32ELi8ELc84ELc67ELc85ELb0ELb1E19rocblas_complex_numIdES1_PKPKS1_PKPS1_EviT_T9_T10_S9_lSB_S9_lSA_T11_S9_li.private_seg_size, 0
	.set _ZL29rocblas_internal_gemmt_kernelIlLi16ELi32ELi8ELc84ELc67ELc85ELb0ELb1E19rocblas_complex_numIdES1_PKPKS1_PKPS1_EviT_T9_T10_S9_lSB_S9_lSA_T11_S9_li.uses_vcc, 1
	.set _ZL29rocblas_internal_gemmt_kernelIlLi16ELi32ELi8ELc84ELc67ELc85ELb0ELb1E19rocblas_complex_numIdES1_PKPKS1_PKPS1_EviT_T9_T10_S9_lSB_S9_lSA_T11_S9_li.uses_flat_scratch, 0
	.set _ZL29rocblas_internal_gemmt_kernelIlLi16ELi32ELi8ELc84ELc67ELc85ELb0ELb1E19rocblas_complex_numIdES1_PKPKS1_PKPS1_EviT_T9_T10_S9_lSB_S9_lSA_T11_S9_li.has_dyn_sized_stack, 0
	.set _ZL29rocblas_internal_gemmt_kernelIlLi16ELi32ELi8ELc84ELc67ELc85ELb0ELb1E19rocblas_complex_numIdES1_PKPKS1_PKPS1_EviT_T9_T10_S9_lSB_S9_lSA_T11_S9_li.has_recursion, 0
	.set _ZL29rocblas_internal_gemmt_kernelIlLi16ELi32ELi8ELc84ELc67ELc85ELb0ELb1E19rocblas_complex_numIdES1_PKPKS1_PKPS1_EviT_T9_T10_S9_lSB_S9_lSA_T11_S9_li.has_indirect_call, 0
	.section	.AMDGPU.csdata,"",@progbits
; Kernel info:
; codeLenInByte = 2996
; TotalNumSgprs: 46
; NumVgprs: 134
; ScratchSize: 0
; MemoryBound: 1
; FloatMode: 240
; IeeeMode: 1
; LDSByteSize: 8192 bytes/workgroup (compile time only)
; SGPRBlocks: 0
; VGPRBlocks: 8
; NumSGPRsForWavesPerEU: 46
; NumVGPRsForWavesPerEU: 134
; NamedBarCnt: 0
; Occupancy: 7
; WaveLimiterHint : 1
; COMPUTE_PGM_RSRC2:SCRATCH_EN: 0
; COMPUTE_PGM_RSRC2:USER_SGPR: 2
; COMPUTE_PGM_RSRC2:TRAP_HANDLER: 0
; COMPUTE_PGM_RSRC2:TGID_X_EN: 1
; COMPUTE_PGM_RSRC2:TGID_Y_EN: 1
; COMPUTE_PGM_RSRC2:TGID_Z_EN: 1
; COMPUTE_PGM_RSRC2:TIDIG_COMP_CNT: 1
	.section	.text._ZL29rocblas_internal_gemmt_kernelIlLi16ELi32ELi8ELc67ELc78ELc85ELb1ELb0E19rocblas_complex_numIdES1_PKPKS1_PKPS1_EviT_T9_T10_S9_lSB_S9_lSA_T11_S9_li,"axG",@progbits,_ZL29rocblas_internal_gemmt_kernelIlLi16ELi32ELi8ELc67ELc78ELc85ELb1ELb0E19rocblas_complex_numIdES1_PKPKS1_PKPS1_EviT_T9_T10_S9_lSB_S9_lSA_T11_S9_li,comdat
	.globl	_ZL29rocblas_internal_gemmt_kernelIlLi16ELi32ELi8ELc67ELc78ELc85ELb1ELb0E19rocblas_complex_numIdES1_PKPKS1_PKPS1_EviT_T9_T10_S9_lSB_S9_lSA_T11_S9_li ; -- Begin function _ZL29rocblas_internal_gemmt_kernelIlLi16ELi32ELi8ELc67ELc78ELc85ELb1ELb0E19rocblas_complex_numIdES1_PKPKS1_PKPS1_EviT_T9_T10_S9_lSB_S9_lSA_T11_S9_li
	.p2align	8
	.type	_ZL29rocblas_internal_gemmt_kernelIlLi16ELi32ELi8ELc67ELc78ELc85ELb1ELb0E19rocblas_complex_numIdES1_PKPKS1_PKPS1_EviT_T9_T10_S9_lSB_S9_lSA_T11_S9_li,@function
_ZL29rocblas_internal_gemmt_kernelIlLi16ELi32ELi8ELc67ELc78ELc85ELb1ELb0E19rocblas_complex_numIdES1_PKPKS1_PKPS1_EviT_T9_T10_S9_lSB_S9_lSA_T11_S9_li: ; @_ZL29rocblas_internal_gemmt_kernelIlLi16ELi32ELi8ELc67ELc78ELc85ELb1ELb0E19rocblas_complex_numIdES1_PKPKS1_PKPS1_EviT_T9_T10_S9_lSB_S9_lSA_T11_S9_li
; %bb.0:
	s_clause 0x1
	s_load_b256 s[24:31], s[0:1], 0x48
	s_load_b512 s[8:23], s[0:1], 0x8
	s_wait_kmcnt 0x0
	v_cmp_eq_f64_e64 s2, s[26:27], 1.0
	v_cmp_eq_f64_e64 s3, s[28:29], 0
	s_and_b32 s2, s2, s3
	s_delay_alu instid0(SALU_CYCLE_1)
	s_and_not1_b32 vcc_lo, exec_lo, s2
	s_mov_b32 s2, -1
	s_cbranch_vccnz .LBB564_3
; %bb.1:
	s_cmp_lg_u64 s[8:9], 0
	s_cbranch_scc0 .LBB564_38
; %bb.2:
	v_cmp_neq_f64_e64 s2, s[10:11], 0
	v_cmp_neq_f64_e64 s4, s[12:13], 0
	s_or_b32 s2, s2, s4
.LBB564_3:
	s_delay_alu instid0(SALU_CYCLE_1)
	s_and_b32 vcc_lo, exec_lo, s2
	s_cbranch_vccz .LBB564_39
; %bb.4:
	s_load_b32 s33, s[0:1], 0x78
	s_bfe_u32 s2, ttmp6, 0x40014
	s_lshr_b32 s4, ttmp7, 16
	s_add_co_i32 s2, s2, 1
	s_bfe_u32 s6, ttmp6, 0x40008
	s_mul_i32 s5, s4, s2
	s_getreg_b32 s2, hwreg(HW_REG_IB_STS2, 6, 4)
	s_add_co_i32 s6, s6, s5
	s_cmp_eq_u32 s2, 0
	s_mov_b32 s35, 0
	s_cselect_b32 s34, s4, s6
	s_wait_kmcnt 0x0
	s_cmp_ge_u32 s34, s33
	s_cbranch_scc1 .LBB564_39
; %bb.5:
	s_clause 0x1
	s_load_b128 s[4:7], s[0:1], 0x68
	s_load_b32 s38, s[0:1], 0x0
	s_wait_xcnt 0x0
	s_bfe_u32 s1, ttmp6, 0x4000c
	s_bfe_u32 s40, ttmp6, 0x40010
	s_and_b32 s39, ttmp7, 0xffff
	s_add_co_i32 s1, s1, 1
	s_add_co_i32 s40, s40, 1
	v_and_b32_e32 v19, 0x3ff, v0
	v_bfe_u32 v21, v0, 10, 10
	s_and_b32 s0, ttmp6, 15
	s_bfe_u32 s41, ttmp6, 0x40004
	s_mul_i32 s1, ttmp9, s1
	s_mul_i32 s40, s39, s40
	s_add_co_i32 s0, s0, s1
	s_add_co_i32 s41, s41, s40
	s_cmp_eq_u32 s2, 0
	v_lshl_add_u32 v1, v21, 4, v19
	s_cselect_b32 s1, s39, s41
	s_cselect_b32 s0, ttmp9, s0
	s_lshl_b32 s1, s1, 5
	s_delay_alu instid0(VALU_DEP_1) | instskip(SKIP_4) | instid1(VALU_DEP_3)
	v_dual_lshrrev_b32 v7, 3, v1 :: v_dual_bitop2_b32 v6, 7, v0 bitop3:0x40
	v_dual_lshrrev_b32 v8, 5, v1 :: v_dual_bitop2_b32 v3, 31, v1 bitop3:0x40
	s_lshl_b32 s2, s0, 5
	v_add_nc_u32_e32 v0, s1, v21
	v_cmp_neq_f64_e64 s40, s[26:27], 0
	v_or_b32_e32 v2, s2, v3
	v_add_nc_u32_e32 v4, s1, v7
	s_delay_alu instid0(VALU_DEP_4) | instskip(SKIP_1) | instid1(VALU_DEP_3)
	v_dual_lshlrev_b32 v9, 4, v3 :: v_dual_add_nc_u32 v22, 16, v0
	v_dual_ashrrev_i32 v1, 31, v0 :: v_dual_lshlrev_b32 v18, 4, v6
	v_dual_ashrrev_i32 v3, 31, v2 :: v_dual_ashrrev_i32 v5, 31, v4
	s_delay_alu instid0(VALU_DEP_3) | instskip(SKIP_2) | instid1(VALU_DEP_4)
	v_ashrrev_i32_e32 v23, 31, v22
	v_cmp_neq_f64_e64 s36, s[10:11], 0
	v_cmp_neq_f64_e64 s37, s[12:13], 0
	v_mul_u64_e32 v[10:11], s[16:17], v[2:3]
	v_mul_u64_e32 v[12:13], s[22:23], v[4:5]
	s_wait_kmcnt 0x0
	v_mul_u64_e32 v[14:15], s[4:5], v[0:1]
	v_mul_u64_e32 v[16:17], s[4:5], v[22:23]
	v_lshl_or_b32 v1, v7, 7, v18
	v_dual_add_nc_u32 v18, s2, v19 :: v_dual_lshlrev_b32 v44, 4, v19
	v_cmp_gt_i32_e64 s1, s38, v0
	v_cmp_gt_i64_e64 s42, s[8:9], 0
	s_xor_b32 s3, s3, -1
	v_cmp_le_i32_e64 s2, v18, v0
	v_dual_add_nc_u32 v20, 16, v18 :: v_dual_ashrrev_i32 v19, 31, v18
	v_cmp_gt_i32_e32 vcc_lo, s38, v4
	v_cmp_le_i32_e64 s4, v18, v22
	s_and_b32 s23, s1, s2
	v_cmp_le_i32_e64 s2, v20, v0
	v_cmp_le_i32_e64 s5, v20, v22
	v_cmp_gt_i32_e64 s0, s38, v2
	v_lshl_or_b32 v7, v8, 9, v9
	s_or_b32 s22, s40, s3
	v_cmp_gt_i32_e64 s3, s38, v22
	v_add_nc_u32_e32 v9, 0x1000, v1
	v_lshl_add_u32 v45, v21, 7, 0x1000
	v_dual_ashrrev_i32 v21, 31, v20 :: v_dual_mov_b32 v1, 0
	s_and_b32 s1, s1, s2
	s_lshl_b64 s[6:7], s[6:7], 4
	s_or_b32 s39, s36, s37
	s_and_b32 s36, s3, s4
	s_and_b32 s37, s3, s5
	;; [unrolled: 1-line block ×3, first 2 shown]
	s_lshl_b64 s[2:3], s[24:25], 4
	s_lshl_b64 s[4:5], s[18:19], 4
	s_xor_b32 s18, vcc_lo, -1
	s_branch .LBB564_7
.LBB564_6:                              ;   in Loop: Header=BB564_7 Depth=1
	s_wait_xcnt 0x0
	s_or_b32 exec_lo, exec_lo, s16
	s_add_co_i32 s34, s34, 0x10000
	s_delay_alu instid0(SALU_CYCLE_1)
	s_cmp_lt_u32 s34, s33
	s_cbranch_scc0 .LBB564_39
.LBB564_7:                              ; =>This Loop Header: Depth=1
                                        ;     Child Loop BB564_10 Depth 2
	v_mov_b32_e32 v0, s34
	v_mov_b64_e32 v[40:41], 0
	v_mov_b64_e32 v[42:43], 0
	;; [unrolled: 1-line block ×4, first 2 shown]
	global_load_b64 v[22:23], v0, s[30:31] scale_offset
	v_mov_b64_e32 v[32:33], 0
	v_mov_b64_e32 v[34:35], 0
	;; [unrolled: 1-line block ×4, first 2 shown]
	s_and_not1_b32 vcc_lo, exec_lo, s38
	s_cbranch_vccnz .LBB564_18
; %bb.8:                                ;   in Loop: Header=BB564_7 Depth=1
	s_lshl_b64 s[16:17], s[34:35], 3
	v_mov_b64_e32 v[26:27], 0
	s_add_nc_u64 s[24:25], s[14:15], s[16:17]
	s_add_nc_u64 s[16:17], s[20:21], s[16:17]
	s_clause 0x1
	global_load_b64 v[2:3], v1, s[24:25]
	global_load_b64 v[4:5], v1, s[16:17]
	v_mov_b64_e32 v[24:25], 0
	v_mov_b64_e32 v[34:35], 0
	;; [unrolled: 1-line block ×7, first 2 shown]
	s_wait_xcnt 0x0
	s_mov_b64 s[16:17], 0
	s_wait_loadcnt 0x1
	v_add_nc_u64_e32 v[2:3], s[4:5], v[2:3]
	s_wait_loadcnt 0x0
	v_add_nc_u64_e32 v[4:5], s[2:3], v[4:5]
	s_delay_alu instid0(VALU_DEP_2) | instskip(NEXT) | instid1(VALU_DEP_2)
	v_lshl_add_u64 v[28:29], v[10:11], 4, v[2:3]
	v_lshl_add_u64 v[30:31], v[12:13], 4, v[4:5]
	s_branch .LBB564_10
.LBB564_9:                              ;   in Loop: Header=BB564_10 Depth=2
	s_wait_xcnt 0x0
	s_or_b32 exec_lo, exec_lo, s19
	s_wait_dscnt 0x0
	s_barrier_signal -1
	s_barrier_wait -1
	ds_load_b128 v[2:5], v45
	ds_load_b128 v[46:49], v44
	ds_load_b128 v[50:53], v44 offset:256
	ds_load_b128 v[54:57], v45 offset:2048
	;; [unrolled: 1-line block ×10, first 2 shown]
	s_add_nc_u64 s[16:17], s[16:17], 8
	s_delay_alu instid0(SALU_CYCLE_1)
	v_cmp_gt_i64_e64 s19, s[8:9], s[16:17]
	s_and_b32 vcc_lo, exec_lo, s19
	s_wait_dscnt 0xa
	v_mul_f64_e32 v[90:91], v[4:5], v[48:49]
	v_mul_f64_e32 v[92:93], v[2:3], v[48:49]
	s_wait_dscnt 0x9
	v_mul_f64_e32 v[94:95], v[4:5], v[52:53]
	v_mul_f64_e32 v[96:97], v[2:3], v[52:53]
	s_wait_dscnt 0x8
	v_mul_f64_e32 v[98:99], v[56:57], v[48:49]
	v_mul_f64_e32 v[100:101], v[54:55], v[48:49]
	v_mul_f64_e32 v[48:49], v[56:57], v[52:53]
	v_mul_f64_e32 v[102:103], v[54:55], v[52:53]
	s_wait_dscnt 0x6
	v_mul_f64_e32 v[104:105], v[60:61], v[64:65]
	v_mul_f64_e32 v[106:107], v[58:59], v[64:65]
	s_wait_dscnt 0x5
	v_mul_f64_e32 v[108:109], v[60:61], v[68:69]
	v_mul_f64_e32 v[110:111], v[58:59], v[68:69]
	s_wait_dscnt 0x4
	v_mul_f64_e32 v[112:113], v[72:73], v[64:65]
	v_mul_f64_e32 v[64:65], v[70:71], v[64:65]
	v_mul_f64_e32 v[114:115], v[72:73], v[68:69]
	v_mul_f64_e32 v[68:69], v[70:71], v[68:69]
	;; [unrolled: 11-line block ×3, first 2 shown]
	v_fma_f64 v[90:91], v[2:3], v[46:47], -v[90:91]
	v_fmac_f64_e32 v[92:93], v[4:5], v[46:47]
	v_fma_f64 v[94:95], v[2:3], v[50:51], -v[94:95]
	v_fmac_f64_e32 v[96:97], v[4:5], v[50:51]
	;; [unrolled: 2-line block ×8, first 2 shown]
	ds_load_b128 v[2:5], v45 offset:48
	ds_load_b128 v[46:49], v45 offset:2096
	;; [unrolled: 1-line block ×4, first 2 shown]
	v_fma_f64 v[118:119], v[74:75], v[78:79], -v[118:119]
	v_fmac_f64_e32 v[120:121], v[76:77], v[78:79]
	v_fma_f64 v[74:75], v[74:75], v[82:83], -v[122:123]
	v_fmac_f64_e32 v[124:125], v[76:77], v[82:83]
	;; [unrolled: 2-line block ×4, first 2 shown]
	v_add_f64_e32 v[66:67], v[40:41], v[90:91]
	v_add_f64_e32 v[70:71], v[92:93], v[42:43]
	;; [unrolled: 1-line block ×8, first 2 shown]
	s_wait_dscnt 0x1
	v_mul_f64_e32 v[100:101], v[4:5], v[52:53]
	v_mul_f64_e32 v[102:103], v[2:3], v[52:53]
	s_wait_dscnt 0x0
	v_mul_f64_e32 v[108:109], v[4:5], v[56:57]
	v_mul_f64_e32 v[112:113], v[2:3], v[56:57]
	;; [unrolled: 1-line block ×6, first 2 shown]
	ds_load_b128 v[24:27], v45 offset:64
	ds_load_b128 v[32:35], v44 offset:2048
	;; [unrolled: 1-line block ×4, first 2 shown]
	v_add_f64_e32 v[82:83], v[66:67], v[104:105]
	v_add_f64_e32 v[86:87], v[106:107], v[70:71]
	;; [unrolled: 1-line block ×8, first 2 shown]
	s_wait_dscnt 0x2
	v_mul_f64_e32 v[98:99], v[26:27], v[34:35]
	v_mul_f64_e32 v[104:105], v[24:25], v[34:35]
	s_wait_dscnt 0x1
	v_mul_f64_e32 v[106:107], v[26:27], v[38:39]
	v_mul_f64_e32 v[110:111], v[24:25], v[38:39]
	;; [unrolled: 3-line block ×3, first 2 shown]
	v_mul_f64_e32 v[34:35], v[42:43], v[38:39]
	v_mul_f64_e32 v[128:129], v[40:41], v[38:39]
	v_fma_f64 v[38:39], v[2:3], v[50:51], -v[100:101]
	v_fmac_f64_e32 v[102:103], v[4:5], v[50:51]
	v_fma_f64 v[100:101], v[2:3], v[54:55], -v[108:109]
	v_fmac_f64_e32 v[112:113], v[4:5], v[54:55]
	v_fma_f64 v[108:109], v[46:47], v[50:51], -v[114:115]
	v_fmac_f64_e32 v[116:117], v[48:49], v[50:51]
	v_fma_f64 v[114:115], v[46:47], v[54:55], -v[52:53]
	v_fmac_f64_e32 v[130:131], v[48:49], v[54:55]
	ds_load_b128 v[56:59], v45 offset:80
	ds_load_b128 v[60:63], v45 offset:2128
	;; [unrolled: 1-line block ×4, first 2 shown]
	v_add_f64_e32 v[54:55], v[82:83], v[118:119]
	v_add_f64_e32 v[82:83], v[120:121], v[86:87]
	;; [unrolled: 1-line block ×8, first 2 shown]
	v_fma_f64 v[98:99], v[24:25], v[32:33], -v[98:99]
	v_fmac_f64_e32 v[104:105], v[26:27], v[32:33]
	v_fma_f64 v[106:107], v[24:25], v[36:37], -v[106:107]
	s_wait_dscnt 0x1
	v_mul_f64_e32 v[90:91], v[58:59], v[66:67]
	v_mul_f64_e32 v[92:93], v[56:57], v[66:67]
	s_wait_dscnt 0x0
	v_mul_f64_e32 v[94:95], v[58:59], v[70:71]
	v_mul_f64_e32 v[96:97], v[56:57], v[70:71]
	;; [unrolled: 1-line block ×6, first 2 shown]
	v_fmac_f64_e32 v[110:111], v[26:27], v[36:37]
	v_fma_f64 v[122:123], v[40:41], v[32:33], -v[122:123]
	v_fmac_f64_e32 v[126:127], v[42:43], v[32:33]
	v_fma_f64 v[124:125], v[40:41], v[36:37], -v[34:35]
	v_fmac_f64_e32 v[128:129], v[42:43], v[36:37]
	ds_load_b128 v[2:5], v45 offset:96
	ds_load_b128 v[46:49], v44 offset:3072
	;; [unrolled: 1-line block ×4, first 2 shown]
	v_add_f64_e32 v[54:55], v[54:55], v[38:39]
	v_add_f64_e32 v[82:83], v[102:103], v[82:83]
	;; [unrolled: 1-line block ×8, first 2 shown]
	ds_load_b128 v[24:27], v45 offset:112
	ds_load_b128 v[32:35], v45 offset:2160
	;; [unrolled: 1-line block ×4, first 2 shown]
	s_wait_dscnt 0x0
	v_mul_f64_e32 v[100:101], v[4:5], v[48:49]
	v_mul_f64_e32 v[102:103], v[2:3], v[48:49]
	;; [unrolled: 1-line block ×8, first 2 shown]
	v_fma_f64 v[90:91], v[56:57], v[64:65], -v[90:91]
	v_fmac_f64_e32 v[92:93], v[58:59], v[64:65]
	v_fma_f64 v[56:57], v[56:57], v[68:69], -v[94:95]
	v_fmac_f64_e32 v[96:97], v[58:59], v[68:69]
	;; [unrolled: 2-line block ×4, first 2 shown]
	s_barrier_signal -1
	s_barrier_wait -1
	v_mul_f64_e32 v[94:95], v[24:25], v[42:43]
	v_add_f64_e32 v[54:55], v[54:55], v[98:99]
	v_add_f64_e32 v[62:63], v[104:105], v[82:83]
	;; [unrolled: 1-line block ×8, first 2 shown]
	v_mul_f64_e32 v[84:85], v[26:27], v[38:39]
	v_mul_f64_e32 v[86:87], v[24:25], v[38:39]
	v_mul_f64_e32 v[88:89], v[26:27], v[42:43]
	v_mul_f64_e32 v[98:99], v[34:35], v[38:39]
	v_mul_f64_e32 v[104:105], v[32:33], v[38:39]
	v_mul_f64_e32 v[38:39], v[34:35], v[42:43]
	v_mul_f64_e32 v[106:107], v[32:33], v[42:43]
	v_fma_f64 v[42:43], v[2:3], v[46:47], -v[100:101]
	v_fmac_f64_e32 v[102:103], v[4:5], v[46:47]
	v_fma_f64 v[2:3], v[2:3], v[50:51], -v[108:109]
	v_fmac_f64_e32 v[112:113], v[4:5], v[50:51]
	;; [unrolled: 2-line block ×4, first 2 shown]
	v_fmac_f64_e32 v[94:95], v[26:27], v[40:41]
	v_add_f64_e32 v[50:51], v[54:55], v[90:91]
	v_add_f64_e32 v[54:55], v[92:93], v[62:63]
	;; [unrolled: 1-line block ×8, first 2 shown]
	v_fma_f64 v[68:69], v[24:25], v[36:37], -v[84:85]
	v_fmac_f64_e32 v[86:87], v[26:27], v[36:37]
	v_fma_f64 v[24:25], v[24:25], v[40:41], -v[88:89]
	v_fma_f64 v[26:27], v[32:33], v[36:37], -v[98:99]
	v_fmac_f64_e32 v[104:105], v[34:35], v[36:37]
	v_fma_f64 v[70:71], v[32:33], v[40:41], -v[38:39]
	v_fmac_f64_e32 v[106:107], v[34:35], v[40:41]
	v_add_f64_e32 v[32:33], v[50:51], v[42:43]
	v_add_f64_e32 v[34:35], v[102:103], v[54:55]
	;; [unrolled: 1-line block ×16, first 2 shown]
	s_cbranch_vccz .LBB564_18
.LBB564_10:                             ;   Parent Loop BB564_7 Depth=1
                                        ; =>  This Inner Loop Header: Depth=2
	v_mov_b64_e32 v[2:3], 0
	v_mov_b64_e32 v[4:5], 0
	s_and_saveexec_b32 s19, s0
	s_cbranch_execz .LBB564_14
; %bb.11:                               ;   in Loop: Header=BB564_10 Depth=2
	v_mov_b64_e32 v[4:5], 0
	v_mov_b64_e32 v[2:3], 0
	v_add_nc_u32_e32 v0, s16, v8
	s_mov_b32 s24, exec_lo
	s_delay_alu instid0(VALU_DEP_1)
	v_cmpx_gt_u64_e64 s[8:9], v[0:1]
	s_cbranch_execz .LBB564_13
; %bb.12:                               ;   in Loop: Header=BB564_10 Depth=2
	v_lshl_add_u64 v[2:3], v[0:1], 4, v[28:29]
	flat_load_b128 v[2:5], v[2:3]
	s_wait_loadcnt_dscnt 0x0
	v_xor_b32_e32 v5, 0x80000000, v5
.LBB564_13:                             ;   in Loop: Header=BB564_10 Depth=2
	s_wait_xcnt 0x0
	s_or_b32 exec_lo, exec_lo, s24
.LBB564_14:                             ;   in Loop: Header=BB564_10 Depth=2
	s_delay_alu instid0(SALU_CYCLE_1) | instskip(SKIP_4) | instid1(SALU_CYCLE_1)
	s_or_b32 exec_lo, exec_lo, s19
	v_add_nc_u32_e32 v0, s16, v6
	ds_store_b128 v7, v[2:5]
	v_cmp_le_u64_e32 vcc_lo, s[8:9], v[0:1]
	s_or_b32 s19, vcc_lo, s18
	s_and_saveexec_b32 s24, s19
	s_delay_alu instid0(SALU_CYCLE_1)
	s_xor_b32 s19, exec_lo, s24
; %bb.15:                               ;   in Loop: Header=BB564_10 Depth=2
	v_dual_mov_b32 v0, v1 :: v_dual_mov_b32 v2, v1
	v_mov_b32_e32 v3, v1
	ds_store_b128 v9, v[0:3]
; %bb.16:                               ;   in Loop: Header=BB564_10 Depth=2
	s_and_not1_saveexec_b32 s19, s19
	s_cbranch_execz .LBB564_9
; %bb.17:                               ;   in Loop: Header=BB564_10 Depth=2
	v_lshl_add_u64 v[2:3], v[0:1], 4, v[30:31]
	flat_load_b128 v[2:5], v[2:3]
	s_wait_loadcnt_dscnt 0x0
	ds_store_2addr_b64 v9, v[2:3], v[4:5] offset1:1
	s_branch .LBB564_9
.LBB564_18:                             ;   in Loop: Header=BB564_7 Depth=1
	s_wait_loadcnt 0x0
	v_add_nc_u64_e32 v[22:23], s[6:7], v[22:23]
	s_delay_alu instid0(VALU_DEP_1)
	v_lshl_add_u64 v[28:29], v[14:15], 4, v[22:23]
	s_wait_xcnt 0x0
	s_and_saveexec_b32 s16, s23
	s_cbranch_execz .LBB564_23
; %bb.19:                               ;   in Loop: Header=BB564_7 Depth=1
	v_mul_f64_e32 v[2:3], s[12:13], v[42:43]
	v_mul_f64_e32 v[4:5], s[10:11], v[42:43]
	v_lshl_add_u64 v[30:31], v[18:19], 4, v[28:29]
	s_and_b32 vcc_lo, exec_lo, s22
	s_mov_b32 s17, -1
	s_delay_alu instid0(VALU_DEP_3) | instskip(NEXT) | instid1(VALU_DEP_3)
	v_fma_f64 v[2:3], s[10:11], v[40:41], -v[2:3]
	v_fmac_f64_e32 v[4:5], s[12:13], v[40:41]
	s_cbranch_vccz .LBB564_21
; %bb.20:                               ;   in Loop: Header=BB564_7 Depth=1
	flat_load_b128 v[40:43], v[30:31]
	s_mov_b32 s17, 0
	s_wait_loadcnt_dscnt 0x0
	v_mul_f64_e32 v[46:47], s[28:29], v[42:43]
	v_mul_f64_e32 v[42:43], s[26:27], v[42:43]
	s_delay_alu instid0(VALU_DEP_2) | instskip(NEXT) | instid1(VALU_DEP_2)
	v_fma_f64 v[46:47], s[26:27], v[40:41], -v[46:47]
	v_fmac_f64_e32 v[42:43], s[28:29], v[40:41]
	s_delay_alu instid0(VALU_DEP_2) | instskip(NEXT) | instid1(VALU_DEP_2)
	v_add_f64_e32 v[40:41], v[2:3], v[46:47]
	v_add_f64_e32 v[42:43], v[4:5], v[42:43]
	flat_store_b128 v[30:31], v[40:43]
.LBB564_21:                             ;   in Loop: Header=BB564_7 Depth=1
	s_and_not1_b32 vcc_lo, exec_lo, s17
	s_cbranch_vccnz .LBB564_23
; %bb.22:                               ;   in Loop: Header=BB564_7 Depth=1
	flat_store_b128 v[30:31], v[2:5]
.LBB564_23:                             ;   in Loop: Header=BB564_7 Depth=1
	s_wait_xcnt 0x0
	s_or_b32 exec_lo, exec_lo, s16
	s_and_saveexec_b32 s16, s1
	s_cbranch_execz .LBB564_28
; %bb.24:                               ;   in Loop: Header=BB564_7 Depth=1
	v_mul_f64_e32 v[2:3], s[12:13], v[38:39]
	v_mul_f64_e32 v[4:5], s[10:11], v[38:39]
	v_lshl_add_u64 v[28:29], v[20:21], 4, v[28:29]
	s_and_not1_b32 vcc_lo, exec_lo, s22
	s_mov_b32 s17, -1
	s_delay_alu instid0(VALU_DEP_3) | instskip(NEXT) | instid1(VALU_DEP_3)
	v_fma_f64 v[2:3], s[10:11], v[36:37], -v[2:3]
	v_fmac_f64_e32 v[4:5], s[12:13], v[36:37]
	s_cbranch_vccnz .LBB564_26
; %bb.25:                               ;   in Loop: Header=BB564_7 Depth=1
	flat_load_b128 v[36:39], v[28:29]
	s_mov_b32 s17, 0
	s_wait_loadcnt_dscnt 0x0
	v_mul_f64_e32 v[30:31], s[28:29], v[38:39]
	v_mul_f64_e32 v[38:39], s[26:27], v[38:39]
	s_delay_alu instid0(VALU_DEP_2) | instskip(NEXT) | instid1(VALU_DEP_2)
	v_fma_f64 v[30:31], s[26:27], v[36:37], -v[30:31]
	v_fmac_f64_e32 v[38:39], s[28:29], v[36:37]
	s_delay_alu instid0(VALU_DEP_2) | instskip(NEXT) | instid1(VALU_DEP_2)
	v_add_f64_e32 v[36:37], v[2:3], v[30:31]
	v_add_f64_e32 v[38:39], v[4:5], v[38:39]
	flat_store_b128 v[28:29], v[36:39]
.LBB564_26:                             ;   in Loop: Header=BB564_7 Depth=1
	s_and_not1_b32 vcc_lo, exec_lo, s17
	s_cbranch_vccnz .LBB564_28
; %bb.27:                               ;   in Loop: Header=BB564_7 Depth=1
	flat_store_b128 v[28:29], v[2:5]
.LBB564_28:                             ;   in Loop: Header=BB564_7 Depth=1
	s_wait_xcnt 0x0
	s_or_b32 exec_lo, exec_lo, s16
	v_lshl_add_u64 v[22:23], v[16:17], 4, v[22:23]
	s_and_saveexec_b32 s16, s36
	s_cbranch_execz .LBB564_33
; %bb.29:                               ;   in Loop: Header=BB564_7 Depth=1
	v_mul_f64_e32 v[2:3], s[12:13], v[34:35]
	v_mul_f64_e32 v[4:5], s[10:11], v[34:35]
	v_lshl_add_u64 v[28:29], v[18:19], 4, v[22:23]
	s_and_not1_b32 vcc_lo, exec_lo, s22
	s_mov_b32 s17, -1
	s_delay_alu instid0(VALU_DEP_3) | instskip(NEXT) | instid1(VALU_DEP_3)
	v_fma_f64 v[2:3], s[10:11], v[32:33], -v[2:3]
	v_fmac_f64_e32 v[4:5], s[12:13], v[32:33]
	s_cbranch_vccnz .LBB564_31
; %bb.30:                               ;   in Loop: Header=BB564_7 Depth=1
	flat_load_b128 v[30:33], v[28:29]
	s_mov_b32 s17, 0
	s_wait_loadcnt_dscnt 0x0
	v_mul_f64_e32 v[34:35], s[28:29], v[32:33]
	v_mul_f64_e32 v[32:33], s[26:27], v[32:33]
	s_delay_alu instid0(VALU_DEP_2) | instskip(NEXT) | instid1(VALU_DEP_2)
	v_fma_f64 v[34:35], s[26:27], v[30:31], -v[34:35]
	v_fmac_f64_e32 v[32:33], s[28:29], v[30:31]
	s_delay_alu instid0(VALU_DEP_2) | instskip(NEXT) | instid1(VALU_DEP_2)
	v_add_f64_e32 v[30:31], v[2:3], v[34:35]
	v_add_f64_e32 v[32:33], v[4:5], v[32:33]
	flat_store_b128 v[28:29], v[30:33]
.LBB564_31:                             ;   in Loop: Header=BB564_7 Depth=1
	s_and_not1_b32 vcc_lo, exec_lo, s17
	s_cbranch_vccnz .LBB564_33
; %bb.32:                               ;   in Loop: Header=BB564_7 Depth=1
	flat_store_b128 v[28:29], v[2:5]
.LBB564_33:                             ;   in Loop: Header=BB564_7 Depth=1
	s_wait_xcnt 0x0
	s_or_b32 exec_lo, exec_lo, s16
	s_and_saveexec_b32 s16, s37
	s_cbranch_execz .LBB564_6
; %bb.34:                               ;   in Loop: Header=BB564_7 Depth=1
	s_delay_alu instid0(VALU_DEP_4) | instskip(SKIP_4) | instid1(VALU_DEP_3)
	v_mul_f64_e32 v[2:3], s[12:13], v[26:27]
	v_mul_f64_e32 v[4:5], s[10:11], v[26:27]
	v_lshl_add_u64 v[22:23], v[20:21], 4, v[22:23]
	s_and_not1_b32 vcc_lo, exec_lo, s22
	s_mov_b32 s17, -1
	v_fma_f64 v[2:3], s[10:11], v[24:25], -v[2:3]
	s_delay_alu instid0(VALU_DEP_3)
	v_fmac_f64_e32 v[4:5], s[12:13], v[24:25]
	s_cbranch_vccnz .LBB564_36
; %bb.35:                               ;   in Loop: Header=BB564_7 Depth=1
	flat_load_b128 v[24:27], v[22:23]
	s_mov_b32 s17, 0
	s_wait_loadcnt_dscnt 0x0
	v_mul_f64_e32 v[28:29], s[28:29], v[26:27]
	v_mul_f64_e32 v[26:27], s[26:27], v[26:27]
	s_delay_alu instid0(VALU_DEP_2) | instskip(NEXT) | instid1(VALU_DEP_2)
	v_fma_f64 v[28:29], s[26:27], v[24:25], -v[28:29]
	v_fmac_f64_e32 v[26:27], s[28:29], v[24:25]
	s_delay_alu instid0(VALU_DEP_2) | instskip(NEXT) | instid1(VALU_DEP_2)
	v_add_f64_e32 v[24:25], v[2:3], v[28:29]
	v_add_f64_e32 v[26:27], v[4:5], v[26:27]
	flat_store_b128 v[22:23], v[24:27]
.LBB564_36:                             ;   in Loop: Header=BB564_7 Depth=1
	s_and_not1_b32 vcc_lo, exec_lo, s17
	s_cbranch_vccnz .LBB564_6
; %bb.37:                               ;   in Loop: Header=BB564_7 Depth=1
	flat_store_b128 v[22:23], v[2:5]
	s_branch .LBB564_6
.LBB564_38:
.LBB564_39:
	s_sendmsg sendmsg(MSG_DEALLOC_VGPRS)
	s_endpgm
	.section	.rodata,"a",@progbits
	.p2align	6, 0x0
	.amdhsa_kernel _ZL29rocblas_internal_gemmt_kernelIlLi16ELi32ELi8ELc67ELc78ELc85ELb1ELb0E19rocblas_complex_numIdES1_PKPKS1_PKPS1_EviT_T9_T10_S9_lSB_S9_lSA_T11_S9_li
		.amdhsa_group_segment_fixed_size 8192
		.amdhsa_private_segment_fixed_size 0
		.amdhsa_kernarg_size 124
		.amdhsa_user_sgpr_count 2
		.amdhsa_user_sgpr_dispatch_ptr 0
		.amdhsa_user_sgpr_queue_ptr 0
		.amdhsa_user_sgpr_kernarg_segment_ptr 1
		.amdhsa_user_sgpr_dispatch_id 0
		.amdhsa_user_sgpr_kernarg_preload_length 0
		.amdhsa_user_sgpr_kernarg_preload_offset 0
		.amdhsa_user_sgpr_private_segment_size 0
		.amdhsa_wavefront_size32 1
		.amdhsa_uses_dynamic_stack 0
		.amdhsa_enable_private_segment 0
		.amdhsa_system_sgpr_workgroup_id_x 1
		.amdhsa_system_sgpr_workgroup_id_y 1
		.amdhsa_system_sgpr_workgroup_id_z 1
		.amdhsa_system_sgpr_workgroup_info 0
		.amdhsa_system_vgpr_workitem_id 1
		.amdhsa_next_free_vgpr 132
		.amdhsa_next_free_sgpr 43
		.amdhsa_named_barrier_count 0
		.amdhsa_reserve_vcc 1
		.amdhsa_float_round_mode_32 0
		.amdhsa_float_round_mode_16_64 0
		.amdhsa_float_denorm_mode_32 3
		.amdhsa_float_denorm_mode_16_64 3
		.amdhsa_fp16_overflow 0
		.amdhsa_memory_ordered 1
		.amdhsa_forward_progress 1
		.amdhsa_inst_pref_size 23
		.amdhsa_round_robin_scheduling 0
		.amdhsa_exception_fp_ieee_invalid_op 0
		.amdhsa_exception_fp_denorm_src 0
		.amdhsa_exception_fp_ieee_div_zero 0
		.amdhsa_exception_fp_ieee_overflow 0
		.amdhsa_exception_fp_ieee_underflow 0
		.amdhsa_exception_fp_ieee_inexact 0
		.amdhsa_exception_int_div_zero 0
	.end_amdhsa_kernel
	.section	.text._ZL29rocblas_internal_gemmt_kernelIlLi16ELi32ELi8ELc67ELc78ELc85ELb1ELb0E19rocblas_complex_numIdES1_PKPKS1_PKPS1_EviT_T9_T10_S9_lSB_S9_lSA_T11_S9_li,"axG",@progbits,_ZL29rocblas_internal_gemmt_kernelIlLi16ELi32ELi8ELc67ELc78ELc85ELb1ELb0E19rocblas_complex_numIdES1_PKPKS1_PKPS1_EviT_T9_T10_S9_lSB_S9_lSA_T11_S9_li,comdat
.Lfunc_end564:
	.size	_ZL29rocblas_internal_gemmt_kernelIlLi16ELi32ELi8ELc67ELc78ELc85ELb1ELb0E19rocblas_complex_numIdES1_PKPKS1_PKPS1_EviT_T9_T10_S9_lSB_S9_lSA_T11_S9_li, .Lfunc_end564-_ZL29rocblas_internal_gemmt_kernelIlLi16ELi32ELi8ELc67ELc78ELc85ELb1ELb0E19rocblas_complex_numIdES1_PKPKS1_PKPS1_EviT_T9_T10_S9_lSB_S9_lSA_T11_S9_li
                                        ; -- End function
	.set _ZL29rocblas_internal_gemmt_kernelIlLi16ELi32ELi8ELc67ELc78ELc85ELb1ELb0E19rocblas_complex_numIdES1_PKPKS1_PKPS1_EviT_T9_T10_S9_lSB_S9_lSA_T11_S9_li.num_vgpr, 132
	.set _ZL29rocblas_internal_gemmt_kernelIlLi16ELi32ELi8ELc67ELc78ELc85ELb1ELb0E19rocblas_complex_numIdES1_PKPKS1_PKPS1_EviT_T9_T10_S9_lSB_S9_lSA_T11_S9_li.num_agpr, 0
	.set _ZL29rocblas_internal_gemmt_kernelIlLi16ELi32ELi8ELc67ELc78ELc85ELb1ELb0E19rocblas_complex_numIdES1_PKPKS1_PKPS1_EviT_T9_T10_S9_lSB_S9_lSA_T11_S9_li.numbered_sgpr, 43
	.set _ZL29rocblas_internal_gemmt_kernelIlLi16ELi32ELi8ELc67ELc78ELc85ELb1ELb0E19rocblas_complex_numIdES1_PKPKS1_PKPS1_EviT_T9_T10_S9_lSB_S9_lSA_T11_S9_li.num_named_barrier, 0
	.set _ZL29rocblas_internal_gemmt_kernelIlLi16ELi32ELi8ELc67ELc78ELc85ELb1ELb0E19rocblas_complex_numIdES1_PKPKS1_PKPS1_EviT_T9_T10_S9_lSB_S9_lSA_T11_S9_li.private_seg_size, 0
	.set _ZL29rocblas_internal_gemmt_kernelIlLi16ELi32ELi8ELc67ELc78ELc85ELb1ELb0E19rocblas_complex_numIdES1_PKPKS1_PKPS1_EviT_T9_T10_S9_lSB_S9_lSA_T11_S9_li.uses_vcc, 1
	.set _ZL29rocblas_internal_gemmt_kernelIlLi16ELi32ELi8ELc67ELc78ELc85ELb1ELb0E19rocblas_complex_numIdES1_PKPKS1_PKPS1_EviT_T9_T10_S9_lSB_S9_lSA_T11_S9_li.uses_flat_scratch, 0
	.set _ZL29rocblas_internal_gemmt_kernelIlLi16ELi32ELi8ELc67ELc78ELc85ELb1ELb0E19rocblas_complex_numIdES1_PKPKS1_PKPS1_EviT_T9_T10_S9_lSB_S9_lSA_T11_S9_li.has_dyn_sized_stack, 0
	.set _ZL29rocblas_internal_gemmt_kernelIlLi16ELi32ELi8ELc67ELc78ELc85ELb1ELb0E19rocblas_complex_numIdES1_PKPKS1_PKPS1_EviT_T9_T10_S9_lSB_S9_lSA_T11_S9_li.has_recursion, 0
	.set _ZL29rocblas_internal_gemmt_kernelIlLi16ELi32ELi8ELc67ELc78ELc85ELb1ELb0E19rocblas_complex_numIdES1_PKPKS1_PKPS1_EviT_T9_T10_S9_lSB_S9_lSA_T11_S9_li.has_indirect_call, 0
	.section	.AMDGPU.csdata,"",@progbits
; Kernel info:
; codeLenInByte = 2924
; TotalNumSgprs: 45
; NumVgprs: 132
; ScratchSize: 0
; MemoryBound: 1
; FloatMode: 240
; IeeeMode: 1
; LDSByteSize: 8192 bytes/workgroup (compile time only)
; SGPRBlocks: 0
; VGPRBlocks: 8
; NumSGPRsForWavesPerEU: 45
; NumVGPRsForWavesPerEU: 132
; NamedBarCnt: 0
; Occupancy: 7
; WaveLimiterHint : 1
; COMPUTE_PGM_RSRC2:SCRATCH_EN: 0
; COMPUTE_PGM_RSRC2:USER_SGPR: 2
; COMPUTE_PGM_RSRC2:TRAP_HANDLER: 0
; COMPUTE_PGM_RSRC2:TGID_X_EN: 1
; COMPUTE_PGM_RSRC2:TGID_Y_EN: 1
; COMPUTE_PGM_RSRC2:TGID_Z_EN: 1
; COMPUTE_PGM_RSRC2:TIDIG_COMP_CNT: 1
	.section	.text._ZL29rocblas_internal_gemmt_kernelIlLi16ELi32ELi8ELc67ELc84ELc85ELb1ELb0E19rocblas_complex_numIdES1_PKPKS1_PKPS1_EviT_T9_T10_S9_lSB_S9_lSA_T11_S9_li,"axG",@progbits,_ZL29rocblas_internal_gemmt_kernelIlLi16ELi32ELi8ELc67ELc84ELc85ELb1ELb0E19rocblas_complex_numIdES1_PKPKS1_PKPS1_EviT_T9_T10_S9_lSB_S9_lSA_T11_S9_li,comdat
	.globl	_ZL29rocblas_internal_gemmt_kernelIlLi16ELi32ELi8ELc67ELc84ELc85ELb1ELb0E19rocblas_complex_numIdES1_PKPKS1_PKPS1_EviT_T9_T10_S9_lSB_S9_lSA_T11_S9_li ; -- Begin function _ZL29rocblas_internal_gemmt_kernelIlLi16ELi32ELi8ELc67ELc84ELc85ELb1ELb0E19rocblas_complex_numIdES1_PKPKS1_PKPS1_EviT_T9_T10_S9_lSB_S9_lSA_T11_S9_li
	.p2align	8
	.type	_ZL29rocblas_internal_gemmt_kernelIlLi16ELi32ELi8ELc67ELc84ELc85ELb1ELb0E19rocblas_complex_numIdES1_PKPKS1_PKPS1_EviT_T9_T10_S9_lSB_S9_lSA_T11_S9_li,@function
_ZL29rocblas_internal_gemmt_kernelIlLi16ELi32ELi8ELc67ELc84ELc85ELb1ELb0E19rocblas_complex_numIdES1_PKPKS1_PKPS1_EviT_T9_T10_S9_lSB_S9_lSA_T11_S9_li: ; @_ZL29rocblas_internal_gemmt_kernelIlLi16ELi32ELi8ELc67ELc84ELc85ELb1ELb0E19rocblas_complex_numIdES1_PKPKS1_PKPS1_EviT_T9_T10_S9_lSB_S9_lSA_T11_S9_li
; %bb.0:
	s_clause 0x1
	s_load_b256 s[24:31], s[0:1], 0x48
	s_load_b512 s[8:23], s[0:1], 0x8
	s_wait_kmcnt 0x0
	v_cmp_eq_f64_e64 s2, s[26:27], 1.0
	v_cmp_eq_f64_e64 s3, s[28:29], 0
	s_and_b32 s2, s2, s3
	s_delay_alu instid0(SALU_CYCLE_1)
	s_and_not1_b32 vcc_lo, exec_lo, s2
	s_mov_b32 s2, -1
	s_cbranch_vccnz .LBB565_3
; %bb.1:
	s_cmp_lg_u64 s[8:9], 0
	s_cbranch_scc0 .LBB565_38
; %bb.2:
	v_cmp_neq_f64_e64 s2, s[10:11], 0
	v_cmp_neq_f64_e64 s4, s[12:13], 0
	s_or_b32 s2, s2, s4
.LBB565_3:
	s_delay_alu instid0(SALU_CYCLE_1)
	s_and_b32 vcc_lo, exec_lo, s2
	s_cbranch_vccz .LBB565_39
; %bb.4:
	s_load_b32 s33, s[0:1], 0x78
	s_bfe_u32 s2, ttmp6, 0x40014
	s_lshr_b32 s4, ttmp7, 16
	s_add_co_i32 s2, s2, 1
	s_bfe_u32 s6, ttmp6, 0x40008
	s_mul_i32 s5, s4, s2
	s_getreg_b32 s2, hwreg(HW_REG_IB_STS2, 6, 4)
	s_add_co_i32 s6, s6, s5
	s_cmp_eq_u32 s2, 0
	s_mov_b32 s35, 0
	s_cselect_b32 s34, s4, s6
	s_wait_kmcnt 0x0
	s_cmp_ge_u32 s34, s33
	s_cbranch_scc1 .LBB565_39
; %bb.5:
	s_clause 0x1
	s_load_b128 s[4:7], s[0:1], 0x68
	s_load_b32 s38, s[0:1], 0x0
	s_wait_xcnt 0x0
	s_bfe_u32 s1, ttmp6, 0x4000c
	s_bfe_u32 s40, ttmp6, 0x40010
	s_and_b32 s39, ttmp7, 0xffff
	s_add_co_i32 s1, s1, 1
	s_add_co_i32 s40, s40, 1
	v_and_b32_e32 v19, 0x3ff, v0
	v_bfe_u32 v21, v0, 10, 10
	s_and_b32 s0, ttmp6, 15
	s_bfe_u32 s41, ttmp6, 0x40004
	s_mul_i32 s1, ttmp9, s1
	s_mul_i32 s40, s39, s40
	s_add_co_i32 s0, s0, s1
	s_add_co_i32 s41, s41, s40
	s_cmp_eq_u32 s2, 0
	v_lshl_add_u32 v1, v21, 4, v19
	s_cselect_b32 s1, s39, s41
	s_cselect_b32 s0, ttmp9, s0
	s_lshl_b32 s1, s1, 5
	s_delay_alu instid0(VALU_DEP_1) | instskip(SKIP_4) | instid1(VALU_DEP_3)
	v_dual_lshrrev_b32 v9, 3, v1 :: v_dual_bitop2_b32 v6, 7, v0 bitop3:0x40
	v_dual_lshrrev_b32 v8, 5, v1 :: v_dual_bitop2_b32 v7, 31, v1 bitop3:0x40
	s_lshl_b32 s2, s0, 5
	v_add_nc_u32_e32 v0, s1, v21
	v_cmp_neq_f64_e64 s36, s[10:11], 0
	v_dual_add_nc_u32 v10, s1, v9 :: v_dual_bitop2_b32 v2, s2, v7 bitop3:0x54
	v_cmp_neq_f64_e64 s37, s[12:13], 0
	s_delay_alu instid0(VALU_DEP_4) | instskip(SKIP_1) | instid1(VALU_DEP_4)
	v_add_nc_u32_e32 v4, 16, v0
	v_cmp_neq_f64_e64 s40, s[26:27], 0
	v_dual_ashrrev_i32 v3, 31, v2 :: v_dual_ashrrev_i32 v1, 31, v0
	s_delay_alu instid0(VALU_DEP_3) | instskip(SKIP_1) | instid1(VALU_DEP_3)
	v_dual_lshlrev_b32 v11, 4, v6 :: v_dual_ashrrev_i32 v5, 31, v4
	v_dual_add_nc_u32 v18, s2, v19 :: v_dual_lshlrev_b32 v44, 4, v19
	v_mul_u64_e32 v[12:13], s[16:17], v[2:3]
	s_wait_kmcnt 0x0
	v_mul_u64_e32 v[14:15], s[4:5], v[0:1]
	v_mul_u64_e32 v[16:17], s[4:5], v[4:5]
	v_cmp_gt_i32_e64 s1, s38, v0
	v_cmp_le_i32_e64 s2, v18, v0
	v_dual_add_nc_u32 v20, 16, v18 :: v_dual_ashrrev_i32 v19, 31, v18
	v_lshlrev_b32_e32 v7, 4, v7
	v_lshl_or_b32 v3, v9, 7, v11
	v_cmp_gt_i64_e64 s42, s[8:9], 0
	s_xor_b32 s3, s3, -1
	v_cmp_gt_i32_e32 vcc_lo, s38, v10
	v_cmp_le_i32_e64 s4, v18, v4
	v_cmp_le_i32_e64 s5, v20, v4
	v_cmp_gt_i32_e64 s0, s38, v2
	v_add_nc_u32_e32 v9, 0x1000, v3
	v_ashrrev_i32_e32 v11, 31, v10
	v_lshl_or_b32 v7, v8, 9, v7
	v_lshl_add_u32 v45, v21, 7, 0x1000
	v_dual_ashrrev_i32 v21, 31, v20 :: v_dual_mov_b32 v1, 0
	s_lshl_b64 s[6:7], s[6:7], 4
	s_or_b32 s41, s36, s37
	s_and_b32 s37, s1, s2
	s_or_b32 s36, s40, s3
	v_cmp_le_i32_e64 s2, v20, v0
	v_cmp_gt_i32_e64 s3, s38, v4
	s_and_b32 s40, s41, s42
	s_and_b32 s1, s1, s2
	;; [unrolled: 1-line block ×4, first 2 shown]
	s_lshl_b64 s[2:3], s[24:25], 4
	s_lshl_b64 s[4:5], s[18:19], 4
	s_xor_b32 s18, vcc_lo, -1
	s_branch .LBB565_7
.LBB565_6:                              ;   in Loop: Header=BB565_7 Depth=1
	s_wait_xcnt 0x0
	s_or_b32 exec_lo, exec_lo, s16
	s_add_co_i32 s34, s34, 0x10000
	s_delay_alu instid0(SALU_CYCLE_1)
	s_cmp_lt_u32 s34, s33
	s_cbranch_scc0 .LBB565_39
.LBB565_7:                              ; =>This Loop Header: Depth=1
                                        ;     Child Loop BB565_10 Depth 2
	v_mov_b32_e32 v0, s34
	v_mov_b64_e32 v[40:41], 0
	v_mov_b64_e32 v[42:43], 0
	;; [unrolled: 1-line block ×4, first 2 shown]
	global_load_b64 v[22:23], v0, s[30:31] scale_offset
	v_mov_b64_e32 v[32:33], 0
	v_mov_b64_e32 v[34:35], 0
	;; [unrolled: 1-line block ×4, first 2 shown]
	s_and_not1_b32 vcc_lo, exec_lo, s40
	s_cbranch_vccnz .LBB565_18
; %bb.8:                                ;   in Loop: Header=BB565_7 Depth=1
	s_lshl_b64 s[16:17], s[34:35], 3
	v_mov_b64_e32 v[26:27], 0
	s_add_nc_u64 s[24:25], s[14:15], s[16:17]
	s_add_nc_u64 s[16:17], s[20:21], s[16:17]
	s_clause 0x1
	global_load_b64 v[2:3], v1, s[24:25]
	global_load_b64 v[4:5], v1, s[16:17]
	v_mov_b64_e32 v[24:25], 0
	v_mov_b64_e32 v[34:35], 0
	;; [unrolled: 1-line block ×7, first 2 shown]
	s_wait_xcnt 0x0
	s_mov_b64 s[16:17], 0
	s_wait_loadcnt 0x1
	v_add_nc_u64_e32 v[2:3], s[4:5], v[2:3]
	s_wait_loadcnt 0x0
	v_add_nc_u64_e32 v[4:5], s[2:3], v[4:5]
	s_delay_alu instid0(VALU_DEP_2) | instskip(NEXT) | instid1(VALU_DEP_2)
	v_lshl_add_u64 v[28:29], v[12:13], 4, v[2:3]
	v_lshl_add_u64 v[30:31], v[10:11], 4, v[4:5]
	s_branch .LBB565_10
.LBB565_9:                              ;   in Loop: Header=BB565_10 Depth=2
	s_wait_xcnt 0x0
	s_or_b32 exec_lo, exec_lo, s19
	s_wait_dscnt 0x0
	s_barrier_signal -1
	s_barrier_wait -1
	ds_load_b128 v[2:5], v45
	ds_load_b128 v[46:49], v44
	ds_load_b128 v[50:53], v44 offset:256
	ds_load_b128 v[54:57], v45 offset:2048
	;; [unrolled: 1-line block ×10, first 2 shown]
	s_add_nc_u64 s[16:17], s[16:17], 8
	s_delay_alu instid0(SALU_CYCLE_1)
	v_cmp_gt_i64_e64 s19, s[8:9], s[16:17]
	s_and_b32 vcc_lo, exec_lo, s19
	s_wait_dscnt 0xa
	v_mul_f64_e32 v[90:91], v[4:5], v[48:49]
	v_mul_f64_e32 v[92:93], v[2:3], v[48:49]
	s_wait_dscnt 0x9
	v_mul_f64_e32 v[94:95], v[4:5], v[52:53]
	v_mul_f64_e32 v[96:97], v[2:3], v[52:53]
	s_wait_dscnt 0x8
	v_mul_f64_e32 v[98:99], v[56:57], v[48:49]
	v_mul_f64_e32 v[100:101], v[54:55], v[48:49]
	v_mul_f64_e32 v[48:49], v[56:57], v[52:53]
	v_mul_f64_e32 v[102:103], v[54:55], v[52:53]
	s_wait_dscnt 0x6
	v_mul_f64_e32 v[104:105], v[60:61], v[64:65]
	v_mul_f64_e32 v[106:107], v[58:59], v[64:65]
	s_wait_dscnt 0x5
	v_mul_f64_e32 v[108:109], v[60:61], v[68:69]
	v_mul_f64_e32 v[110:111], v[58:59], v[68:69]
	s_wait_dscnt 0x4
	v_mul_f64_e32 v[112:113], v[72:73], v[64:65]
	v_mul_f64_e32 v[64:65], v[70:71], v[64:65]
	v_mul_f64_e32 v[114:115], v[72:73], v[68:69]
	v_mul_f64_e32 v[68:69], v[70:71], v[68:69]
	;; [unrolled: 11-line block ×3, first 2 shown]
	v_fma_f64 v[90:91], v[2:3], v[46:47], -v[90:91]
	v_fmac_f64_e32 v[92:93], v[4:5], v[46:47]
	v_fma_f64 v[94:95], v[2:3], v[50:51], -v[94:95]
	v_fmac_f64_e32 v[96:97], v[4:5], v[50:51]
	;; [unrolled: 2-line block ×8, first 2 shown]
	ds_load_b128 v[2:5], v45 offset:48
	ds_load_b128 v[46:49], v45 offset:2096
	;; [unrolled: 1-line block ×4, first 2 shown]
	v_fma_f64 v[118:119], v[74:75], v[78:79], -v[118:119]
	v_fmac_f64_e32 v[120:121], v[76:77], v[78:79]
	v_fma_f64 v[74:75], v[74:75], v[82:83], -v[122:123]
	v_fmac_f64_e32 v[124:125], v[76:77], v[82:83]
	;; [unrolled: 2-line block ×4, first 2 shown]
	v_add_f64_e32 v[66:67], v[40:41], v[90:91]
	v_add_f64_e32 v[70:71], v[92:93], v[42:43]
	;; [unrolled: 1-line block ×8, first 2 shown]
	s_wait_dscnt 0x1
	v_mul_f64_e32 v[100:101], v[4:5], v[52:53]
	v_mul_f64_e32 v[102:103], v[2:3], v[52:53]
	s_wait_dscnt 0x0
	v_mul_f64_e32 v[108:109], v[4:5], v[56:57]
	v_mul_f64_e32 v[112:113], v[2:3], v[56:57]
	;; [unrolled: 1-line block ×6, first 2 shown]
	ds_load_b128 v[24:27], v45 offset:64
	ds_load_b128 v[32:35], v44 offset:2048
	;; [unrolled: 1-line block ×4, first 2 shown]
	v_add_f64_e32 v[82:83], v[66:67], v[104:105]
	v_add_f64_e32 v[86:87], v[106:107], v[70:71]
	;; [unrolled: 1-line block ×8, first 2 shown]
	s_wait_dscnt 0x2
	v_mul_f64_e32 v[98:99], v[26:27], v[34:35]
	v_mul_f64_e32 v[104:105], v[24:25], v[34:35]
	s_wait_dscnt 0x1
	v_mul_f64_e32 v[106:107], v[26:27], v[38:39]
	v_mul_f64_e32 v[110:111], v[24:25], v[38:39]
	;; [unrolled: 3-line block ×3, first 2 shown]
	v_mul_f64_e32 v[34:35], v[42:43], v[38:39]
	v_mul_f64_e32 v[128:129], v[40:41], v[38:39]
	v_fma_f64 v[38:39], v[2:3], v[50:51], -v[100:101]
	v_fmac_f64_e32 v[102:103], v[4:5], v[50:51]
	v_fma_f64 v[100:101], v[2:3], v[54:55], -v[108:109]
	v_fmac_f64_e32 v[112:113], v[4:5], v[54:55]
	;; [unrolled: 2-line block ×4, first 2 shown]
	ds_load_b128 v[56:59], v45 offset:80
	ds_load_b128 v[60:63], v45 offset:2128
	;; [unrolled: 1-line block ×4, first 2 shown]
	v_add_f64_e32 v[54:55], v[82:83], v[118:119]
	v_add_f64_e32 v[82:83], v[120:121], v[86:87]
	v_add_f64_e32 v[86:87], v[72:73], v[74:75]
	v_add_f64_e32 v[88:89], v[124:125], v[88:89]
	v_add_f64_e32 v[76:77], v[90:91], v[76:77]
	v_add_f64_e32 v[80:81], v[80:81], v[92:93]
	v_add_f64_e32 v[78:79], v[94:95], v[78:79]
	v_add_f64_e32 v[84:85], v[84:85], v[96:97]
	v_fma_f64 v[98:99], v[24:25], v[32:33], -v[98:99]
	v_fmac_f64_e32 v[104:105], v[26:27], v[32:33]
	v_fma_f64 v[106:107], v[24:25], v[36:37], -v[106:107]
	s_wait_dscnt 0x1
	v_mul_f64_e32 v[90:91], v[58:59], v[66:67]
	v_mul_f64_e32 v[92:93], v[56:57], v[66:67]
	s_wait_dscnt 0x0
	v_mul_f64_e32 v[94:95], v[58:59], v[70:71]
	v_mul_f64_e32 v[96:97], v[56:57], v[70:71]
	;; [unrolled: 1-line block ×6, first 2 shown]
	v_fmac_f64_e32 v[110:111], v[26:27], v[36:37]
	v_fma_f64 v[122:123], v[40:41], v[32:33], -v[122:123]
	v_fmac_f64_e32 v[126:127], v[42:43], v[32:33]
	v_fma_f64 v[124:125], v[40:41], v[36:37], -v[34:35]
	v_fmac_f64_e32 v[128:129], v[42:43], v[36:37]
	ds_load_b128 v[2:5], v45 offset:96
	ds_load_b128 v[46:49], v44 offset:3072
	;; [unrolled: 1-line block ×4, first 2 shown]
	v_add_f64_e32 v[54:55], v[54:55], v[38:39]
	v_add_f64_e32 v[82:83], v[102:103], v[82:83]
	;; [unrolled: 1-line block ×8, first 2 shown]
	ds_load_b128 v[24:27], v45 offset:112
	ds_load_b128 v[32:35], v45 offset:2160
	;; [unrolled: 1-line block ×4, first 2 shown]
	s_wait_dscnt 0x0
	v_mul_f64_e32 v[100:101], v[4:5], v[48:49]
	v_mul_f64_e32 v[102:103], v[2:3], v[48:49]
	;; [unrolled: 1-line block ×8, first 2 shown]
	v_fma_f64 v[90:91], v[56:57], v[64:65], -v[90:91]
	v_fmac_f64_e32 v[92:93], v[58:59], v[64:65]
	v_fma_f64 v[56:57], v[56:57], v[68:69], -v[94:95]
	v_fmac_f64_e32 v[96:97], v[58:59], v[68:69]
	;; [unrolled: 2-line block ×4, first 2 shown]
	s_barrier_signal -1
	s_barrier_wait -1
	v_mul_f64_e32 v[94:95], v[24:25], v[42:43]
	v_add_f64_e32 v[54:55], v[54:55], v[98:99]
	v_add_f64_e32 v[62:63], v[104:105], v[82:83]
	;; [unrolled: 1-line block ×8, first 2 shown]
	v_mul_f64_e32 v[84:85], v[26:27], v[38:39]
	v_mul_f64_e32 v[86:87], v[24:25], v[38:39]
	;; [unrolled: 1-line block ×7, first 2 shown]
	v_fma_f64 v[42:43], v[2:3], v[46:47], -v[100:101]
	v_fmac_f64_e32 v[102:103], v[4:5], v[46:47]
	v_fma_f64 v[2:3], v[2:3], v[50:51], -v[108:109]
	v_fmac_f64_e32 v[112:113], v[4:5], v[50:51]
	;; [unrolled: 2-line block ×4, first 2 shown]
	v_fmac_f64_e32 v[94:95], v[26:27], v[40:41]
	v_add_f64_e32 v[50:51], v[54:55], v[90:91]
	v_add_f64_e32 v[54:55], v[92:93], v[62:63]
	;; [unrolled: 1-line block ×8, first 2 shown]
	v_fma_f64 v[68:69], v[24:25], v[36:37], -v[84:85]
	v_fmac_f64_e32 v[86:87], v[26:27], v[36:37]
	v_fma_f64 v[24:25], v[24:25], v[40:41], -v[88:89]
	v_fma_f64 v[26:27], v[32:33], v[36:37], -v[98:99]
	v_fmac_f64_e32 v[104:105], v[34:35], v[36:37]
	v_fma_f64 v[70:71], v[32:33], v[40:41], -v[38:39]
	v_fmac_f64_e32 v[106:107], v[34:35], v[40:41]
	v_add_f64_e32 v[32:33], v[50:51], v[42:43]
	v_add_f64_e32 v[34:35], v[102:103], v[54:55]
	;; [unrolled: 1-line block ×16, first 2 shown]
	s_cbranch_vccz .LBB565_18
.LBB565_10:                             ;   Parent Loop BB565_7 Depth=1
                                        ; =>  This Inner Loop Header: Depth=2
	v_mov_b64_e32 v[2:3], 0
	v_mov_b64_e32 v[4:5], 0
	s_and_saveexec_b32 s19, s0
	s_cbranch_execz .LBB565_14
; %bb.11:                               ;   in Loop: Header=BB565_10 Depth=2
	v_mov_b64_e32 v[4:5], 0
	v_mov_b64_e32 v[2:3], 0
	v_add_nc_u32_e32 v0, s16, v8
	s_mov_b32 s24, exec_lo
	s_delay_alu instid0(VALU_DEP_1)
	v_cmpx_gt_u64_e64 s[8:9], v[0:1]
	s_cbranch_execz .LBB565_13
; %bb.12:                               ;   in Loop: Header=BB565_10 Depth=2
	v_lshl_add_u64 v[2:3], v[0:1], 4, v[28:29]
	flat_load_b128 v[2:5], v[2:3]
	s_wait_loadcnt_dscnt 0x0
	v_xor_b32_e32 v5, 0x80000000, v5
.LBB565_13:                             ;   in Loop: Header=BB565_10 Depth=2
	s_wait_xcnt 0x0
	s_or_b32 exec_lo, exec_lo, s24
.LBB565_14:                             ;   in Loop: Header=BB565_10 Depth=2
	s_delay_alu instid0(SALU_CYCLE_1) | instskip(SKIP_4) | instid1(SALU_CYCLE_1)
	s_or_b32 exec_lo, exec_lo, s19
	v_add_nc_u32_e32 v0, s16, v6
	ds_store_b128 v7, v[2:5]
	v_cmp_le_u64_e32 vcc_lo, s[8:9], v[0:1]
	s_or_b32 s19, vcc_lo, s18
	s_and_saveexec_b32 s24, s19
	s_delay_alu instid0(SALU_CYCLE_1)
	s_xor_b32 s19, exec_lo, s24
; %bb.15:                               ;   in Loop: Header=BB565_10 Depth=2
	v_dual_mov_b32 v0, v1 :: v_dual_mov_b32 v2, v1
	v_mov_b32_e32 v3, v1
	ds_store_b128 v9, v[0:3]
; %bb.16:                               ;   in Loop: Header=BB565_10 Depth=2
	s_and_not1_saveexec_b32 s19, s19
	s_cbranch_execz .LBB565_9
; %bb.17:                               ;   in Loop: Header=BB565_10 Depth=2
	v_mul_u64_e32 v[2:3], s[22:23], v[0:1]
	s_delay_alu instid0(VALU_DEP_1)
	v_lshl_add_u64 v[2:3], v[2:3], 4, v[30:31]
	flat_load_b128 v[2:5], v[2:3]
	s_wait_loadcnt_dscnt 0x0
	ds_store_2addr_b64 v9, v[2:3], v[4:5] offset1:1
	s_branch .LBB565_9
.LBB565_18:                             ;   in Loop: Header=BB565_7 Depth=1
	s_wait_loadcnt 0x0
	v_add_nc_u64_e32 v[22:23], s[6:7], v[22:23]
	s_delay_alu instid0(VALU_DEP_1)
	v_lshl_add_u64 v[28:29], v[14:15], 4, v[22:23]
	s_wait_xcnt 0x0
	s_and_saveexec_b32 s16, s37
	s_cbranch_execz .LBB565_23
; %bb.19:                               ;   in Loop: Header=BB565_7 Depth=1
	v_mul_f64_e32 v[2:3], s[12:13], v[42:43]
	v_mul_f64_e32 v[4:5], s[10:11], v[42:43]
	v_lshl_add_u64 v[30:31], v[18:19], 4, v[28:29]
	s_and_b32 vcc_lo, exec_lo, s36
	s_mov_b32 s17, -1
	s_delay_alu instid0(VALU_DEP_3) | instskip(NEXT) | instid1(VALU_DEP_3)
	v_fma_f64 v[2:3], s[10:11], v[40:41], -v[2:3]
	v_fmac_f64_e32 v[4:5], s[12:13], v[40:41]
	s_cbranch_vccz .LBB565_21
; %bb.20:                               ;   in Loop: Header=BB565_7 Depth=1
	flat_load_b128 v[40:43], v[30:31]
	s_mov_b32 s17, 0
	s_wait_loadcnt_dscnt 0x0
	v_mul_f64_e32 v[46:47], s[28:29], v[42:43]
	v_mul_f64_e32 v[42:43], s[26:27], v[42:43]
	s_delay_alu instid0(VALU_DEP_2) | instskip(NEXT) | instid1(VALU_DEP_2)
	v_fma_f64 v[46:47], s[26:27], v[40:41], -v[46:47]
	v_fmac_f64_e32 v[42:43], s[28:29], v[40:41]
	s_delay_alu instid0(VALU_DEP_2) | instskip(NEXT) | instid1(VALU_DEP_2)
	v_add_f64_e32 v[40:41], v[2:3], v[46:47]
	v_add_f64_e32 v[42:43], v[4:5], v[42:43]
	flat_store_b128 v[30:31], v[40:43]
.LBB565_21:                             ;   in Loop: Header=BB565_7 Depth=1
	s_and_not1_b32 vcc_lo, exec_lo, s17
	s_cbranch_vccnz .LBB565_23
; %bb.22:                               ;   in Loop: Header=BB565_7 Depth=1
	flat_store_b128 v[30:31], v[2:5]
.LBB565_23:                             ;   in Loop: Header=BB565_7 Depth=1
	s_wait_xcnt 0x0
	s_or_b32 exec_lo, exec_lo, s16
	s_and_saveexec_b32 s16, s1
	s_cbranch_execz .LBB565_28
; %bb.24:                               ;   in Loop: Header=BB565_7 Depth=1
	v_mul_f64_e32 v[2:3], s[12:13], v[38:39]
	v_mul_f64_e32 v[4:5], s[10:11], v[38:39]
	v_lshl_add_u64 v[28:29], v[20:21], 4, v[28:29]
	s_and_not1_b32 vcc_lo, exec_lo, s36
	s_mov_b32 s17, -1
	s_delay_alu instid0(VALU_DEP_3) | instskip(NEXT) | instid1(VALU_DEP_3)
	v_fma_f64 v[2:3], s[10:11], v[36:37], -v[2:3]
	v_fmac_f64_e32 v[4:5], s[12:13], v[36:37]
	s_cbranch_vccnz .LBB565_26
; %bb.25:                               ;   in Loop: Header=BB565_7 Depth=1
	flat_load_b128 v[36:39], v[28:29]
	s_mov_b32 s17, 0
	s_wait_loadcnt_dscnt 0x0
	v_mul_f64_e32 v[30:31], s[28:29], v[38:39]
	v_mul_f64_e32 v[38:39], s[26:27], v[38:39]
	s_delay_alu instid0(VALU_DEP_2) | instskip(NEXT) | instid1(VALU_DEP_2)
	v_fma_f64 v[30:31], s[26:27], v[36:37], -v[30:31]
	v_fmac_f64_e32 v[38:39], s[28:29], v[36:37]
	s_delay_alu instid0(VALU_DEP_2) | instskip(NEXT) | instid1(VALU_DEP_2)
	v_add_f64_e32 v[36:37], v[2:3], v[30:31]
	v_add_f64_e32 v[38:39], v[4:5], v[38:39]
	flat_store_b128 v[28:29], v[36:39]
.LBB565_26:                             ;   in Loop: Header=BB565_7 Depth=1
	s_and_not1_b32 vcc_lo, exec_lo, s17
	s_cbranch_vccnz .LBB565_28
; %bb.27:                               ;   in Loop: Header=BB565_7 Depth=1
	flat_store_b128 v[28:29], v[2:5]
.LBB565_28:                             ;   in Loop: Header=BB565_7 Depth=1
	s_wait_xcnt 0x0
	s_or_b32 exec_lo, exec_lo, s16
	v_lshl_add_u64 v[22:23], v[16:17], 4, v[22:23]
	s_and_saveexec_b32 s16, s38
	s_cbranch_execz .LBB565_33
; %bb.29:                               ;   in Loop: Header=BB565_7 Depth=1
	v_mul_f64_e32 v[2:3], s[12:13], v[34:35]
	v_mul_f64_e32 v[4:5], s[10:11], v[34:35]
	v_lshl_add_u64 v[28:29], v[18:19], 4, v[22:23]
	s_and_not1_b32 vcc_lo, exec_lo, s36
	s_mov_b32 s17, -1
	s_delay_alu instid0(VALU_DEP_3) | instskip(NEXT) | instid1(VALU_DEP_3)
	v_fma_f64 v[2:3], s[10:11], v[32:33], -v[2:3]
	v_fmac_f64_e32 v[4:5], s[12:13], v[32:33]
	s_cbranch_vccnz .LBB565_31
; %bb.30:                               ;   in Loop: Header=BB565_7 Depth=1
	flat_load_b128 v[30:33], v[28:29]
	s_mov_b32 s17, 0
	s_wait_loadcnt_dscnt 0x0
	v_mul_f64_e32 v[34:35], s[28:29], v[32:33]
	v_mul_f64_e32 v[32:33], s[26:27], v[32:33]
	s_delay_alu instid0(VALU_DEP_2) | instskip(NEXT) | instid1(VALU_DEP_2)
	v_fma_f64 v[34:35], s[26:27], v[30:31], -v[34:35]
	v_fmac_f64_e32 v[32:33], s[28:29], v[30:31]
	s_delay_alu instid0(VALU_DEP_2) | instskip(NEXT) | instid1(VALU_DEP_2)
	v_add_f64_e32 v[30:31], v[2:3], v[34:35]
	v_add_f64_e32 v[32:33], v[4:5], v[32:33]
	flat_store_b128 v[28:29], v[30:33]
.LBB565_31:                             ;   in Loop: Header=BB565_7 Depth=1
	s_and_not1_b32 vcc_lo, exec_lo, s17
	s_cbranch_vccnz .LBB565_33
; %bb.32:                               ;   in Loop: Header=BB565_7 Depth=1
	flat_store_b128 v[28:29], v[2:5]
.LBB565_33:                             ;   in Loop: Header=BB565_7 Depth=1
	s_wait_xcnt 0x0
	s_or_b32 exec_lo, exec_lo, s16
	s_and_saveexec_b32 s16, s39
	s_cbranch_execz .LBB565_6
; %bb.34:                               ;   in Loop: Header=BB565_7 Depth=1
	s_delay_alu instid0(VALU_DEP_4) | instskip(SKIP_4) | instid1(VALU_DEP_3)
	v_mul_f64_e32 v[2:3], s[12:13], v[26:27]
	v_mul_f64_e32 v[4:5], s[10:11], v[26:27]
	v_lshl_add_u64 v[22:23], v[20:21], 4, v[22:23]
	s_and_not1_b32 vcc_lo, exec_lo, s36
	s_mov_b32 s17, -1
	v_fma_f64 v[2:3], s[10:11], v[24:25], -v[2:3]
	s_delay_alu instid0(VALU_DEP_3)
	v_fmac_f64_e32 v[4:5], s[12:13], v[24:25]
	s_cbranch_vccnz .LBB565_36
; %bb.35:                               ;   in Loop: Header=BB565_7 Depth=1
	flat_load_b128 v[24:27], v[22:23]
	s_mov_b32 s17, 0
	s_wait_loadcnt_dscnt 0x0
	v_mul_f64_e32 v[28:29], s[28:29], v[26:27]
	v_mul_f64_e32 v[26:27], s[26:27], v[26:27]
	s_delay_alu instid0(VALU_DEP_2) | instskip(NEXT) | instid1(VALU_DEP_2)
	v_fma_f64 v[28:29], s[26:27], v[24:25], -v[28:29]
	v_fmac_f64_e32 v[26:27], s[28:29], v[24:25]
	s_delay_alu instid0(VALU_DEP_2) | instskip(NEXT) | instid1(VALU_DEP_2)
	v_add_f64_e32 v[24:25], v[2:3], v[28:29]
	v_add_f64_e32 v[26:27], v[4:5], v[26:27]
	flat_store_b128 v[22:23], v[24:27]
.LBB565_36:                             ;   in Loop: Header=BB565_7 Depth=1
	s_and_not1_b32 vcc_lo, exec_lo, s17
	s_cbranch_vccnz .LBB565_6
; %bb.37:                               ;   in Loop: Header=BB565_7 Depth=1
	flat_store_b128 v[22:23], v[2:5]
	s_branch .LBB565_6
.LBB565_38:
.LBB565_39:
	s_sendmsg sendmsg(MSG_DEALLOC_VGPRS)
	s_endpgm
	.section	.rodata,"a",@progbits
	.p2align	6, 0x0
	.amdhsa_kernel _ZL29rocblas_internal_gemmt_kernelIlLi16ELi32ELi8ELc67ELc84ELc85ELb1ELb0E19rocblas_complex_numIdES1_PKPKS1_PKPS1_EviT_T9_T10_S9_lSB_S9_lSA_T11_S9_li
		.amdhsa_group_segment_fixed_size 8192
		.amdhsa_private_segment_fixed_size 0
		.amdhsa_kernarg_size 124
		.amdhsa_user_sgpr_count 2
		.amdhsa_user_sgpr_dispatch_ptr 0
		.amdhsa_user_sgpr_queue_ptr 0
		.amdhsa_user_sgpr_kernarg_segment_ptr 1
		.amdhsa_user_sgpr_dispatch_id 0
		.amdhsa_user_sgpr_kernarg_preload_length 0
		.amdhsa_user_sgpr_kernarg_preload_offset 0
		.amdhsa_user_sgpr_private_segment_size 0
		.amdhsa_wavefront_size32 1
		.amdhsa_uses_dynamic_stack 0
		.amdhsa_enable_private_segment 0
		.amdhsa_system_sgpr_workgroup_id_x 1
		.amdhsa_system_sgpr_workgroup_id_y 1
		.amdhsa_system_sgpr_workgroup_id_z 1
		.amdhsa_system_sgpr_workgroup_info 0
		.amdhsa_system_vgpr_workitem_id 1
		.amdhsa_next_free_vgpr 132
		.amdhsa_next_free_sgpr 43
		.amdhsa_named_barrier_count 0
		.amdhsa_reserve_vcc 1
		.amdhsa_float_round_mode_32 0
		.amdhsa_float_round_mode_16_64 0
		.amdhsa_float_denorm_mode_32 3
		.amdhsa_float_denorm_mode_16_64 3
		.amdhsa_fp16_overflow 0
		.amdhsa_memory_ordered 1
		.amdhsa_forward_progress 1
		.amdhsa_inst_pref_size 23
		.amdhsa_round_robin_scheduling 0
		.amdhsa_exception_fp_ieee_invalid_op 0
		.amdhsa_exception_fp_denorm_src 0
		.amdhsa_exception_fp_ieee_div_zero 0
		.amdhsa_exception_fp_ieee_overflow 0
		.amdhsa_exception_fp_ieee_underflow 0
		.amdhsa_exception_fp_ieee_inexact 0
		.amdhsa_exception_int_div_zero 0
	.end_amdhsa_kernel
	.section	.text._ZL29rocblas_internal_gemmt_kernelIlLi16ELi32ELi8ELc67ELc84ELc85ELb1ELb0E19rocblas_complex_numIdES1_PKPKS1_PKPS1_EviT_T9_T10_S9_lSB_S9_lSA_T11_S9_li,"axG",@progbits,_ZL29rocblas_internal_gemmt_kernelIlLi16ELi32ELi8ELc67ELc84ELc85ELb1ELb0E19rocblas_complex_numIdES1_PKPKS1_PKPS1_EviT_T9_T10_S9_lSB_S9_lSA_T11_S9_li,comdat
.Lfunc_end565:
	.size	_ZL29rocblas_internal_gemmt_kernelIlLi16ELi32ELi8ELc67ELc84ELc85ELb1ELb0E19rocblas_complex_numIdES1_PKPKS1_PKPS1_EviT_T9_T10_S9_lSB_S9_lSA_T11_S9_li, .Lfunc_end565-_ZL29rocblas_internal_gemmt_kernelIlLi16ELi32ELi8ELc67ELc84ELc85ELb1ELb0E19rocblas_complex_numIdES1_PKPKS1_PKPS1_EviT_T9_T10_S9_lSB_S9_lSA_T11_S9_li
                                        ; -- End function
	.set _ZL29rocblas_internal_gemmt_kernelIlLi16ELi32ELi8ELc67ELc84ELc85ELb1ELb0E19rocblas_complex_numIdES1_PKPKS1_PKPS1_EviT_T9_T10_S9_lSB_S9_lSA_T11_S9_li.num_vgpr, 132
	.set _ZL29rocblas_internal_gemmt_kernelIlLi16ELi32ELi8ELc67ELc84ELc85ELb1ELb0E19rocblas_complex_numIdES1_PKPKS1_PKPS1_EviT_T9_T10_S9_lSB_S9_lSA_T11_S9_li.num_agpr, 0
	.set _ZL29rocblas_internal_gemmt_kernelIlLi16ELi32ELi8ELc67ELc84ELc85ELb1ELb0E19rocblas_complex_numIdES1_PKPKS1_PKPS1_EviT_T9_T10_S9_lSB_S9_lSA_T11_S9_li.numbered_sgpr, 43
	.set _ZL29rocblas_internal_gemmt_kernelIlLi16ELi32ELi8ELc67ELc84ELc85ELb1ELb0E19rocblas_complex_numIdES1_PKPKS1_PKPS1_EviT_T9_T10_S9_lSB_S9_lSA_T11_S9_li.num_named_barrier, 0
	.set _ZL29rocblas_internal_gemmt_kernelIlLi16ELi32ELi8ELc67ELc84ELc85ELb1ELb0E19rocblas_complex_numIdES1_PKPKS1_PKPS1_EviT_T9_T10_S9_lSB_S9_lSA_T11_S9_li.private_seg_size, 0
	.set _ZL29rocblas_internal_gemmt_kernelIlLi16ELi32ELi8ELc67ELc84ELc85ELb1ELb0E19rocblas_complex_numIdES1_PKPKS1_PKPS1_EviT_T9_T10_S9_lSB_S9_lSA_T11_S9_li.uses_vcc, 1
	.set _ZL29rocblas_internal_gemmt_kernelIlLi16ELi32ELi8ELc67ELc84ELc85ELb1ELb0E19rocblas_complex_numIdES1_PKPKS1_PKPS1_EviT_T9_T10_S9_lSB_S9_lSA_T11_S9_li.uses_flat_scratch, 0
	.set _ZL29rocblas_internal_gemmt_kernelIlLi16ELi32ELi8ELc67ELc84ELc85ELb1ELb0E19rocblas_complex_numIdES1_PKPKS1_PKPS1_EviT_T9_T10_S9_lSB_S9_lSA_T11_S9_li.has_dyn_sized_stack, 0
	.set _ZL29rocblas_internal_gemmt_kernelIlLi16ELi32ELi8ELc67ELc84ELc85ELb1ELb0E19rocblas_complex_numIdES1_PKPKS1_PKPS1_EviT_T9_T10_S9_lSB_S9_lSA_T11_S9_li.has_recursion, 0
	.set _ZL29rocblas_internal_gemmt_kernelIlLi16ELi32ELi8ELc67ELc84ELc85ELb1ELb0E19rocblas_complex_numIdES1_PKPKS1_PKPS1_EviT_T9_T10_S9_lSB_S9_lSA_T11_S9_li.has_indirect_call, 0
	.section	.AMDGPU.csdata,"",@progbits
; Kernel info:
; codeLenInByte = 2928
; TotalNumSgprs: 45
; NumVgprs: 132
; ScratchSize: 0
; MemoryBound: 1
; FloatMode: 240
; IeeeMode: 1
; LDSByteSize: 8192 bytes/workgroup (compile time only)
; SGPRBlocks: 0
; VGPRBlocks: 8
; NumSGPRsForWavesPerEU: 45
; NumVGPRsForWavesPerEU: 132
; NamedBarCnt: 0
; Occupancy: 7
; WaveLimiterHint : 1
; COMPUTE_PGM_RSRC2:SCRATCH_EN: 0
; COMPUTE_PGM_RSRC2:USER_SGPR: 2
; COMPUTE_PGM_RSRC2:TRAP_HANDLER: 0
; COMPUTE_PGM_RSRC2:TGID_X_EN: 1
; COMPUTE_PGM_RSRC2:TGID_Y_EN: 1
; COMPUTE_PGM_RSRC2:TGID_Z_EN: 1
; COMPUTE_PGM_RSRC2:TIDIG_COMP_CNT: 1
	.section	.text._ZL29rocblas_internal_gemmt_kernelIlLi16ELi32ELi8ELc67ELc67ELc85ELb1ELb1E19rocblas_complex_numIdES1_PKPKS1_PKPS1_EviT_T9_T10_S9_lSB_S9_lSA_T11_S9_li,"axG",@progbits,_ZL29rocblas_internal_gemmt_kernelIlLi16ELi32ELi8ELc67ELc67ELc85ELb1ELb1E19rocblas_complex_numIdES1_PKPKS1_PKPS1_EviT_T9_T10_S9_lSB_S9_lSA_T11_S9_li,comdat
	.globl	_ZL29rocblas_internal_gemmt_kernelIlLi16ELi32ELi8ELc67ELc67ELc85ELb1ELb1E19rocblas_complex_numIdES1_PKPKS1_PKPS1_EviT_T9_T10_S9_lSB_S9_lSA_T11_S9_li ; -- Begin function _ZL29rocblas_internal_gemmt_kernelIlLi16ELi32ELi8ELc67ELc67ELc85ELb1ELb1E19rocblas_complex_numIdES1_PKPKS1_PKPS1_EviT_T9_T10_S9_lSB_S9_lSA_T11_S9_li
	.p2align	8
	.type	_ZL29rocblas_internal_gemmt_kernelIlLi16ELi32ELi8ELc67ELc67ELc85ELb1ELb1E19rocblas_complex_numIdES1_PKPKS1_PKPS1_EviT_T9_T10_S9_lSB_S9_lSA_T11_S9_li,@function
_ZL29rocblas_internal_gemmt_kernelIlLi16ELi32ELi8ELc67ELc67ELc85ELb1ELb1E19rocblas_complex_numIdES1_PKPKS1_PKPS1_EviT_T9_T10_S9_lSB_S9_lSA_T11_S9_li: ; @_ZL29rocblas_internal_gemmt_kernelIlLi16ELi32ELi8ELc67ELc67ELc85ELb1ELb1E19rocblas_complex_numIdES1_PKPKS1_PKPS1_EviT_T9_T10_S9_lSB_S9_lSA_T11_S9_li
; %bb.0:
	s_clause 0x1
	s_load_b256 s[24:31], s[0:1], 0x48
	s_load_b512 s[8:23], s[0:1], 0x8
	s_wait_kmcnt 0x0
	v_cmp_eq_f64_e64 s2, s[26:27], 1.0
	v_cmp_eq_f64_e64 s3, s[28:29], 0
	s_and_b32 s2, s2, s3
	s_delay_alu instid0(SALU_CYCLE_1)
	s_and_not1_b32 vcc_lo, exec_lo, s2
	s_mov_b32 s2, -1
	s_cbranch_vccnz .LBB566_3
; %bb.1:
	s_cmp_lg_u64 s[8:9], 0
	s_cbranch_scc0 .LBB566_36
; %bb.2:
	v_cmp_neq_f64_e64 s2, s[10:11], 0
	v_cmp_neq_f64_e64 s4, s[12:13], 0
	s_or_b32 s2, s2, s4
.LBB566_3:
	s_delay_alu instid0(SALU_CYCLE_1)
	s_and_b32 vcc_lo, exec_lo, s2
	s_cbranch_vccz .LBB566_37
; %bb.4:
	s_load_b32 s33, s[0:1], 0x78
	s_bfe_u32 s2, ttmp6, 0x40014
	s_lshr_b32 s4, ttmp7, 16
	s_add_co_i32 s2, s2, 1
	s_bfe_u32 s6, ttmp6, 0x40008
	s_mul_i32 s5, s4, s2
	s_getreg_b32 s2, hwreg(HW_REG_IB_STS2, 6, 4)
	s_add_co_i32 s6, s6, s5
	s_cmp_eq_u32 s2, 0
	s_mov_b32 s35, 0
	s_cselect_b32 s34, s4, s6
	s_wait_kmcnt 0x0
	s_cmp_ge_u32 s34, s33
	s_cbranch_scc1 .LBB566_37
; %bb.5:
	s_clause 0x1
	s_load_b128 s[4:7], s[0:1], 0x68
	s_load_b32 s38, s[0:1], 0x0
	s_wait_xcnt 0x0
	s_bfe_u32 s1, ttmp6, 0x4000c
	s_bfe_u32 s40, ttmp6, 0x40010
	s_and_b32 s39, ttmp7, 0xffff
	s_add_co_i32 s1, s1, 1
	s_add_co_i32 s40, s40, 1
	v_and_b32_e32 v6, 0x3ff, v0
	v_bfe_u32 v7, v0, 10, 10
	s_and_b32 s0, ttmp6, 15
	s_bfe_u32 s41, ttmp6, 0x40004
	s_mul_i32 s1, ttmp9, s1
	s_mul_i32 s40, s39, s40
	s_add_co_i32 s0, s0, s1
	s_add_co_i32 s41, s41, s40
	s_cmp_eq_u32 s2, 0
	v_lshl_add_u32 v1, v7, 4, v6
	s_cselect_b32 s1, s39, s41
	s_cselect_b32 s0, ttmp9, s0
	s_lshl_b32 s1, s1, 5
	s_delay_alu instid0(VALU_DEP_1) | instskip(SKIP_4) | instid1(VALU_DEP_3)
	v_dual_lshrrev_b32 v11, 3, v1 :: v_dual_bitop2_b32 v8, 7, v0 bitop3:0x40
	v_dual_add_nc_u32 v0, s1, v7 :: v_dual_bitop2_b32 v9, 31, v1 bitop3:0x40
	s_lshl_b32 s2, s0, 5
	v_cmp_neq_f64_e64 s36, s[10:11], 0
	v_cmp_neq_f64_e64 s37, s[12:13], 0
	v_dual_add_nc_u32 v4, 16, v0 :: v_dual_bitop2_b32 v2, s2, v9 bitop3:0x54
	v_cmp_neq_f64_e64 s40, s[26:27], 0
	v_dual_lshrrev_b32 v10, 5, v1 :: v_dual_add_nc_u32 v12, s1, v11
	s_delay_alu instid0(VALU_DEP_3) | instskip(NEXT) | instid1(VALU_DEP_4)
	v_dual_ashrrev_i32 v3, 31, v2 :: v_dual_ashrrev_i32 v1, 31, v0
	v_dual_ashrrev_i32 v5, 31, v4 :: v_dual_lshlrev_b32 v9, 4, v9
	v_dual_lshlrev_b32 v13, 4, v8 :: v_dual_add_nc_u32 v20, s2, v6
	s_delay_alu instid0(VALU_DEP_3)
	v_mul_u64_e32 v[14:15], s[16:17], v[2:3]
	s_wait_kmcnt 0x0
	v_mul_u64_e32 v[16:17], s[4:5], v[0:1]
	v_mul_u64_e32 v[18:19], s[4:5], v[4:5]
	v_cmp_gt_i32_e32 vcc_lo, s38, v0
	v_cmp_le_i32_e64 s2, v20, v0
	v_dual_add_nc_u32 v22, 16, v20 :: v_dual_ashrrev_i32 v21, 31, v20
	v_lshl_or_b32 v1, v11, 7, v13
	v_cmp_gt_i64_e64 s42, s[8:9], 0
	s_xor_b32 s3, s3, -1
	v_cmp_le_i32_e64 s4, v20, v4
	v_cmp_le_i32_e64 s5, v22, v4
	v_cmp_gt_i32_e64 s0, s38, v2
	v_lshl_or_b32 v9, v10, 9, v9
	v_cmp_gt_i32_e64 s1, s38, v12
	v_add_nc_u32_e32 v11, 0x1000, v1
	v_dual_ashrrev_i32 v13, 31, v12 :: v_dual_lshlrev_b32 v48, 4, v6
	v_lshl_add_u32 v49, v7, 7, 0x1000
	v_dual_ashrrev_i32 v23, 31, v22 :: v_dual_mov_b32 v25, 0
	s_or_b32 s41, s36, s37
	s_and_b32 s37, vcc_lo, s2
	s_or_b32 s36, s40, s3
	v_cmp_le_i32_e64 s2, v22, v0
	v_cmp_gt_i32_e64 s3, s38, v4
	s_and_b32 s41, s41, s42
	s_lshl_b64 s[6:7], s[6:7], 4
	s_and_b32 s38, vcc_lo, s2
	s_and_b32 s39, s3, s4
	s_and_b32 s40, s3, s5
	s_lshl_b64 s[2:3], s[24:25], 4
	s_lshl_b64 s[4:5], s[18:19], 4
	s_branch .LBB566_7
.LBB566_6:                              ;   in Loop: Header=BB566_7 Depth=1
	s_wait_xcnt 0x0
	s_or_b32 exec_lo, exec_lo, s16
	s_add_co_i32 s34, s34, 0x10000
	s_delay_alu instid0(SALU_CYCLE_1)
	s_cmp_lt_u32 s34, s33
	s_cbranch_scc0 .LBB566_37
.LBB566_7:                              ; =>This Loop Header: Depth=1
                                        ;     Child Loop BB566_10 Depth 2
	v_mov_b32_e32 v0, s34
	v_mov_b64_e32 v[44:45], 0
	v_mov_b64_e32 v[46:47], 0
	;; [unrolled: 1-line block ×4, first 2 shown]
	global_load_b64 v[26:27], v0, s[30:31] scale_offset
	v_mov_b64_e32 v[36:37], 0
	v_mov_b64_e32 v[38:39], 0
	;; [unrolled: 1-line block ×4, first 2 shown]
	s_and_not1_b32 vcc_lo, exec_lo, s41
	s_cbranch_vccnz .LBB566_16
; %bb.8:                                ;   in Loop: Header=BB566_7 Depth=1
	s_lshl_b64 s[16:17], s[34:35], 3
	v_mov_b64_e32 v[30:31], 0
	s_add_nc_u64 s[18:19], s[14:15], s[16:17]
	s_add_nc_u64 s[16:17], s[20:21], s[16:17]
	s_clause 0x1
	global_load_b64 v[0:1], v25, s[18:19]
	global_load_b64 v[2:3], v25, s[16:17]
	v_mov_b64_e32 v[28:29], 0
	v_mov_b64_e32 v[38:39], 0
	;; [unrolled: 1-line block ×7, first 2 shown]
	s_wait_xcnt 0x0
	s_mov_b64 s[16:17], 0
	s_wait_loadcnt 0x1
	v_add_nc_u64_e32 v[0:1], s[4:5], v[0:1]
	s_wait_loadcnt 0x0
	v_add_nc_u64_e32 v[2:3], s[2:3], v[2:3]
	s_delay_alu instid0(VALU_DEP_2) | instskip(NEXT) | instid1(VALU_DEP_2)
	v_lshl_add_u64 v[32:33], v[14:15], 4, v[0:1]
	v_lshl_add_u64 v[34:35], v[12:13], 4, v[2:3]
	s_branch .LBB566_10
.LBB566_9:                              ;   in Loop: Header=BB566_10 Depth=2
	s_wait_xcnt 0x0
	s_or_b32 exec_lo, exec_lo, s18
	ds_store_b128 v11, v[4:7]
	s_wait_dscnt 0x0
	s_barrier_signal -1
	s_barrier_wait -1
	ds_load_b128 v[0:3], v49
	ds_load_b128 v[4:7], v48
	ds_load_b128 v[50:53], v48 offset:256
	ds_load_b128 v[54:57], v49 offset:2048
	;; [unrolled: 1-line block ×10, first 2 shown]
	s_add_nc_u64 s[16:17], s[16:17], 8
	s_delay_alu instid0(SALU_CYCLE_1)
	v_cmp_gt_i64_e64 s18, s[8:9], s[16:17]
	s_and_b32 vcc_lo, exec_lo, s18
	s_wait_dscnt 0xa
	v_mul_f64_e32 v[90:91], v[2:3], v[6:7]
	v_mul_f64_e32 v[92:93], v[0:1], v[6:7]
	s_wait_dscnt 0x9
	v_mul_f64_e32 v[94:95], v[2:3], v[52:53]
	v_mul_f64_e32 v[96:97], v[0:1], v[52:53]
	s_wait_dscnt 0x8
	v_mul_f64_e32 v[98:99], v[56:57], v[6:7]
	v_mul_f64_e32 v[100:101], v[54:55], v[6:7]
	v_mul_f64_e32 v[6:7], v[56:57], v[52:53]
	v_mul_f64_e32 v[102:103], v[54:55], v[52:53]
	s_wait_dscnt 0x6
	v_mul_f64_e32 v[104:105], v[60:61], v[64:65]
	v_mul_f64_e32 v[106:107], v[58:59], v[64:65]
	s_wait_dscnt 0x5
	v_mul_f64_e32 v[108:109], v[60:61], v[68:69]
	v_mul_f64_e32 v[110:111], v[58:59], v[68:69]
	s_wait_dscnt 0x4
	v_mul_f64_e32 v[112:113], v[72:73], v[64:65]
	v_mul_f64_e32 v[64:65], v[70:71], v[64:65]
	v_mul_f64_e32 v[114:115], v[72:73], v[68:69]
	v_mul_f64_e32 v[68:69], v[70:71], v[68:69]
	;; [unrolled: 11-line block ×3, first 2 shown]
	v_fma_f64 v[90:91], v[0:1], v[4:5], -v[90:91]
	v_fmac_f64_e32 v[92:93], v[2:3], v[4:5]
	v_fma_f64 v[94:95], v[0:1], v[50:51], -v[94:95]
	v_fmac_f64_e32 v[96:97], v[2:3], v[50:51]
	v_fma_f64 v[98:99], v[54:55], v[4:5], -v[98:99]
	v_fmac_f64_e32 v[100:101], v[56:57], v[4:5]
	v_fma_f64 v[116:117], v[54:55], v[50:51], -v[6:7]
	v_fmac_f64_e32 v[102:103], v[56:57], v[50:51]
	v_fma_f64 v[104:105], v[58:59], v[62:63], -v[104:105]
	v_fmac_f64_e32 v[106:107], v[60:61], v[62:63]
	v_fma_f64 v[58:59], v[58:59], v[66:67], -v[108:109]
	v_fmac_f64_e32 v[110:111], v[60:61], v[66:67]
	v_fma_f64 v[60:61], v[70:71], v[62:63], -v[112:113]
	v_fmac_f64_e32 v[64:65], v[72:73], v[62:63]
	v_fma_f64 v[62:63], v[70:71], v[66:67], -v[114:115]
	v_fmac_f64_e32 v[68:69], v[72:73], v[66:67]
	ds_load_b128 v[0:3], v49 offset:48
	ds_load_b128 v[4:7], v49 offset:2096
	;; [unrolled: 1-line block ×4, first 2 shown]
	v_fma_f64 v[118:119], v[74:75], v[78:79], -v[118:119]
	v_fmac_f64_e32 v[120:121], v[76:77], v[78:79]
	v_fma_f64 v[74:75], v[74:75], v[82:83], -v[122:123]
	v_fmac_f64_e32 v[124:125], v[76:77], v[82:83]
	;; [unrolled: 2-line block ×4, first 2 shown]
	v_add_f64_e32 v[66:67], v[44:45], v[90:91]
	v_add_f64_e32 v[70:71], v[92:93], v[46:47]
	;; [unrolled: 1-line block ×8, first 2 shown]
	s_wait_dscnt 0x1
	v_mul_f64_e32 v[100:101], v[2:3], v[52:53]
	v_mul_f64_e32 v[102:103], v[0:1], v[52:53]
	s_wait_dscnt 0x0
	v_mul_f64_e32 v[108:109], v[2:3], v[56:57]
	v_mul_f64_e32 v[112:113], v[0:1], v[56:57]
	v_mul_f64_e32 v[114:115], v[6:7], v[52:53]
	v_mul_f64_e32 v[116:117], v[4:5], v[52:53]
	v_mul_f64_e32 v[52:53], v[6:7], v[56:57]
	v_mul_f64_e32 v[130:131], v[4:5], v[56:57]
	ds_load_b128 v[28:31], v49 offset:64
	ds_load_b128 v[36:39], v48 offset:2048
	;; [unrolled: 1-line block ×4, first 2 shown]
	v_add_f64_e32 v[82:83], v[66:67], v[104:105]
	v_add_f64_e32 v[86:87], v[106:107], v[70:71]
	;; [unrolled: 1-line block ×8, first 2 shown]
	s_wait_dscnt 0x2
	v_mul_f64_e32 v[98:99], v[30:31], v[38:39]
	v_mul_f64_e32 v[104:105], v[28:29], v[38:39]
	s_wait_dscnt 0x1
	v_mul_f64_e32 v[106:107], v[30:31], v[42:43]
	v_mul_f64_e32 v[110:111], v[28:29], v[42:43]
	;; [unrolled: 3-line block ×3, first 2 shown]
	v_mul_f64_e32 v[38:39], v[46:47], v[42:43]
	v_mul_f64_e32 v[128:129], v[44:45], v[42:43]
	v_fma_f64 v[42:43], v[0:1], v[50:51], -v[100:101]
	v_fmac_f64_e32 v[102:103], v[2:3], v[50:51]
	v_fma_f64 v[100:101], v[0:1], v[54:55], -v[108:109]
	v_fmac_f64_e32 v[112:113], v[2:3], v[54:55]
	;; [unrolled: 2-line block ×4, first 2 shown]
	ds_load_b128 v[56:59], v49 offset:80
	ds_load_b128 v[60:63], v49 offset:2128
	;; [unrolled: 1-line block ×4, first 2 shown]
	v_add_f64_e32 v[54:55], v[82:83], v[118:119]
	v_add_f64_e32 v[82:83], v[120:121], v[86:87]
	;; [unrolled: 1-line block ×8, first 2 shown]
	v_fma_f64 v[98:99], v[28:29], v[36:37], -v[98:99]
	v_fmac_f64_e32 v[104:105], v[30:31], v[36:37]
	v_fma_f64 v[106:107], v[28:29], v[40:41], -v[106:107]
	s_wait_dscnt 0x1
	v_mul_f64_e32 v[90:91], v[58:59], v[66:67]
	v_mul_f64_e32 v[92:93], v[56:57], v[66:67]
	s_wait_dscnt 0x0
	v_mul_f64_e32 v[94:95], v[58:59], v[70:71]
	v_mul_f64_e32 v[96:97], v[56:57], v[70:71]
	;; [unrolled: 1-line block ×6, first 2 shown]
	v_fmac_f64_e32 v[110:111], v[30:31], v[40:41]
	v_fma_f64 v[122:123], v[44:45], v[36:37], -v[122:123]
	v_fmac_f64_e32 v[126:127], v[46:47], v[36:37]
	v_fma_f64 v[124:125], v[44:45], v[40:41], -v[38:39]
	v_fmac_f64_e32 v[128:129], v[46:47], v[40:41]
	ds_load_b128 v[0:3], v49 offset:96
	ds_load_b128 v[4:7], v48 offset:3072
	;; [unrolled: 1-line block ×4, first 2 shown]
	v_add_f64_e32 v[54:55], v[54:55], v[42:43]
	v_add_f64_e32 v[82:83], v[102:103], v[82:83]
	;; [unrolled: 1-line block ×8, first 2 shown]
	ds_load_b128 v[28:31], v49 offset:112
	ds_load_b128 v[36:39], v49 offset:2160
	;; [unrolled: 1-line block ×4, first 2 shown]
	s_wait_dscnt 0x0
	v_mul_f64_e32 v[100:101], v[2:3], v[6:7]
	v_mul_f64_e32 v[102:103], v[0:1], v[6:7]
	v_mul_f64_e32 v[108:109], v[2:3], v[52:53]
	v_mul_f64_e32 v[112:113], v[0:1], v[52:53]
	v_mul_f64_e32 v[114:115], v[74:75], v[6:7]
	v_mul_f64_e32 v[6:7], v[72:73], v[6:7]
	v_mul_f64_e32 v[116:117], v[74:75], v[52:53]
	v_mul_f64_e32 v[52:53], v[72:73], v[52:53]
	v_fma_f64 v[90:91], v[56:57], v[64:65], -v[90:91]
	v_fmac_f64_e32 v[92:93], v[58:59], v[64:65]
	v_fma_f64 v[56:57], v[56:57], v[68:69], -v[94:95]
	v_fmac_f64_e32 v[96:97], v[58:59], v[68:69]
	;; [unrolled: 2-line block ×4, first 2 shown]
	s_barrier_signal -1
	s_barrier_wait -1
	v_mul_f64_e32 v[94:95], v[28:29], v[46:47]
	v_add_f64_e32 v[54:55], v[54:55], v[98:99]
	v_add_f64_e32 v[62:63], v[104:105], v[82:83]
	;; [unrolled: 1-line block ×8, first 2 shown]
	v_mul_f64_e32 v[84:85], v[30:31], v[42:43]
	v_mul_f64_e32 v[86:87], v[28:29], v[42:43]
	v_mul_f64_e32 v[88:89], v[30:31], v[46:47]
	v_mul_f64_e32 v[98:99], v[38:39], v[42:43]
	v_mul_f64_e32 v[104:105], v[36:37], v[42:43]
	v_mul_f64_e32 v[42:43], v[38:39], v[46:47]
	v_mul_f64_e32 v[106:107], v[36:37], v[46:47]
	v_fma_f64 v[46:47], v[0:1], v[4:5], -v[100:101]
	v_fmac_f64_e32 v[102:103], v[2:3], v[4:5]
	v_fma_f64 v[0:1], v[0:1], v[50:51], -v[108:109]
	v_fmac_f64_e32 v[112:113], v[2:3], v[50:51]
	;; [unrolled: 2-line block ×4, first 2 shown]
	v_fmac_f64_e32 v[94:95], v[30:31], v[44:45]
	v_add_f64_e32 v[50:51], v[54:55], v[90:91]
	v_add_f64_e32 v[54:55], v[92:93], v[62:63]
	;; [unrolled: 1-line block ×8, first 2 shown]
	v_fma_f64 v[68:69], v[28:29], v[40:41], -v[84:85]
	v_fmac_f64_e32 v[86:87], v[30:31], v[40:41]
	v_fma_f64 v[28:29], v[28:29], v[44:45], -v[88:89]
	v_fma_f64 v[30:31], v[36:37], v[40:41], -v[98:99]
	v_fmac_f64_e32 v[104:105], v[38:39], v[40:41]
	v_fma_f64 v[70:71], v[36:37], v[44:45], -v[42:43]
	v_fmac_f64_e32 v[106:107], v[38:39], v[44:45]
	v_add_f64_e32 v[36:37], v[50:51], v[46:47]
	v_add_f64_e32 v[38:39], v[102:103], v[54:55]
	;; [unrolled: 1-line block ×16, first 2 shown]
	s_cbranch_vccz .LBB566_16
.LBB566_10:                             ;   Parent Loop BB566_7 Depth=1
                                        ; =>  This Inner Loop Header: Depth=2
	v_mov_b64_e32 v[0:1], 0
	v_mov_b64_e32 v[2:3], 0
	s_and_saveexec_b32 s18, s0
	s_cbranch_execz .LBB566_14
; %bb.11:                               ;   in Loop: Header=BB566_10 Depth=2
	v_mov_b64_e32 v[2:3], 0
	v_mov_b64_e32 v[0:1], 0
	v_add_nc_u32_e32 v24, s16, v10
	s_mov_b32 s19, exec_lo
	s_delay_alu instid0(VALU_DEP_1)
	v_cmpx_gt_u64_e64 s[8:9], v[24:25]
	s_cbranch_execz .LBB566_13
; %bb.12:                               ;   in Loop: Header=BB566_10 Depth=2
	v_lshl_add_u64 v[0:1], v[24:25], 4, v[32:33]
	flat_load_b128 v[0:3], v[0:1]
	s_wait_loadcnt_dscnt 0x0
	v_xor_b32_e32 v3, 0x80000000, v3
.LBB566_13:                             ;   in Loop: Header=BB566_10 Depth=2
	s_wait_xcnt 0x0
	s_or_b32 exec_lo, exec_lo, s19
.LBB566_14:                             ;   in Loop: Header=BB566_10 Depth=2
	s_delay_alu instid0(SALU_CYCLE_1)
	s_or_b32 exec_lo, exec_lo, s18
	v_add_nc_u32_e32 v24, s16, v8
	v_mov_b64_e32 v[4:5], 0
	v_mov_b64_e32 v[6:7], 0
	ds_store_b128 v9, v[0:3]
	v_cmp_gt_u64_e32 vcc_lo, s[8:9], v[24:25]
	s_and_b32 s19, vcc_lo, s1
	s_delay_alu instid0(SALU_CYCLE_1)
	s_and_saveexec_b32 s18, s19
	s_cbranch_execz .LBB566_9
; %bb.15:                               ;   in Loop: Header=BB566_10 Depth=2
	v_mul_u64_e32 v[0:1], s[22:23], v[24:25]
	s_delay_alu instid0(VALU_DEP_1)
	v_lshl_add_u64 v[0:1], v[0:1], 4, v[34:35]
	flat_load_b128 v[4:7], v[0:1]
	s_wait_loadcnt_dscnt 0x0
	v_xor_b32_e32 v7, 0x80000000, v7
	s_branch .LBB566_9
.LBB566_16:                             ;   in Loop: Header=BB566_7 Depth=1
	s_wait_loadcnt 0x0
	v_add_nc_u64_e32 v[4:5], s[6:7], v[26:27]
	s_delay_alu instid0(VALU_DEP_1)
	v_lshl_add_u64 v[6:7], v[16:17], 4, v[4:5]
	s_wait_xcnt 0x0
	s_and_saveexec_b32 s16, s37
	s_cbranch_execz .LBB566_21
; %bb.17:                               ;   in Loop: Header=BB566_7 Depth=1
	v_mul_f64_e32 v[0:1], s[12:13], v[46:47]
	v_mul_f64_e32 v[2:3], s[10:11], v[46:47]
	v_lshl_add_u64 v[26:27], v[20:21], 4, v[6:7]
	s_and_b32 vcc_lo, exec_lo, s36
	s_mov_b32 s17, -1
	s_delay_alu instid0(VALU_DEP_3) | instskip(NEXT) | instid1(VALU_DEP_3)
	v_fma_f64 v[0:1], s[10:11], v[44:45], -v[0:1]
	v_fmac_f64_e32 v[2:3], s[12:13], v[44:45]
	s_cbranch_vccz .LBB566_19
; %bb.18:                               ;   in Loop: Header=BB566_7 Depth=1
	flat_load_b128 v[32:35], v[26:27]
	s_mov_b32 s17, 0
	s_wait_loadcnt_dscnt 0x0
	v_mul_f64_e32 v[44:45], s[28:29], v[34:35]
	v_mul_f64_e32 v[34:35], s[26:27], v[34:35]
	s_delay_alu instid0(VALU_DEP_2) | instskip(NEXT) | instid1(VALU_DEP_2)
	v_fma_f64 v[44:45], s[26:27], v[32:33], -v[44:45]
	v_fmac_f64_e32 v[34:35], s[28:29], v[32:33]
	s_delay_alu instid0(VALU_DEP_2) | instskip(NEXT) | instid1(VALU_DEP_2)
	v_add_f64_e32 v[32:33], v[0:1], v[44:45]
	v_add_f64_e32 v[34:35], v[2:3], v[34:35]
	flat_store_b128 v[26:27], v[32:35]
.LBB566_19:                             ;   in Loop: Header=BB566_7 Depth=1
	s_and_not1_b32 vcc_lo, exec_lo, s17
	s_cbranch_vccnz .LBB566_21
; %bb.20:                               ;   in Loop: Header=BB566_7 Depth=1
	flat_store_b128 v[26:27], v[0:3]
.LBB566_21:                             ;   in Loop: Header=BB566_7 Depth=1
	s_wait_xcnt 0x0
	s_or_b32 exec_lo, exec_lo, s16
	s_and_saveexec_b32 s16, s38
	s_cbranch_execz .LBB566_26
; %bb.22:                               ;   in Loop: Header=BB566_7 Depth=1
	v_mul_f64_e32 v[0:1], s[12:13], v[42:43]
	v_mul_f64_e32 v[2:3], s[10:11], v[42:43]
	v_lshl_add_u64 v[6:7], v[22:23], 4, v[6:7]
	s_and_not1_b32 vcc_lo, exec_lo, s36
	s_mov_b32 s17, -1
	s_delay_alu instid0(VALU_DEP_3) | instskip(NEXT) | instid1(VALU_DEP_3)
	v_fma_f64 v[0:1], s[10:11], v[40:41], -v[0:1]
	v_fmac_f64_e32 v[2:3], s[12:13], v[40:41]
	s_cbranch_vccnz .LBB566_24
; %bb.23:                               ;   in Loop: Header=BB566_7 Depth=1
	flat_load_b128 v[32:35], v[6:7]
	s_mov_b32 s17, 0
	s_wait_loadcnt_dscnt 0x0
	v_mul_f64_e32 v[26:27], s[28:29], v[34:35]
	v_mul_f64_e32 v[34:35], s[26:27], v[34:35]
	s_delay_alu instid0(VALU_DEP_2) | instskip(NEXT) | instid1(VALU_DEP_2)
	v_fma_f64 v[26:27], s[26:27], v[32:33], -v[26:27]
	v_fmac_f64_e32 v[34:35], s[28:29], v[32:33]
	s_delay_alu instid0(VALU_DEP_2) | instskip(NEXT) | instid1(VALU_DEP_2)
	v_add_f64_e32 v[32:33], v[0:1], v[26:27]
	v_add_f64_e32 v[34:35], v[2:3], v[34:35]
	flat_store_b128 v[6:7], v[32:35]
.LBB566_24:                             ;   in Loop: Header=BB566_7 Depth=1
	s_and_not1_b32 vcc_lo, exec_lo, s17
	s_cbranch_vccnz .LBB566_26
; %bb.25:                               ;   in Loop: Header=BB566_7 Depth=1
	flat_store_b128 v[6:7], v[0:3]
.LBB566_26:                             ;   in Loop: Header=BB566_7 Depth=1
	s_wait_xcnt 0x0
	s_or_b32 exec_lo, exec_lo, s16
	v_lshl_add_u64 v[4:5], v[18:19], 4, v[4:5]
	s_and_saveexec_b32 s16, s39
	s_cbranch_execz .LBB566_31
; %bb.27:                               ;   in Loop: Header=BB566_7 Depth=1
	v_mul_f64_e32 v[0:1], s[12:13], v[38:39]
	v_mul_f64_e32 v[2:3], s[10:11], v[38:39]
	v_lshl_add_u64 v[6:7], v[20:21], 4, v[4:5]
	s_and_not1_b32 vcc_lo, exec_lo, s36
	s_mov_b32 s17, -1
	s_delay_alu instid0(VALU_DEP_3) | instskip(NEXT) | instid1(VALU_DEP_3)
	v_fma_f64 v[0:1], s[10:11], v[36:37], -v[0:1]
	v_fmac_f64_e32 v[2:3], s[12:13], v[36:37]
	s_cbranch_vccnz .LBB566_29
; %bb.28:                               ;   in Loop: Header=BB566_7 Depth=1
	flat_load_b128 v[32:35], v[6:7]
	s_mov_b32 s17, 0
	s_wait_loadcnt_dscnt 0x0
	v_mul_f64_e32 v[26:27], s[28:29], v[34:35]
	v_mul_f64_e32 v[34:35], s[26:27], v[34:35]
	s_delay_alu instid0(VALU_DEP_2) | instskip(NEXT) | instid1(VALU_DEP_2)
	v_fma_f64 v[26:27], s[26:27], v[32:33], -v[26:27]
	v_fmac_f64_e32 v[34:35], s[28:29], v[32:33]
	s_delay_alu instid0(VALU_DEP_2) | instskip(NEXT) | instid1(VALU_DEP_2)
	v_add_f64_e32 v[32:33], v[0:1], v[26:27]
	v_add_f64_e32 v[34:35], v[2:3], v[34:35]
	flat_store_b128 v[6:7], v[32:35]
.LBB566_29:                             ;   in Loop: Header=BB566_7 Depth=1
	s_and_not1_b32 vcc_lo, exec_lo, s17
	s_cbranch_vccnz .LBB566_31
; %bb.30:                               ;   in Loop: Header=BB566_7 Depth=1
	flat_store_b128 v[6:7], v[0:3]
.LBB566_31:                             ;   in Loop: Header=BB566_7 Depth=1
	s_wait_xcnt 0x0
	s_or_b32 exec_lo, exec_lo, s16
	s_and_saveexec_b32 s16, s40
	s_cbranch_execz .LBB566_6
; %bb.32:                               ;   in Loop: Header=BB566_7 Depth=1
	s_delay_alu instid0(VALU_DEP_4) | instskip(SKIP_4) | instid1(VALU_DEP_3)
	v_mul_f64_e32 v[0:1], s[12:13], v[30:31]
	v_mul_f64_e32 v[2:3], s[10:11], v[30:31]
	v_lshl_add_u64 v[4:5], v[22:23], 4, v[4:5]
	s_and_not1_b32 vcc_lo, exec_lo, s36
	s_mov_b32 s17, -1
	v_fma_f64 v[0:1], s[10:11], v[28:29], -v[0:1]
	s_delay_alu instid0(VALU_DEP_3)
	v_fmac_f64_e32 v[2:3], s[12:13], v[28:29]
	s_cbranch_vccnz .LBB566_34
; %bb.33:                               ;   in Loop: Header=BB566_7 Depth=1
	flat_load_b128 v[26:29], v[4:5]
	s_mov_b32 s17, 0
	s_wait_loadcnt_dscnt 0x0
	v_mul_f64_e32 v[6:7], s[28:29], v[28:29]
	v_mul_f64_e32 v[28:29], s[26:27], v[28:29]
	s_delay_alu instid0(VALU_DEP_2) | instskip(NEXT) | instid1(VALU_DEP_2)
	v_fma_f64 v[6:7], s[26:27], v[26:27], -v[6:7]
	v_fmac_f64_e32 v[28:29], s[28:29], v[26:27]
	s_delay_alu instid0(VALU_DEP_2) | instskip(NEXT) | instid1(VALU_DEP_2)
	v_add_f64_e32 v[26:27], v[0:1], v[6:7]
	v_add_f64_e32 v[28:29], v[2:3], v[28:29]
	flat_store_b128 v[4:5], v[26:29]
.LBB566_34:                             ;   in Loop: Header=BB566_7 Depth=1
	s_and_not1_b32 vcc_lo, exec_lo, s17
	s_cbranch_vccnz .LBB566_6
; %bb.35:                               ;   in Loop: Header=BB566_7 Depth=1
	flat_store_b128 v[4:5], v[0:3]
	s_branch .LBB566_6
.LBB566_36:
.LBB566_37:
	s_sendmsg sendmsg(MSG_DEALLOC_VGPRS)
	s_endpgm
	.section	.rodata,"a",@progbits
	.p2align	6, 0x0
	.amdhsa_kernel _ZL29rocblas_internal_gemmt_kernelIlLi16ELi32ELi8ELc67ELc67ELc85ELb1ELb1E19rocblas_complex_numIdES1_PKPKS1_PKPS1_EviT_T9_T10_S9_lSB_S9_lSA_T11_S9_li
		.amdhsa_group_segment_fixed_size 8192
		.amdhsa_private_segment_fixed_size 0
		.amdhsa_kernarg_size 124
		.amdhsa_user_sgpr_count 2
		.amdhsa_user_sgpr_dispatch_ptr 0
		.amdhsa_user_sgpr_queue_ptr 0
		.amdhsa_user_sgpr_kernarg_segment_ptr 1
		.amdhsa_user_sgpr_dispatch_id 0
		.amdhsa_user_sgpr_kernarg_preload_length 0
		.amdhsa_user_sgpr_kernarg_preload_offset 0
		.amdhsa_user_sgpr_private_segment_size 0
		.amdhsa_wavefront_size32 1
		.amdhsa_uses_dynamic_stack 0
		.amdhsa_enable_private_segment 0
		.amdhsa_system_sgpr_workgroup_id_x 1
		.amdhsa_system_sgpr_workgroup_id_y 1
		.amdhsa_system_sgpr_workgroup_id_z 1
		.amdhsa_system_sgpr_workgroup_info 0
		.amdhsa_system_vgpr_workitem_id 1
		.amdhsa_next_free_vgpr 132
		.amdhsa_next_free_sgpr 43
		.amdhsa_named_barrier_count 0
		.amdhsa_reserve_vcc 1
		.amdhsa_float_round_mode_32 0
		.amdhsa_float_round_mode_16_64 0
		.amdhsa_float_denorm_mode_32 3
		.amdhsa_float_denorm_mode_16_64 3
		.amdhsa_fp16_overflow 0
		.amdhsa_memory_ordered 1
		.amdhsa_forward_progress 1
		.amdhsa_inst_pref_size 23
		.amdhsa_round_robin_scheduling 0
		.amdhsa_exception_fp_ieee_invalid_op 0
		.amdhsa_exception_fp_denorm_src 0
		.amdhsa_exception_fp_ieee_div_zero 0
		.amdhsa_exception_fp_ieee_overflow 0
		.amdhsa_exception_fp_ieee_underflow 0
		.amdhsa_exception_fp_ieee_inexact 0
		.amdhsa_exception_int_div_zero 0
	.end_amdhsa_kernel
	.section	.text._ZL29rocblas_internal_gemmt_kernelIlLi16ELi32ELi8ELc67ELc67ELc85ELb1ELb1E19rocblas_complex_numIdES1_PKPKS1_PKPS1_EviT_T9_T10_S9_lSB_S9_lSA_T11_S9_li,"axG",@progbits,_ZL29rocblas_internal_gemmt_kernelIlLi16ELi32ELi8ELc67ELc67ELc85ELb1ELb1E19rocblas_complex_numIdES1_PKPKS1_PKPS1_EviT_T9_T10_S9_lSB_S9_lSA_T11_S9_li,comdat
.Lfunc_end566:
	.size	_ZL29rocblas_internal_gemmt_kernelIlLi16ELi32ELi8ELc67ELc67ELc85ELb1ELb1E19rocblas_complex_numIdES1_PKPKS1_PKPS1_EviT_T9_T10_S9_lSB_S9_lSA_T11_S9_li, .Lfunc_end566-_ZL29rocblas_internal_gemmt_kernelIlLi16ELi32ELi8ELc67ELc67ELc85ELb1ELb1E19rocblas_complex_numIdES1_PKPKS1_PKPS1_EviT_T9_T10_S9_lSB_S9_lSA_T11_S9_li
                                        ; -- End function
	.set _ZL29rocblas_internal_gemmt_kernelIlLi16ELi32ELi8ELc67ELc67ELc85ELb1ELb1E19rocblas_complex_numIdES1_PKPKS1_PKPS1_EviT_T9_T10_S9_lSB_S9_lSA_T11_S9_li.num_vgpr, 132
	.set _ZL29rocblas_internal_gemmt_kernelIlLi16ELi32ELi8ELc67ELc67ELc85ELb1ELb1E19rocblas_complex_numIdES1_PKPKS1_PKPS1_EviT_T9_T10_S9_lSB_S9_lSA_T11_S9_li.num_agpr, 0
	.set _ZL29rocblas_internal_gemmt_kernelIlLi16ELi32ELi8ELc67ELc67ELc85ELb1ELb1E19rocblas_complex_numIdES1_PKPKS1_PKPS1_EviT_T9_T10_S9_lSB_S9_lSA_T11_S9_li.numbered_sgpr, 43
	.set _ZL29rocblas_internal_gemmt_kernelIlLi16ELi32ELi8ELc67ELc67ELc85ELb1ELb1E19rocblas_complex_numIdES1_PKPKS1_PKPS1_EviT_T9_T10_S9_lSB_S9_lSA_T11_S9_li.num_named_barrier, 0
	.set _ZL29rocblas_internal_gemmt_kernelIlLi16ELi32ELi8ELc67ELc67ELc85ELb1ELb1E19rocblas_complex_numIdES1_PKPKS1_PKPS1_EviT_T9_T10_S9_lSB_S9_lSA_T11_S9_li.private_seg_size, 0
	.set _ZL29rocblas_internal_gemmt_kernelIlLi16ELi32ELi8ELc67ELc67ELc85ELb1ELb1E19rocblas_complex_numIdES1_PKPKS1_PKPS1_EviT_T9_T10_S9_lSB_S9_lSA_T11_S9_li.uses_vcc, 1
	.set _ZL29rocblas_internal_gemmt_kernelIlLi16ELi32ELi8ELc67ELc67ELc85ELb1ELb1E19rocblas_complex_numIdES1_PKPKS1_PKPS1_EviT_T9_T10_S9_lSB_S9_lSA_T11_S9_li.uses_flat_scratch, 0
	.set _ZL29rocblas_internal_gemmt_kernelIlLi16ELi32ELi8ELc67ELc67ELc85ELb1ELb1E19rocblas_complex_numIdES1_PKPKS1_PKPS1_EviT_T9_T10_S9_lSB_S9_lSA_T11_S9_li.has_dyn_sized_stack, 0
	.set _ZL29rocblas_internal_gemmt_kernelIlLi16ELi32ELi8ELc67ELc67ELc85ELb1ELb1E19rocblas_complex_numIdES1_PKPKS1_PKPS1_EviT_T9_T10_S9_lSB_S9_lSA_T11_S9_li.has_recursion, 0
	.set _ZL29rocblas_internal_gemmt_kernelIlLi16ELi32ELi8ELc67ELc67ELc85ELb1ELb1E19rocblas_complex_numIdES1_PKPKS1_PKPS1_EviT_T9_T10_S9_lSB_S9_lSA_T11_S9_li.has_indirect_call, 0
	.section	.AMDGPU.csdata,"",@progbits
; Kernel info:
; codeLenInByte = 2916
; TotalNumSgprs: 45
; NumVgprs: 132
; ScratchSize: 0
; MemoryBound: 1
; FloatMode: 240
; IeeeMode: 1
; LDSByteSize: 8192 bytes/workgroup (compile time only)
; SGPRBlocks: 0
; VGPRBlocks: 8
; NumSGPRsForWavesPerEU: 45
; NumVGPRsForWavesPerEU: 132
; NamedBarCnt: 0
; Occupancy: 7
; WaveLimiterHint : 1
; COMPUTE_PGM_RSRC2:SCRATCH_EN: 0
; COMPUTE_PGM_RSRC2:USER_SGPR: 2
; COMPUTE_PGM_RSRC2:TRAP_HANDLER: 0
; COMPUTE_PGM_RSRC2:TGID_X_EN: 1
; COMPUTE_PGM_RSRC2:TGID_Y_EN: 1
; COMPUTE_PGM_RSRC2:TGID_Z_EN: 1
; COMPUTE_PGM_RSRC2:TIDIG_COMP_CNT: 1
	.section	.text._ZL29rocblas_internal_gemmt_kernelIlLi16ELi32ELi8ELc78ELc78ELc76ELb0ELb0E19rocblas_complex_numIdES1_PKPKS1_PKPS1_EviT_T9_T10_S9_lSB_S9_lSA_T11_S9_li,"axG",@progbits,_ZL29rocblas_internal_gemmt_kernelIlLi16ELi32ELi8ELc78ELc78ELc76ELb0ELb0E19rocblas_complex_numIdES1_PKPKS1_PKPS1_EviT_T9_T10_S9_lSB_S9_lSA_T11_S9_li,comdat
	.globl	_ZL29rocblas_internal_gemmt_kernelIlLi16ELi32ELi8ELc78ELc78ELc76ELb0ELb0E19rocblas_complex_numIdES1_PKPKS1_PKPS1_EviT_T9_T10_S9_lSB_S9_lSA_T11_S9_li ; -- Begin function _ZL29rocblas_internal_gemmt_kernelIlLi16ELi32ELi8ELc78ELc78ELc76ELb0ELb0E19rocblas_complex_numIdES1_PKPKS1_PKPS1_EviT_T9_T10_S9_lSB_S9_lSA_T11_S9_li
	.p2align	8
	.type	_ZL29rocblas_internal_gemmt_kernelIlLi16ELi32ELi8ELc78ELc78ELc76ELb0ELb0E19rocblas_complex_numIdES1_PKPKS1_PKPS1_EviT_T9_T10_S9_lSB_S9_lSA_T11_S9_li,@function
_ZL29rocblas_internal_gemmt_kernelIlLi16ELi32ELi8ELc78ELc78ELc76ELb0ELb0E19rocblas_complex_numIdES1_PKPKS1_PKPS1_EviT_T9_T10_S9_lSB_S9_lSA_T11_S9_li: ; @_ZL29rocblas_internal_gemmt_kernelIlLi16ELi32ELi8ELc78ELc78ELc76ELb0ELb0E19rocblas_complex_numIdES1_PKPKS1_PKPS1_EviT_T9_T10_S9_lSB_S9_lSA_T11_S9_li
; %bb.0:
	s_clause 0x1
	s_load_b256 s[24:31], s[0:1], 0x48
	s_load_b512 s[8:23], s[0:1], 0x8
	s_wait_kmcnt 0x0
	v_cmp_eq_f64_e64 s3, s[26:27], 1.0
	v_cmp_eq_f64_e64 s2, s[28:29], 0
	s_and_b32 s3, s3, s2
	s_delay_alu instid0(SALU_CYCLE_1)
	s_and_not1_b32 vcc_lo, exec_lo, s3
	s_mov_b32 s3, -1
	s_cbranch_vccnz .LBB567_3
; %bb.1:
	s_cmp_lg_u64 s[8:9], 0
	s_cbranch_scc0 .LBB567_41
; %bb.2:
	v_cmp_neq_f64_e64 s3, s[10:11], 0
	v_cmp_neq_f64_e64 s4, s[12:13], 0
	s_or_b32 s3, s3, s4
.LBB567_3:
	s_delay_alu instid0(SALU_CYCLE_1)
	s_and_b32 vcc_lo, exec_lo, s3
	s_cbranch_vccz .LBB567_42
; %bb.4:
	s_load_b32 s33, s[0:1], 0x78
	s_bfe_u32 s3, ttmp6, 0x40014
	s_lshr_b32 s4, ttmp7, 16
	s_add_co_i32 s3, s3, 1
	s_bfe_u32 s6, ttmp6, 0x40008
	s_mul_i32 s5, s4, s3
	s_getreg_b32 s3, hwreg(HW_REG_IB_STS2, 6, 4)
	s_add_co_i32 s6, s6, s5
	s_cmp_eq_u32 s3, 0
	s_mov_b32 s35, 0
	s_cselect_b32 s34, s4, s6
	s_wait_kmcnt 0x0
	s_cmp_ge_u32 s34, s33
	s_cbranch_scc1 .LBB567_42
; %bb.5:
	s_clause 0x1
	s_load_b128 s[4:7], s[0:1], 0x68
	s_load_b32 s38, s[0:1], 0x0
	s_wait_xcnt 0x0
	s_bfe_u32 s1, ttmp6, 0x4000c
	s_bfe_u32 s40, ttmp6, 0x40010
	s_and_b32 s39, ttmp7, 0xffff
	s_add_co_i32 s1, s1, 1
	s_add_co_i32 s40, s40, 1
	v_and_b32_e32 v19, 0x3ff, v0
	v_bfe_u32 v21, v0, 10, 10
	s_and_b32 s0, ttmp6, 15
	s_bfe_u32 s41, ttmp6, 0x40004
	s_mul_i32 s1, ttmp9, s1
	s_mul_i32 s40, s39, s40
	s_add_co_i32 s0, s0, s1
	s_add_co_i32 s41, s41, s40
	s_cmp_eq_u32 s3, 0
	v_lshl_add_u32 v1, v21, 4, v19
	s_cselect_b32 s1, s39, s41
	s_cselect_b32 s0, ttmp9, s0
	s_lshl_b32 s1, s1, 5
	s_delay_alu instid0(VALU_DEP_1) | instskip(SKIP_4) | instid1(VALU_DEP_3)
	v_dual_lshrrev_b32 v9, 3, v1 :: v_dual_bitop2_b32 v6, 7, v0 bitop3:0x40
	v_dual_lshrrev_b32 v10, 5, v1 :: v_dual_bitop2_b32 v7, 31, v1 bitop3:0x40
	s_lshl_b32 s39, s0, 5
	v_add_nc_u32_e32 v0, s1, v21
	v_cmp_neq_f64_e64 s3, s[26:27], 0
	v_dual_add_nc_u32 v2, s1, v9 :: v_dual_bitop2_b32 v8, s39, v7 bitop3:0x54
	v_cmp_neq_f64_e64 s36, s[10:11], 0
	s_delay_alu instid0(VALU_DEP_4) | instskip(SKIP_1) | instid1(VALU_DEP_4)
	v_add_nc_u32_e32 v4, 16, v0
	v_cmp_neq_f64_e64 s37, s[12:13], 0
	v_dual_ashrrev_i32 v1, 31, v0 :: v_dual_ashrrev_i32 v3, 31, v2
	s_delay_alu instid0(VALU_DEP_3) | instskip(SKIP_1) | instid1(VALU_DEP_3)
	v_dual_lshlrev_b32 v11, 4, v6 :: v_dual_ashrrev_i32 v5, 31, v4
	v_dual_add_nc_u32 v18, s39, v19 :: v_dual_lshlrev_b32 v44, 4, v19
	v_mul_u64_e32 v[12:13], s[22:23], v[2:3]
	s_wait_kmcnt 0x0
	v_mul_u64_e32 v[14:15], s[4:5], v[0:1]
	v_mul_u64_e32 v[16:17], s[4:5], v[4:5]
	s_xor_b32 s4, s2, -1
	v_dual_add_nc_u32 v20, 16, v18 :: v_dual_ashrrev_i32 v19, 31, v18
	v_cmp_le_i32_e64 s1, v0, v18
	v_cmp_gt_i32_e64 s2, s38, v18
	v_lshlrev_b32_e32 v7, 4, v7
	v_lshl_or_b32 v1, v9, 7, v11
	v_cmp_gt_i64_e64 s42, s[8:9], 0
	v_cmp_gt_i32_e32 vcc_lo, s38, v2
	s_and_b32 s23, s1, s2
	v_cmp_le_i32_e64 s1, v4, v18
	v_cmp_le_i32_e64 s5, v4, v20
	v_cmp_gt_i32_e64 s0, s38, v8
	v_ashrrev_i32_e32 v9, 31, v8
	v_lshl_or_b32 v7, v10, 9, v7
	v_add_nc_u32_e32 v11, 0x1000, v1
	v_lshl_add_u32 v45, v21, 7, 0x1000
	s_or_b32 s22, s3, s4
	v_cmp_le_i32_e64 s3, v0, v20
	v_cmp_gt_i32_e64 s4, s38, v20
	v_dual_ashrrev_i32 v21, 31, v20 :: v_dual_mov_b32 v1, 0
	s_or_b32 s40, s36, s37
	v_cmp_le_i32_e64 s36, s38, v8
	s_and_b32 s37, s3, s4
	s_and_b32 s1, s1, s2
	;; [unrolled: 1-line block ×4, first 2 shown]
	s_lshl_b64 s[2:3], s[24:25], 4
	s_lshl_b64 s[4:5], s[18:19], 4
	s_xor_b32 s24, vcc_lo, -1
	s_lshl_b64 s[6:7], s[6:7], 4
                                        ; implicit-def: $vgpr22_vgpr23
	s_branch .LBB567_7
.LBB567_6:                              ;   in Loop: Header=BB567_7 Depth=1
	s_wait_xcnt 0x0
	s_or_b32 exec_lo, exec_lo, s18
	s_add_co_i32 s34, s34, 0x10000
	s_delay_alu instid0(SALU_CYCLE_1)
	s_cmp_lt_u32 s34, s33
	s_cbranch_scc0 .LBB567_42
.LBB567_7:                              ; =>This Loop Header: Depth=1
                                        ;     Child Loop BB567_10 Depth 2
	v_mov_b32_e32 v0, s34
	v_mov_b64_e32 v[40:41], 0
	s_and_not1_b32 vcc_lo, exec_lo, s39
	global_load_b64 v[4:5], v0, s[30:31] scale_offset
	s_cbranch_vccnz .LBB567_20
; %bb.8:                                ;   in Loop: Header=BB567_7 Depth=1
	s_lshl_b64 s[18:19], s[34:35], 3
	v_mov_b64_e32 v[24:25], 0
	s_add_nc_u64 s[40:41], s[14:15], s[18:19]
	s_add_nc_u64 s[18:19], s[20:21], s[18:19]
	s_clause 0x1
	global_load_b64 v[2:3], v1, s[40:41]
	global_load_b64 v[28:29], v1, s[18:19]
	v_mov_b64_e32 v[26:27], 0
	v_mov_b64_e32 v[34:35], 0
	;; [unrolled: 1-line block ×7, first 2 shown]
	s_wait_xcnt 0x0
	s_mov_b64 s[18:19], 0
	s_wait_loadcnt 0x1
	v_add_nc_u64_e32 v[2:3], s[4:5], v[2:3]
	s_wait_loadcnt 0x0
	v_add_nc_u64_e32 v[30:31], s[2:3], v[28:29]
	s_delay_alu instid0(VALU_DEP_2) | instskip(NEXT) | instid1(VALU_DEP_2)
	v_lshl_add_u64 v[28:29], v[8:9], 4, v[2:3]
	v_lshl_add_u64 v[30:31], v[12:13], 4, v[30:31]
	s_branch .LBB567_10
.LBB567_9:                              ;   in Loop: Header=BB567_10 Depth=2
	s_wait_xcnt 0x0
	s_or_b32 exec_lo, exec_lo, s25
	s_wait_dscnt 0x0
	s_barrier_signal -1
	s_barrier_wait -1
	ds_load_b128 v[46:49], v45
	ds_load_b128 v[50:53], v44
	ds_load_b128 v[54:57], v44 offset:256
	ds_load_b128 v[58:61], v45 offset:2048
	;; [unrolled: 1-line block ×10, first 2 shown]
	s_add_nc_u64 s[18:19], s[18:19], 8
	s_delay_alu instid0(SALU_CYCLE_1)
	v_cmp_gt_i64_e64 s25, s[8:9], s[18:19]
	s_and_b32 vcc_lo, exec_lo, s25
	s_wait_dscnt 0xa
	v_mul_f64_e32 v[2:3], v[48:49], v[52:53]
	v_mul_f64_e32 v[94:95], v[46:47], v[52:53]
	s_wait_dscnt 0x9
	v_mul_f64_e32 v[96:97], v[48:49], v[56:57]
	v_mul_f64_e32 v[98:99], v[46:47], v[56:57]
	s_wait_dscnt 0x8
	v_mul_f64_e32 v[100:101], v[60:61], v[52:53]
	v_mul_f64_e32 v[102:103], v[58:59], v[52:53]
	v_mul_f64_e32 v[52:53], v[60:61], v[56:57]
	v_mul_f64_e32 v[104:105], v[58:59], v[56:57]
	s_wait_dscnt 0x6
	v_mul_f64_e32 v[106:107], v[64:65], v[68:69]
	v_mul_f64_e32 v[108:109], v[62:63], v[68:69]
	s_wait_dscnt 0x5
	v_mul_f64_e32 v[110:111], v[64:65], v[72:73]
	v_mul_f64_e32 v[112:113], v[62:63], v[72:73]
	s_wait_dscnt 0x4
	v_mul_f64_e32 v[114:115], v[76:77], v[68:69]
	v_mul_f64_e32 v[68:69], v[74:75], v[68:69]
	v_mul_f64_e32 v[116:117], v[76:77], v[72:73]
	v_mul_f64_e32 v[72:73], v[74:75], v[72:73]
	;; [unrolled: 11-line block ×3, first 2 shown]
	v_fma_f64 v[2:3], v[46:47], v[50:51], -v[2:3]
	v_fmac_f64_e32 v[94:95], v[48:49], v[50:51]
	v_fma_f64 v[96:97], v[46:47], v[54:55], -v[96:97]
	v_fmac_f64_e32 v[98:99], v[48:49], v[54:55]
	;; [unrolled: 2-line block ×8, first 2 shown]
	ds_load_b128 v[46:49], v45 offset:48
	ds_load_b128 v[50:53], v45 offset:2096
	;; [unrolled: 1-line block ×4, first 2 shown]
	v_fma_f64 v[120:121], v[78:79], v[82:83], -v[120:121]
	v_fmac_f64_e32 v[122:123], v[80:81], v[82:83]
	v_fma_f64 v[78:79], v[78:79], v[86:87], -v[124:125]
	v_fmac_f64_e32 v[126:127], v[80:81], v[86:87]
	;; [unrolled: 2-line block ×4, first 2 shown]
	v_add_f64_e32 v[2:3], v[40:41], v[2:3]
	v_add_f64_e32 v[70:71], v[94:95], v[42:43]
	;; [unrolled: 1-line block ×8, first 2 shown]
	s_wait_dscnt 0x1
	v_mul_f64_e32 v[102:103], v[48:49], v[56:57]
	v_mul_f64_e32 v[104:105], v[46:47], v[56:57]
	s_wait_dscnt 0x0
	v_mul_f64_e32 v[110:111], v[48:49], v[60:61]
	v_mul_f64_e32 v[114:115], v[46:47], v[60:61]
	;; [unrolled: 1-line block ×6, first 2 shown]
	ds_load_b128 v[24:27], v45 offset:64
	ds_load_b128 v[32:35], v44 offset:2048
	;; [unrolled: 1-line block ×4, first 2 shown]
	v_add_f64_e32 v[2:3], v[2:3], v[106:107]
	v_add_f64_e32 v[86:87], v[108:109], v[70:71]
	;; [unrolled: 1-line block ×8, first 2 shown]
	s_wait_dscnt 0x2
	v_mul_f64_e32 v[100:101], v[26:27], v[34:35]
	v_mul_f64_e32 v[106:107], v[24:25], v[34:35]
	s_wait_dscnt 0x1
	v_mul_f64_e32 v[108:109], v[26:27], v[38:39]
	v_mul_f64_e32 v[112:113], v[24:25], v[38:39]
	;; [unrolled: 3-line block ×3, first 2 shown]
	v_mul_f64_e32 v[34:35], v[42:43], v[38:39]
	v_mul_f64_e32 v[130:131], v[40:41], v[38:39]
	v_fma_f64 v[38:39], v[46:47], v[54:55], -v[102:103]
	v_fmac_f64_e32 v[104:105], v[48:49], v[54:55]
	v_fma_f64 v[102:103], v[46:47], v[58:59], -v[110:111]
	v_fmac_f64_e32 v[114:115], v[48:49], v[58:59]
	v_fma_f64 v[110:111], v[50:51], v[54:55], -v[116:117]
	v_fmac_f64_e32 v[118:119], v[52:53], v[54:55]
	v_fma_f64 v[116:117], v[50:51], v[58:59], -v[56:57]
	v_fmac_f64_e32 v[132:133], v[52:53], v[58:59]
	ds_load_b128 v[60:63], v45 offset:80
	ds_load_b128 v[64:67], v45 offset:2128
	;; [unrolled: 1-line block ×4, first 2 shown]
	v_add_f64_e32 v[2:3], v[2:3], v[120:121]
	v_add_f64_e32 v[58:59], v[122:123], v[86:87]
	;; [unrolled: 1-line block ×8, first 2 shown]
	v_fma_f64 v[100:101], v[24:25], v[32:33], -v[100:101]
	v_fmac_f64_e32 v[106:107], v[26:27], v[32:33]
	v_fma_f64 v[108:109], v[24:25], v[36:37], -v[108:109]
	s_wait_dscnt 0x1
	v_mul_f64_e32 v[92:93], v[62:63], v[70:71]
	v_mul_f64_e32 v[94:95], v[60:61], v[70:71]
	s_wait_dscnt 0x0
	v_mul_f64_e32 v[96:97], v[62:63], v[74:75]
	v_mul_f64_e32 v[98:99], v[60:61], v[74:75]
	;; [unrolled: 1-line block ×6, first 2 shown]
	v_fmac_f64_e32 v[112:113], v[26:27], v[36:37]
	v_fma_f64 v[124:125], v[40:41], v[32:33], -v[124:125]
	v_fmac_f64_e32 v[128:129], v[42:43], v[32:33]
	v_fma_f64 v[126:127], v[40:41], v[36:37], -v[34:35]
	v_fmac_f64_e32 v[130:131], v[42:43], v[36:37]
	ds_load_b128 v[46:49], v45 offset:96
	ds_load_b128 v[50:53], v44 offset:3072
	;; [unrolled: 1-line block ×4, first 2 shown]
	v_add_f64_e32 v[2:3], v[2:3], v[38:39]
	v_add_f64_e32 v[58:59], v[104:105], v[58:59]
	;; [unrolled: 1-line block ×8, first 2 shown]
	ds_load_b128 v[24:27], v45 offset:112
	ds_load_b128 v[32:35], v45 offset:2160
	;; [unrolled: 1-line block ×4, first 2 shown]
	s_wait_dscnt 0x0
	v_mul_f64_e32 v[102:103], v[48:49], v[52:53]
	v_mul_f64_e32 v[104:105], v[46:47], v[52:53]
	;; [unrolled: 1-line block ×8, first 2 shown]
	v_fma_f64 v[92:93], v[60:61], v[68:69], -v[92:93]
	v_fmac_f64_e32 v[94:95], v[62:63], v[68:69]
	v_fma_f64 v[60:61], v[60:61], v[72:73], -v[96:97]
	v_fmac_f64_e32 v[98:99], v[62:63], v[72:73]
	;; [unrolled: 2-line block ×4, first 2 shown]
	s_barrier_signal -1
	s_barrier_wait -1
	v_mul_f64_e32 v[96:97], v[24:25], v[42:43]
	v_add_f64_e32 v[2:3], v[2:3], v[100:101]
	v_add_f64_e32 v[58:59], v[106:107], v[58:59]
	;; [unrolled: 1-line block ×8, first 2 shown]
	v_mul_f64_e32 v[86:87], v[26:27], v[38:39]
	v_mul_f64_e32 v[88:89], v[24:25], v[38:39]
	;; [unrolled: 1-line block ×7, first 2 shown]
	v_fma_f64 v[42:43], v[46:47], v[50:51], -v[102:103]
	v_fmac_f64_e32 v[104:105], v[48:49], v[50:51]
	v_fma_f64 v[46:47], v[46:47], v[54:55], -v[110:111]
	v_fmac_f64_e32 v[114:115], v[48:49], v[54:55]
	;; [unrolled: 2-line block ×4, first 2 shown]
	v_fmac_f64_e32 v[96:97], v[26:27], v[40:41]
	v_add_f64_e32 v[2:3], v[2:3], v[92:93]
	v_add_f64_e32 v[54:55], v[94:95], v[58:59]
	;; [unrolled: 1-line block ×8, first 2 shown]
	v_fma_f64 v[70:71], v[24:25], v[36:37], -v[86:87]
	v_fmac_f64_e32 v[88:89], v[26:27], v[36:37]
	v_fma_f64 v[24:25], v[24:25], v[40:41], -v[90:91]
	v_fma_f64 v[26:27], v[32:33], v[36:37], -v[100:101]
	v_fmac_f64_e32 v[106:107], v[34:35], v[36:37]
	v_fma_f64 v[72:73], v[32:33], v[40:41], -v[38:39]
	v_fmac_f64_e32 v[108:109], v[34:35], v[40:41]
	v_add_f64_e32 v[2:3], v[2:3], v[42:43]
	v_add_f64_e32 v[32:33], v[104:105], v[54:55]
	;; [unrolled: 1-line block ×16, first 2 shown]
	s_cbranch_vccz .LBB567_21
.LBB567_10:                             ;   Parent Loop BB567_7 Depth=1
                                        ; =>  This Inner Loop Header: Depth=2
	s_mov_b32 s25, 0
	s_mov_b32 s41, s36
	s_and_saveexec_b32 s40, s0
	s_cbranch_execnz .LBB567_18
; %bb.11:                               ;   in Loop: Header=BB567_10 Depth=2
	s_or_b32 exec_lo, exec_lo, s40
	s_and_saveexec_b32 s40, s41
	s_delay_alu instid0(SALU_CYCLE_1)
	s_xor_b32 s40, exec_lo, s40
	s_cbranch_execnz .LBB567_19
.LBB567_12:                             ;   in Loop: Header=BB567_10 Depth=2
	s_or_b32 exec_lo, exec_lo, s40
	s_and_saveexec_b32 s40, s25
	s_cbranch_execz .LBB567_14
.LBB567_13:                             ;   in Loop: Header=BB567_10 Depth=2
	v_mul_u64_e32 v[2:3], s[16:17], v[22:23]
	s_delay_alu instid0(VALU_DEP_1)
	v_lshl_add_u64 v[2:3], v[2:3], 4, v[28:29]
	flat_load_b128 v[46:49], v[2:3]
	s_wait_loadcnt_dscnt 0x0
	ds_store_2addr_b64 v7, v[46:47], v[48:49] offset1:1
.LBB567_14:                             ;   in Loop: Header=BB567_10 Depth=2
	s_wait_xcnt 0x0
	s_or_b32 exec_lo, exec_lo, s40
	v_add_nc_u32_e32 v0, s18, v6
	s_delay_alu instid0(VALU_DEP_1) | instskip(SKIP_1) | instid1(SALU_CYCLE_1)
	v_cmp_le_u64_e32 vcc_lo, s[8:9], v[0:1]
	s_or_b32 s25, vcc_lo, s24
	s_and_saveexec_b32 s40, s25
	s_delay_alu instid0(SALU_CYCLE_1)
	s_xor_b32 s25, exec_lo, s40
; %bb.15:                               ;   in Loop: Header=BB567_10 Depth=2
	v_dual_mov_b32 v0, v1 :: v_dual_mov_b32 v2, v1
	v_mov_b32_e32 v3, v1
	ds_store_b128 v11, v[0:3]
; %bb.16:                               ;   in Loop: Header=BB567_10 Depth=2
	s_and_not1_saveexec_b32 s25, s25
	s_cbranch_execz .LBB567_9
; %bb.17:                               ;   in Loop: Header=BB567_10 Depth=2
	v_lshl_add_u64 v[2:3], v[0:1], 4, v[30:31]
	flat_load_b128 v[46:49], v[2:3]
	s_wait_loadcnt_dscnt 0x0
	ds_store_2addr_b64 v11, v[46:47], v[48:49] offset1:1
	s_branch .LBB567_9
.LBB567_18:                             ;   in Loop: Header=BB567_10 Depth=2
	v_add_nc_u32_e32 v0, s18, v10
	s_and_not1_b32 s41, s36, exec_lo
	s_mov_b32 s25, exec_lo
	s_delay_alu instid0(VALU_DEP_1) | instskip(SKIP_2) | instid1(SALU_CYCLE_1)
	v_cmp_le_u64_e32 vcc_lo, s[8:9], v[0:1]
	v_mov_b64_e32 v[22:23], v[0:1]
	s_and_b32 s42, vcc_lo, exec_lo
	s_or_b32 s41, s41, s42
	s_or_b32 exec_lo, exec_lo, s40
	s_and_saveexec_b32 s40, s41
	s_delay_alu instid0(SALU_CYCLE_1)
	s_xor_b32 s40, exec_lo, s40
	s_cbranch_execz .LBB567_12
.LBB567_19:                             ;   in Loop: Header=BB567_10 Depth=2
	v_dual_mov_b32 v0, v1 :: v_dual_mov_b32 v2, v1
	v_mov_b32_e32 v3, v1
	s_and_not1_b32 s25, s25, exec_lo
	ds_store_b128 v7, v[0:3]
	s_or_b32 exec_lo, exec_lo, s40
	s_and_saveexec_b32 s40, s25
	s_cbranch_execnz .LBB567_13
	s_branch .LBB567_14
.LBB567_20:                             ;   in Loop: Header=BB567_7 Depth=1
	v_mov_b64_e32 v[42:43], 0
	v_mov_b64_e32 v[36:37], 0
	;; [unrolled: 1-line block ×7, first 2 shown]
.LBB567_21:                             ;   in Loop: Header=BB567_7 Depth=1
	s_wait_loadcnt 0x0
	v_add_nc_u64_e32 v[28:29], s[6:7], v[4:5]
	s_delay_alu instid0(VALU_DEP_1)
	v_lshl_add_u64 v[30:31], v[14:15], 4, v[28:29]
	s_wait_xcnt 0x0
	s_and_saveexec_b32 s18, s23
	s_cbranch_execz .LBB567_26
; %bb.22:                               ;   in Loop: Header=BB567_7 Depth=1
	v_mul_f64_e32 v[2:3], s[12:13], v[42:43]
	v_mul_f64_e32 v[4:5], s[10:11], v[42:43]
	s_and_b32 vcc_lo, exec_lo, s22
	s_mov_b32 s19, -1
	s_delay_alu instid0(VALU_DEP_2) | instskip(NEXT) | instid1(VALU_DEP_2)
	v_fma_f64 v[2:3], s[10:11], v[40:41], -v[2:3]
	v_fmac_f64_e32 v[4:5], s[12:13], v[40:41]
	v_lshl_add_u64 v[40:41], v[18:19], 4, v[30:31]
	s_cbranch_vccz .LBB567_24
; %bb.23:                               ;   in Loop: Header=BB567_7 Depth=1
	flat_load_b128 v[46:49], v[40:41]
	s_mov_b32 s19, 0
	s_wait_loadcnt_dscnt 0x0
	v_mul_f64_e32 v[42:43], s[28:29], v[48:49]
	v_mul_f64_e32 v[48:49], s[26:27], v[48:49]
	s_delay_alu instid0(VALU_DEP_2) | instskip(NEXT) | instid1(VALU_DEP_2)
	v_fma_f64 v[42:43], s[26:27], v[46:47], -v[42:43]
	v_fmac_f64_e32 v[48:49], s[28:29], v[46:47]
	s_delay_alu instid0(VALU_DEP_2) | instskip(NEXT) | instid1(VALU_DEP_2)
	v_add_f64_e32 v[46:47], v[2:3], v[42:43]
	v_add_f64_e32 v[48:49], v[4:5], v[48:49]
	flat_store_b128 v[40:41], v[46:49]
.LBB567_24:                             ;   in Loop: Header=BB567_7 Depth=1
	s_and_not1_b32 vcc_lo, exec_lo, s19
	s_cbranch_vccnz .LBB567_26
; %bb.25:                               ;   in Loop: Header=BB567_7 Depth=1
	flat_store_b128 v[40:41], v[2:5]
.LBB567_26:                             ;   in Loop: Header=BB567_7 Depth=1
	s_wait_xcnt 0x0
	s_or_b32 exec_lo, exec_lo, s18
	s_and_saveexec_b32 s18, s37
	s_cbranch_execz .LBB567_31
; %bb.27:                               ;   in Loop: Header=BB567_7 Depth=1
	v_mul_f64_e32 v[2:3], s[12:13], v[38:39]
	v_mul_f64_e32 v[4:5], s[10:11], v[38:39]
	v_lshl_add_u64 v[30:31], v[20:21], 4, v[30:31]
	s_and_not1_b32 vcc_lo, exec_lo, s22
	s_mov_b32 s19, -1
	s_delay_alu instid0(VALU_DEP_3) | instskip(NEXT) | instid1(VALU_DEP_3)
	v_fma_f64 v[2:3], s[10:11], v[36:37], -v[2:3]
	v_fmac_f64_e32 v[4:5], s[12:13], v[36:37]
	s_cbranch_vccnz .LBB567_29
; %bb.28:                               ;   in Loop: Header=BB567_7 Depth=1
	flat_load_b128 v[36:39], v[30:31]
	s_mov_b32 s19, 0
	s_wait_loadcnt_dscnt 0x0
	v_mul_f64_e32 v[40:41], s[28:29], v[38:39]
	v_mul_f64_e32 v[38:39], s[26:27], v[38:39]
	s_delay_alu instid0(VALU_DEP_2) | instskip(NEXT) | instid1(VALU_DEP_2)
	v_fma_f64 v[40:41], s[26:27], v[36:37], -v[40:41]
	v_fmac_f64_e32 v[38:39], s[28:29], v[36:37]
	s_delay_alu instid0(VALU_DEP_2) | instskip(NEXT) | instid1(VALU_DEP_2)
	v_add_f64_e32 v[36:37], v[2:3], v[40:41]
	v_add_f64_e32 v[38:39], v[4:5], v[38:39]
	flat_store_b128 v[30:31], v[36:39]
.LBB567_29:                             ;   in Loop: Header=BB567_7 Depth=1
	s_and_not1_b32 vcc_lo, exec_lo, s19
	s_cbranch_vccnz .LBB567_31
; %bb.30:                               ;   in Loop: Header=BB567_7 Depth=1
	flat_store_b128 v[30:31], v[2:5]
.LBB567_31:                             ;   in Loop: Header=BB567_7 Depth=1
	s_wait_xcnt 0x0
	s_or_b32 exec_lo, exec_lo, s18
	v_lshl_add_u64 v[28:29], v[16:17], 4, v[28:29]
	s_and_saveexec_b32 s18, s1
	s_cbranch_execz .LBB567_36
; %bb.32:                               ;   in Loop: Header=BB567_7 Depth=1
	v_mul_f64_e32 v[2:3], s[12:13], v[34:35]
	v_mul_f64_e32 v[4:5], s[10:11], v[34:35]
	v_lshl_add_u64 v[30:31], v[18:19], 4, v[28:29]
	s_and_not1_b32 vcc_lo, exec_lo, s22
	s_mov_b32 s19, -1
	s_delay_alu instid0(VALU_DEP_3) | instskip(NEXT) | instid1(VALU_DEP_3)
	v_fma_f64 v[2:3], s[10:11], v[32:33], -v[2:3]
	v_fmac_f64_e32 v[4:5], s[12:13], v[32:33]
	s_cbranch_vccnz .LBB567_34
; %bb.33:                               ;   in Loop: Header=BB567_7 Depth=1
	flat_load_b128 v[32:35], v[30:31]
	s_mov_b32 s19, 0
	s_wait_loadcnt_dscnt 0x0
	v_mul_f64_e32 v[36:37], s[28:29], v[34:35]
	v_mul_f64_e32 v[34:35], s[26:27], v[34:35]
	s_delay_alu instid0(VALU_DEP_2) | instskip(NEXT) | instid1(VALU_DEP_2)
	v_fma_f64 v[36:37], s[26:27], v[32:33], -v[36:37]
	v_fmac_f64_e32 v[34:35], s[28:29], v[32:33]
	s_delay_alu instid0(VALU_DEP_2) | instskip(NEXT) | instid1(VALU_DEP_2)
	v_add_f64_e32 v[32:33], v[2:3], v[36:37]
	v_add_f64_e32 v[34:35], v[4:5], v[34:35]
	flat_store_b128 v[30:31], v[32:35]
.LBB567_34:                             ;   in Loop: Header=BB567_7 Depth=1
	s_and_not1_b32 vcc_lo, exec_lo, s19
	s_cbranch_vccnz .LBB567_36
; %bb.35:                               ;   in Loop: Header=BB567_7 Depth=1
	flat_store_b128 v[30:31], v[2:5]
.LBB567_36:                             ;   in Loop: Header=BB567_7 Depth=1
	s_wait_xcnt 0x0
	s_or_b32 exec_lo, exec_lo, s18
	s_and_saveexec_b32 s18, s38
	s_cbranch_execz .LBB567_6
; %bb.37:                               ;   in Loop: Header=BB567_7 Depth=1
	s_delay_alu instid0(VALU_DEP_4) | instskip(SKIP_4) | instid1(VALU_DEP_3)
	v_mul_f64_e32 v[2:3], s[12:13], v[24:25]
	v_mul_f64_e32 v[4:5], s[10:11], v[24:25]
	v_lshl_add_u64 v[24:25], v[20:21], 4, v[28:29]
	s_and_not1_b32 vcc_lo, exec_lo, s22
	s_mov_b32 s19, -1
	v_fma_f64 v[2:3], s[10:11], v[26:27], -v[2:3]
	s_delay_alu instid0(VALU_DEP_3)
	v_fmac_f64_e32 v[4:5], s[12:13], v[26:27]
	s_cbranch_vccnz .LBB567_39
; %bb.38:                               ;   in Loop: Header=BB567_7 Depth=1
	flat_load_b128 v[26:29], v[24:25]
	s_mov_b32 s19, 0
	s_wait_loadcnt_dscnt 0x0
	v_mul_f64_e32 v[30:31], s[28:29], v[28:29]
	v_mul_f64_e32 v[28:29], s[26:27], v[28:29]
	s_delay_alu instid0(VALU_DEP_2) | instskip(NEXT) | instid1(VALU_DEP_2)
	v_fma_f64 v[30:31], s[26:27], v[26:27], -v[30:31]
	v_fmac_f64_e32 v[28:29], s[28:29], v[26:27]
	s_delay_alu instid0(VALU_DEP_2) | instskip(NEXT) | instid1(VALU_DEP_2)
	v_add_f64_e32 v[26:27], v[2:3], v[30:31]
	v_add_f64_e32 v[28:29], v[4:5], v[28:29]
	flat_store_b128 v[24:25], v[26:29]
.LBB567_39:                             ;   in Loop: Header=BB567_7 Depth=1
	s_and_not1_b32 vcc_lo, exec_lo, s19
	s_cbranch_vccnz .LBB567_6
; %bb.40:                               ;   in Loop: Header=BB567_7 Depth=1
	flat_store_b128 v[24:25], v[2:5]
	s_branch .LBB567_6
.LBB567_41:
.LBB567_42:
	s_sendmsg sendmsg(MSG_DEALLOC_VGPRS)
	s_endpgm
	.section	.rodata,"a",@progbits
	.p2align	6, 0x0
	.amdhsa_kernel _ZL29rocblas_internal_gemmt_kernelIlLi16ELi32ELi8ELc78ELc78ELc76ELb0ELb0E19rocblas_complex_numIdES1_PKPKS1_PKPS1_EviT_T9_T10_S9_lSB_S9_lSA_T11_S9_li
		.amdhsa_group_segment_fixed_size 8192
		.amdhsa_private_segment_fixed_size 0
		.amdhsa_kernarg_size 124
		.amdhsa_user_sgpr_count 2
		.amdhsa_user_sgpr_dispatch_ptr 0
		.amdhsa_user_sgpr_queue_ptr 0
		.amdhsa_user_sgpr_kernarg_segment_ptr 1
		.amdhsa_user_sgpr_dispatch_id 0
		.amdhsa_user_sgpr_kernarg_preload_length 0
		.amdhsa_user_sgpr_kernarg_preload_offset 0
		.amdhsa_user_sgpr_private_segment_size 0
		.amdhsa_wavefront_size32 1
		.amdhsa_uses_dynamic_stack 0
		.amdhsa_enable_private_segment 0
		.amdhsa_system_sgpr_workgroup_id_x 1
		.amdhsa_system_sgpr_workgroup_id_y 1
		.amdhsa_system_sgpr_workgroup_id_z 1
		.amdhsa_system_sgpr_workgroup_info 0
		.amdhsa_system_vgpr_workitem_id 1
		.amdhsa_next_free_vgpr 134
		.amdhsa_next_free_sgpr 43
		.amdhsa_named_barrier_count 0
		.amdhsa_reserve_vcc 1
		.amdhsa_float_round_mode_32 0
		.amdhsa_float_round_mode_16_64 0
		.amdhsa_float_denorm_mode_32 3
		.amdhsa_float_denorm_mode_16_64 3
		.amdhsa_fp16_overflow 0
		.amdhsa_memory_ordered 1
		.amdhsa_forward_progress 1
		.amdhsa_inst_pref_size 24
		.amdhsa_round_robin_scheduling 0
		.amdhsa_exception_fp_ieee_invalid_op 0
		.amdhsa_exception_fp_denorm_src 0
		.amdhsa_exception_fp_ieee_div_zero 0
		.amdhsa_exception_fp_ieee_overflow 0
		.amdhsa_exception_fp_ieee_underflow 0
		.amdhsa_exception_fp_ieee_inexact 0
		.amdhsa_exception_int_div_zero 0
	.end_amdhsa_kernel
	.section	.text._ZL29rocblas_internal_gemmt_kernelIlLi16ELi32ELi8ELc78ELc78ELc76ELb0ELb0E19rocblas_complex_numIdES1_PKPKS1_PKPS1_EviT_T9_T10_S9_lSB_S9_lSA_T11_S9_li,"axG",@progbits,_ZL29rocblas_internal_gemmt_kernelIlLi16ELi32ELi8ELc78ELc78ELc76ELb0ELb0E19rocblas_complex_numIdES1_PKPKS1_PKPS1_EviT_T9_T10_S9_lSB_S9_lSA_T11_S9_li,comdat
.Lfunc_end567:
	.size	_ZL29rocblas_internal_gemmt_kernelIlLi16ELi32ELi8ELc78ELc78ELc76ELb0ELb0E19rocblas_complex_numIdES1_PKPKS1_PKPS1_EviT_T9_T10_S9_lSB_S9_lSA_T11_S9_li, .Lfunc_end567-_ZL29rocblas_internal_gemmt_kernelIlLi16ELi32ELi8ELc78ELc78ELc76ELb0ELb0E19rocblas_complex_numIdES1_PKPKS1_PKPS1_EviT_T9_T10_S9_lSB_S9_lSA_T11_S9_li
                                        ; -- End function
	.set _ZL29rocblas_internal_gemmt_kernelIlLi16ELi32ELi8ELc78ELc78ELc76ELb0ELb0E19rocblas_complex_numIdES1_PKPKS1_PKPS1_EviT_T9_T10_S9_lSB_S9_lSA_T11_S9_li.num_vgpr, 134
	.set _ZL29rocblas_internal_gemmt_kernelIlLi16ELi32ELi8ELc78ELc78ELc76ELb0ELb0E19rocblas_complex_numIdES1_PKPKS1_PKPS1_EviT_T9_T10_S9_lSB_S9_lSA_T11_S9_li.num_agpr, 0
	.set _ZL29rocblas_internal_gemmt_kernelIlLi16ELi32ELi8ELc78ELc78ELc76ELb0ELb0E19rocblas_complex_numIdES1_PKPKS1_PKPS1_EviT_T9_T10_S9_lSB_S9_lSA_T11_S9_li.numbered_sgpr, 43
	.set _ZL29rocblas_internal_gemmt_kernelIlLi16ELi32ELi8ELc78ELc78ELc76ELb0ELb0E19rocblas_complex_numIdES1_PKPKS1_PKPS1_EviT_T9_T10_S9_lSB_S9_lSA_T11_S9_li.num_named_barrier, 0
	.set _ZL29rocblas_internal_gemmt_kernelIlLi16ELi32ELi8ELc78ELc78ELc76ELb0ELb0E19rocblas_complex_numIdES1_PKPKS1_PKPS1_EviT_T9_T10_S9_lSB_S9_lSA_T11_S9_li.private_seg_size, 0
	.set _ZL29rocblas_internal_gemmt_kernelIlLi16ELi32ELi8ELc78ELc78ELc76ELb0ELb0E19rocblas_complex_numIdES1_PKPKS1_PKPS1_EviT_T9_T10_S9_lSB_S9_lSA_T11_S9_li.uses_vcc, 1
	.set _ZL29rocblas_internal_gemmt_kernelIlLi16ELi32ELi8ELc78ELc78ELc76ELb0ELb0E19rocblas_complex_numIdES1_PKPKS1_PKPS1_EviT_T9_T10_S9_lSB_S9_lSA_T11_S9_li.uses_flat_scratch, 0
	.set _ZL29rocblas_internal_gemmt_kernelIlLi16ELi32ELi8ELc78ELc78ELc76ELb0ELb0E19rocblas_complex_numIdES1_PKPKS1_PKPS1_EviT_T9_T10_S9_lSB_S9_lSA_T11_S9_li.has_dyn_sized_stack, 0
	.set _ZL29rocblas_internal_gemmt_kernelIlLi16ELi32ELi8ELc78ELc78ELc76ELb0ELb0E19rocblas_complex_numIdES1_PKPKS1_PKPS1_EviT_T9_T10_S9_lSB_S9_lSA_T11_S9_li.has_recursion, 0
	.set _ZL29rocblas_internal_gemmt_kernelIlLi16ELi32ELi8ELc78ELc78ELc76ELb0ELb0E19rocblas_complex_numIdES1_PKPKS1_PKPS1_EviT_T9_T10_S9_lSB_S9_lSA_T11_S9_li.has_indirect_call, 0
	.section	.AMDGPU.csdata,"",@progbits
; Kernel info:
; codeLenInByte = 3020
; TotalNumSgprs: 45
; NumVgprs: 134
; ScratchSize: 0
; MemoryBound: 0
; FloatMode: 240
; IeeeMode: 1
; LDSByteSize: 8192 bytes/workgroup (compile time only)
; SGPRBlocks: 0
; VGPRBlocks: 8
; NumSGPRsForWavesPerEU: 45
; NumVGPRsForWavesPerEU: 134
; NamedBarCnt: 0
; Occupancy: 7
; WaveLimiterHint : 1
; COMPUTE_PGM_RSRC2:SCRATCH_EN: 0
; COMPUTE_PGM_RSRC2:USER_SGPR: 2
; COMPUTE_PGM_RSRC2:TRAP_HANDLER: 0
; COMPUTE_PGM_RSRC2:TGID_X_EN: 1
; COMPUTE_PGM_RSRC2:TGID_Y_EN: 1
; COMPUTE_PGM_RSRC2:TGID_Z_EN: 1
; COMPUTE_PGM_RSRC2:TIDIG_COMP_CNT: 1
	.section	.text._ZL29rocblas_internal_gemmt_kernelIlLi16ELi32ELi8ELc78ELc84ELc76ELb0ELb0E19rocblas_complex_numIdES1_PKPKS1_PKPS1_EviT_T9_T10_S9_lSB_S9_lSA_T11_S9_li,"axG",@progbits,_ZL29rocblas_internal_gemmt_kernelIlLi16ELi32ELi8ELc78ELc84ELc76ELb0ELb0E19rocblas_complex_numIdES1_PKPKS1_PKPS1_EviT_T9_T10_S9_lSB_S9_lSA_T11_S9_li,comdat
	.globl	_ZL29rocblas_internal_gemmt_kernelIlLi16ELi32ELi8ELc78ELc84ELc76ELb0ELb0E19rocblas_complex_numIdES1_PKPKS1_PKPS1_EviT_T9_T10_S9_lSB_S9_lSA_T11_S9_li ; -- Begin function _ZL29rocblas_internal_gemmt_kernelIlLi16ELi32ELi8ELc78ELc84ELc76ELb0ELb0E19rocblas_complex_numIdES1_PKPKS1_PKPS1_EviT_T9_T10_S9_lSB_S9_lSA_T11_S9_li
	.p2align	8
	.type	_ZL29rocblas_internal_gemmt_kernelIlLi16ELi32ELi8ELc78ELc84ELc76ELb0ELb0E19rocblas_complex_numIdES1_PKPKS1_PKPS1_EviT_T9_T10_S9_lSB_S9_lSA_T11_S9_li,@function
_ZL29rocblas_internal_gemmt_kernelIlLi16ELi32ELi8ELc78ELc84ELc76ELb0ELb0E19rocblas_complex_numIdES1_PKPKS1_PKPS1_EviT_T9_T10_S9_lSB_S9_lSA_T11_S9_li: ; @_ZL29rocblas_internal_gemmt_kernelIlLi16ELi32ELi8ELc78ELc84ELc76ELb0ELb0E19rocblas_complex_numIdES1_PKPKS1_PKPS1_EviT_T9_T10_S9_lSB_S9_lSA_T11_S9_li
; %bb.0:
	s_clause 0x1
	s_load_b256 s[24:31], s[0:1], 0x48
	s_load_b512 s[8:23], s[0:1], 0x8
	s_wait_kmcnt 0x0
	v_cmp_eq_f64_e64 s3, s[26:27], 1.0
	v_cmp_eq_f64_e64 s2, s[28:29], 0
	s_and_b32 s3, s3, s2
	s_delay_alu instid0(SALU_CYCLE_1)
	s_and_not1_b32 vcc_lo, exec_lo, s3
	s_mov_b32 s3, -1
	s_cbranch_vccnz .LBB568_3
; %bb.1:
	s_cmp_lg_u64 s[8:9], 0
	s_cbranch_scc0 .LBB568_41
; %bb.2:
	v_cmp_neq_f64_e64 s3, s[10:11], 0
	v_cmp_neq_f64_e64 s4, s[12:13], 0
	s_or_b32 s3, s3, s4
.LBB568_3:
	s_delay_alu instid0(SALU_CYCLE_1)
	s_and_b32 vcc_lo, exec_lo, s3
	s_cbranch_vccz .LBB568_42
; %bb.4:
	s_load_b32 s33, s[0:1], 0x78
	s_bfe_u32 s3, ttmp6, 0x40014
	s_lshr_b32 s4, ttmp7, 16
	s_add_co_i32 s3, s3, 1
	s_bfe_u32 s6, ttmp6, 0x40008
	s_mul_i32 s5, s4, s3
	s_getreg_b32 s3, hwreg(HW_REG_IB_STS2, 6, 4)
	s_add_co_i32 s6, s6, s5
	s_cmp_eq_u32 s3, 0
	s_mov_b32 s35, 0
	s_cselect_b32 s34, s4, s6
	s_wait_kmcnt 0x0
	s_cmp_ge_u32 s34, s33
	s_cbranch_scc1 .LBB568_42
; %bb.5:
	s_clause 0x1
	s_load_b128 s[4:7], s[0:1], 0x68
	s_load_b32 s38, s[0:1], 0x0
	s_wait_xcnt 0x0
	s_bfe_u32 s1, ttmp6, 0x4000c
	s_bfe_u32 s40, ttmp6, 0x40010
	s_and_b32 s39, ttmp7, 0xffff
	s_add_co_i32 s1, s1, 1
	s_add_co_i32 s40, s40, 1
	v_and_b32_e32 v4, 0x3ff, v0
	v_bfe_u32 v5, v0, 10, 10
	s_and_b32 s0, ttmp6, 15
	s_bfe_u32 s41, ttmp6, 0x40004
	s_mul_i32 s1, ttmp9, s1
	s_mul_i32 s40, s39, s40
	s_add_co_i32 s0, s0, s1
	s_add_co_i32 s41, s41, s40
	s_cmp_eq_u32 s3, 0
	v_lshl_add_u32 v1, v5, 4, v4
	s_cselect_b32 s1, s39, s41
	s_cselect_b32 s0, ttmp9, s0
	s_lshl_b32 s1, s1, 5
	s_delay_alu instid0(VALU_DEP_1) | instskip(SKIP_4) | instid1(VALU_DEP_3)
	v_dual_lshrrev_b32 v9, 3, v1 :: v_dual_bitop2_b32 v6, 7, v0 bitop3:0x40
	v_dual_lshrrev_b32 v8, 5, v1 :: v_dual_bitop2_b32 v7, 31, v1 bitop3:0x40
	s_lshl_b32 s39, s0, 5
	v_add_nc_u32_e32 v0, s1, v5
	v_cmp_neq_f64_e64 s36, s[10:11], 0
	v_dual_add_nc_u32 v12, s1, v9 :: v_dual_bitop2_b32 v10, s39, v7 bitop3:0x54
	v_cmp_neq_f64_e64 s37, s[12:13], 0
	s_delay_alu instid0(VALU_DEP_4) | instskip(SKIP_2) | instid1(VALU_DEP_3)
	v_add_nc_u32_e32 v2, 16, v0
	v_cmp_neq_f64_e64 s3, s[26:27], 0
	v_dual_lshlrev_b32 v11, 4, v6 :: v_dual_ashrrev_i32 v1, 31, v0
	v_dual_lshlrev_b32 v7, 4, v7 :: v_dual_ashrrev_i32 v3, 31, v2
	v_add_nc_u32_e32 v18, s39, v4
	s_delay_alu instid0(VALU_DEP_3)
	v_lshl_or_b32 v9, v9, 7, v11
	s_wait_kmcnt 0x0
	v_mul_u64_e32 v[14:15], s[4:5], v[0:1]
	v_ashrrev_i32_e32 v11, 31, v10
	v_mul_u64_e32 v[16:17], s[4:5], v[2:3]
	v_dual_ashrrev_i32 v13, 31, v12 :: v_dual_add_nc_u32 v20, 16, v18
	s_xor_b32 s4, s2, -1
	v_cmp_le_i32_e64 s1, v0, v18
	v_cmp_gt_i32_e64 s2, s38, v18
	v_cmp_gt_i64_e64 s42, s[8:9], 0
	v_cmp_gt_i32_e64 s0, s38, v10
	v_cmp_gt_i32_e32 vcc_lo, s38, v12
	v_cmp_le_i32_e64 s5, v2, v20
	v_lshl_or_b32 v7, v8, 9, v7
	v_add_nc_u32_e32 v9, 0x1000, v9
	v_dual_lshlrev_b32 v44, 4, v4 :: v_dual_ashrrev_i32 v19, 31, v18
	v_lshl_add_u32 v45, v5, 7, 0x1000
	v_dual_ashrrev_i32 v21, 31, v20 :: v_dual_mov_b32 v1, 0
	s_lshl_b64 s[6:7], s[6:7], 4
                                        ; implicit-def: $vgpr22_vgpr23
	s_or_b32 s41, s36, s37
	v_cmp_le_i32_e64 s36, s38, v10
	s_or_b32 s37, s3, s4
	v_cmp_le_i32_e64 s3, v0, v20
	v_cmp_gt_i32_e64 s4, s38, v20
	s_and_b32 s38, s1, s2
	v_cmp_le_i32_e64 s1, v2, v18
	s_and_b32 s41, s41, s42
	s_and_b32 s39, s3, s4
	;; [unrolled: 1-line block ×4, first 2 shown]
	s_lshl_b64 s[2:3], s[24:25], 4
	s_lshl_b64 s[4:5], s[18:19], 4
	s_xor_b32 s24, vcc_lo, -1
	s_branch .LBB568_7
.LBB568_6:                              ;   in Loop: Header=BB568_7 Depth=1
	s_wait_xcnt 0x0
	s_or_b32 exec_lo, exec_lo, s18
	s_add_co_i32 s34, s34, 0x10000
	s_delay_alu instid0(SALU_CYCLE_1)
	s_cmp_lt_u32 s34, s33
	s_cbranch_scc0 .LBB568_42
.LBB568_7:                              ; =>This Loop Header: Depth=1
                                        ;     Child Loop BB568_10 Depth 2
	v_mov_b32_e32 v0, s34
	v_mov_b64_e32 v[40:41], 0
	s_and_not1_b32 vcc_lo, exec_lo, s41
	global_load_b64 v[4:5], v0, s[30:31] scale_offset
	s_cbranch_vccnz .LBB568_20
; %bb.8:                                ;   in Loop: Header=BB568_7 Depth=1
	s_lshl_b64 s[18:19], s[34:35], 3
	v_mov_b64_e32 v[24:25], 0
	s_add_nc_u64 s[42:43], s[14:15], s[18:19]
	s_add_nc_u64 s[18:19], s[20:21], s[18:19]
	s_clause 0x1
	global_load_b64 v[2:3], v1, s[42:43]
	global_load_b64 v[28:29], v1, s[18:19]
	v_mov_b64_e32 v[26:27], 0
	v_mov_b64_e32 v[34:35], 0
	;; [unrolled: 1-line block ×7, first 2 shown]
	s_wait_xcnt 0x0
	s_mov_b64 s[18:19], 0
	s_wait_loadcnt 0x1
	v_add_nc_u64_e32 v[2:3], s[4:5], v[2:3]
	s_wait_loadcnt 0x0
	v_add_nc_u64_e32 v[30:31], s[2:3], v[28:29]
	s_delay_alu instid0(VALU_DEP_2) | instskip(NEXT) | instid1(VALU_DEP_2)
	v_lshl_add_u64 v[28:29], v[10:11], 4, v[2:3]
	v_lshl_add_u64 v[30:31], v[12:13], 4, v[30:31]
	s_branch .LBB568_10
.LBB568_9:                              ;   in Loop: Header=BB568_10 Depth=2
	s_wait_xcnt 0x0
	s_or_b32 exec_lo, exec_lo, s25
	s_wait_dscnt 0x0
	s_barrier_signal -1
	s_barrier_wait -1
	ds_load_b128 v[46:49], v45
	ds_load_b128 v[50:53], v44
	ds_load_b128 v[54:57], v44 offset:256
	ds_load_b128 v[58:61], v45 offset:2048
	;; [unrolled: 1-line block ×10, first 2 shown]
	s_add_nc_u64 s[18:19], s[18:19], 8
	s_delay_alu instid0(SALU_CYCLE_1)
	v_cmp_gt_i64_e64 s25, s[8:9], s[18:19]
	s_and_b32 vcc_lo, exec_lo, s25
	s_wait_dscnt 0xa
	v_mul_f64_e32 v[2:3], v[48:49], v[52:53]
	v_mul_f64_e32 v[94:95], v[46:47], v[52:53]
	s_wait_dscnt 0x9
	v_mul_f64_e32 v[96:97], v[48:49], v[56:57]
	v_mul_f64_e32 v[98:99], v[46:47], v[56:57]
	s_wait_dscnt 0x8
	v_mul_f64_e32 v[100:101], v[60:61], v[52:53]
	v_mul_f64_e32 v[102:103], v[58:59], v[52:53]
	v_mul_f64_e32 v[52:53], v[60:61], v[56:57]
	v_mul_f64_e32 v[104:105], v[58:59], v[56:57]
	s_wait_dscnt 0x6
	v_mul_f64_e32 v[106:107], v[64:65], v[68:69]
	v_mul_f64_e32 v[108:109], v[62:63], v[68:69]
	s_wait_dscnt 0x5
	v_mul_f64_e32 v[110:111], v[64:65], v[72:73]
	v_mul_f64_e32 v[112:113], v[62:63], v[72:73]
	s_wait_dscnt 0x4
	v_mul_f64_e32 v[114:115], v[76:77], v[68:69]
	v_mul_f64_e32 v[68:69], v[74:75], v[68:69]
	v_mul_f64_e32 v[116:117], v[76:77], v[72:73]
	v_mul_f64_e32 v[72:73], v[74:75], v[72:73]
	;; [unrolled: 11-line block ×3, first 2 shown]
	v_fma_f64 v[2:3], v[46:47], v[50:51], -v[2:3]
	v_fmac_f64_e32 v[94:95], v[48:49], v[50:51]
	v_fma_f64 v[96:97], v[46:47], v[54:55], -v[96:97]
	v_fmac_f64_e32 v[98:99], v[48:49], v[54:55]
	;; [unrolled: 2-line block ×8, first 2 shown]
	ds_load_b128 v[46:49], v45 offset:48
	ds_load_b128 v[50:53], v45 offset:2096
	;; [unrolled: 1-line block ×4, first 2 shown]
	v_fma_f64 v[120:121], v[78:79], v[82:83], -v[120:121]
	v_fmac_f64_e32 v[122:123], v[80:81], v[82:83]
	v_fma_f64 v[78:79], v[78:79], v[86:87], -v[124:125]
	v_fmac_f64_e32 v[126:127], v[80:81], v[86:87]
	v_fma_f64 v[80:81], v[90:91], v[82:83], -v[128:129]
	v_fmac_f64_e32 v[84:85], v[92:93], v[82:83]
	v_fma_f64 v[82:83], v[90:91], v[86:87], -v[130:131]
	v_fmac_f64_e32 v[88:89], v[92:93], v[86:87]
	v_add_f64_e32 v[2:3], v[40:41], v[2:3]
	v_add_f64_e32 v[70:71], v[94:95], v[42:43]
	;; [unrolled: 1-line block ×8, first 2 shown]
	s_wait_dscnt 0x1
	v_mul_f64_e32 v[102:103], v[48:49], v[56:57]
	v_mul_f64_e32 v[104:105], v[46:47], v[56:57]
	s_wait_dscnt 0x0
	v_mul_f64_e32 v[110:111], v[48:49], v[60:61]
	v_mul_f64_e32 v[114:115], v[46:47], v[60:61]
	;; [unrolled: 1-line block ×6, first 2 shown]
	ds_load_b128 v[24:27], v45 offset:64
	ds_load_b128 v[32:35], v44 offset:2048
	;; [unrolled: 1-line block ×4, first 2 shown]
	v_add_f64_e32 v[2:3], v[2:3], v[106:107]
	v_add_f64_e32 v[86:87], v[108:109], v[70:71]
	;; [unrolled: 1-line block ×8, first 2 shown]
	s_wait_dscnt 0x2
	v_mul_f64_e32 v[100:101], v[26:27], v[34:35]
	v_mul_f64_e32 v[106:107], v[24:25], v[34:35]
	s_wait_dscnt 0x1
	v_mul_f64_e32 v[108:109], v[26:27], v[38:39]
	v_mul_f64_e32 v[112:113], v[24:25], v[38:39]
	;; [unrolled: 3-line block ×3, first 2 shown]
	v_mul_f64_e32 v[34:35], v[42:43], v[38:39]
	v_mul_f64_e32 v[130:131], v[40:41], v[38:39]
	v_fma_f64 v[38:39], v[46:47], v[54:55], -v[102:103]
	v_fmac_f64_e32 v[104:105], v[48:49], v[54:55]
	v_fma_f64 v[102:103], v[46:47], v[58:59], -v[110:111]
	v_fmac_f64_e32 v[114:115], v[48:49], v[58:59]
	;; [unrolled: 2-line block ×4, first 2 shown]
	ds_load_b128 v[60:63], v45 offset:80
	ds_load_b128 v[64:67], v45 offset:2128
	ds_load_b128 v[68:71], v44 offset:2560
	ds_load_b128 v[72:75], v44 offset:2816
	v_add_f64_e32 v[2:3], v[2:3], v[120:121]
	v_add_f64_e32 v[58:59], v[122:123], v[86:87]
	;; [unrolled: 1-line block ×8, first 2 shown]
	v_fma_f64 v[100:101], v[24:25], v[32:33], -v[100:101]
	v_fmac_f64_e32 v[106:107], v[26:27], v[32:33]
	v_fma_f64 v[108:109], v[24:25], v[36:37], -v[108:109]
	s_wait_dscnt 0x1
	v_mul_f64_e32 v[92:93], v[62:63], v[70:71]
	v_mul_f64_e32 v[94:95], v[60:61], v[70:71]
	s_wait_dscnt 0x0
	v_mul_f64_e32 v[96:97], v[62:63], v[74:75]
	v_mul_f64_e32 v[98:99], v[60:61], v[74:75]
	;; [unrolled: 1-line block ×6, first 2 shown]
	v_fmac_f64_e32 v[112:113], v[26:27], v[36:37]
	v_fma_f64 v[124:125], v[40:41], v[32:33], -v[124:125]
	v_fmac_f64_e32 v[128:129], v[42:43], v[32:33]
	v_fma_f64 v[126:127], v[40:41], v[36:37], -v[34:35]
	v_fmac_f64_e32 v[130:131], v[42:43], v[36:37]
	ds_load_b128 v[46:49], v45 offset:96
	ds_load_b128 v[50:53], v44 offset:3072
	ds_load_b128 v[54:57], v44 offset:3328
	ds_load_b128 v[76:79], v45 offset:2144
	v_add_f64_e32 v[2:3], v[2:3], v[38:39]
	v_add_f64_e32 v[58:59], v[104:105], v[58:59]
	;; [unrolled: 1-line block ×8, first 2 shown]
	ds_load_b128 v[24:27], v45 offset:112
	ds_load_b128 v[32:35], v45 offset:2160
	;; [unrolled: 1-line block ×4, first 2 shown]
	s_wait_dscnt 0x0
	v_mul_f64_e32 v[102:103], v[48:49], v[52:53]
	v_mul_f64_e32 v[104:105], v[46:47], v[52:53]
	;; [unrolled: 1-line block ×8, first 2 shown]
	v_fma_f64 v[92:93], v[60:61], v[68:69], -v[92:93]
	v_fmac_f64_e32 v[94:95], v[62:63], v[68:69]
	v_fma_f64 v[60:61], v[60:61], v[72:73], -v[96:97]
	v_fmac_f64_e32 v[98:99], v[62:63], v[72:73]
	;; [unrolled: 2-line block ×4, first 2 shown]
	s_barrier_signal -1
	s_barrier_wait -1
	v_mul_f64_e32 v[96:97], v[24:25], v[42:43]
	v_add_f64_e32 v[2:3], v[2:3], v[100:101]
	v_add_f64_e32 v[58:59], v[106:107], v[58:59]
	;; [unrolled: 1-line block ×8, first 2 shown]
	v_mul_f64_e32 v[86:87], v[26:27], v[38:39]
	v_mul_f64_e32 v[88:89], v[24:25], v[38:39]
	;; [unrolled: 1-line block ×7, first 2 shown]
	v_fma_f64 v[42:43], v[46:47], v[50:51], -v[102:103]
	v_fmac_f64_e32 v[104:105], v[48:49], v[50:51]
	v_fma_f64 v[46:47], v[46:47], v[54:55], -v[110:111]
	v_fmac_f64_e32 v[114:115], v[48:49], v[54:55]
	;; [unrolled: 2-line block ×4, first 2 shown]
	v_fmac_f64_e32 v[96:97], v[26:27], v[40:41]
	v_add_f64_e32 v[2:3], v[2:3], v[92:93]
	v_add_f64_e32 v[54:55], v[94:95], v[58:59]
	;; [unrolled: 1-line block ×8, first 2 shown]
	v_fma_f64 v[70:71], v[24:25], v[36:37], -v[86:87]
	v_fmac_f64_e32 v[88:89], v[26:27], v[36:37]
	v_fma_f64 v[24:25], v[24:25], v[40:41], -v[90:91]
	v_fma_f64 v[26:27], v[32:33], v[36:37], -v[100:101]
	v_fmac_f64_e32 v[106:107], v[34:35], v[36:37]
	v_fma_f64 v[72:73], v[32:33], v[40:41], -v[38:39]
	v_fmac_f64_e32 v[108:109], v[34:35], v[40:41]
	v_add_f64_e32 v[2:3], v[2:3], v[42:43]
	v_add_f64_e32 v[32:33], v[104:105], v[54:55]
	;; [unrolled: 1-line block ×16, first 2 shown]
	s_cbranch_vccz .LBB568_21
.LBB568_10:                             ;   Parent Loop BB568_7 Depth=1
                                        ; =>  This Inner Loop Header: Depth=2
	s_mov_b32 s25, 0
	s_mov_b32 s43, s36
	s_and_saveexec_b32 s42, s0
	s_cbranch_execnz .LBB568_18
; %bb.11:                               ;   in Loop: Header=BB568_10 Depth=2
	s_or_b32 exec_lo, exec_lo, s42
	s_and_saveexec_b32 s42, s43
	s_delay_alu instid0(SALU_CYCLE_1)
	s_xor_b32 s42, exec_lo, s42
	s_cbranch_execnz .LBB568_19
.LBB568_12:                             ;   in Loop: Header=BB568_10 Depth=2
	s_or_b32 exec_lo, exec_lo, s42
	s_and_saveexec_b32 s42, s25
	s_cbranch_execz .LBB568_14
.LBB568_13:                             ;   in Loop: Header=BB568_10 Depth=2
	v_mul_u64_e32 v[2:3], s[16:17], v[22:23]
	s_delay_alu instid0(VALU_DEP_1)
	v_lshl_add_u64 v[2:3], v[2:3], 4, v[28:29]
	flat_load_b128 v[46:49], v[2:3]
	s_wait_loadcnt_dscnt 0x0
	ds_store_2addr_b64 v7, v[46:47], v[48:49] offset1:1
.LBB568_14:                             ;   in Loop: Header=BB568_10 Depth=2
	s_wait_xcnt 0x0
	s_or_b32 exec_lo, exec_lo, s42
	v_add_nc_u32_e32 v0, s18, v6
	s_delay_alu instid0(VALU_DEP_1) | instskip(SKIP_1) | instid1(SALU_CYCLE_1)
	v_cmp_le_u64_e32 vcc_lo, s[8:9], v[0:1]
	s_or_b32 s25, vcc_lo, s24
	s_and_saveexec_b32 s42, s25
	s_delay_alu instid0(SALU_CYCLE_1)
	s_xor_b32 s25, exec_lo, s42
; %bb.15:                               ;   in Loop: Header=BB568_10 Depth=2
	v_dual_mov_b32 v0, v1 :: v_dual_mov_b32 v2, v1
	v_mov_b32_e32 v3, v1
	ds_store_b128 v9, v[0:3]
; %bb.16:                               ;   in Loop: Header=BB568_10 Depth=2
	s_and_not1_saveexec_b32 s25, s25
	s_cbranch_execz .LBB568_9
; %bb.17:                               ;   in Loop: Header=BB568_10 Depth=2
	v_mul_u64_e32 v[2:3], s[22:23], v[0:1]
	s_delay_alu instid0(VALU_DEP_1)
	v_lshl_add_u64 v[2:3], v[2:3], 4, v[30:31]
	flat_load_b128 v[46:49], v[2:3]
	s_wait_loadcnt_dscnt 0x0
	ds_store_2addr_b64 v9, v[46:47], v[48:49] offset1:1
	s_branch .LBB568_9
.LBB568_18:                             ;   in Loop: Header=BB568_10 Depth=2
	v_add_nc_u32_e32 v0, s18, v8
	s_and_not1_b32 s43, s36, exec_lo
	s_mov_b32 s25, exec_lo
	s_delay_alu instid0(VALU_DEP_1) | instskip(SKIP_2) | instid1(SALU_CYCLE_1)
	v_cmp_le_u64_e32 vcc_lo, s[8:9], v[0:1]
	v_mov_b64_e32 v[22:23], v[0:1]
	s_and_b32 s44, vcc_lo, exec_lo
	s_or_b32 s43, s43, s44
	s_or_b32 exec_lo, exec_lo, s42
	s_and_saveexec_b32 s42, s43
	s_delay_alu instid0(SALU_CYCLE_1)
	s_xor_b32 s42, exec_lo, s42
	s_cbranch_execz .LBB568_12
.LBB568_19:                             ;   in Loop: Header=BB568_10 Depth=2
	v_dual_mov_b32 v0, v1 :: v_dual_mov_b32 v2, v1
	v_mov_b32_e32 v3, v1
	s_and_not1_b32 s25, s25, exec_lo
	ds_store_b128 v7, v[0:3]
	s_or_b32 exec_lo, exec_lo, s42
	s_and_saveexec_b32 s42, s25
	s_cbranch_execnz .LBB568_13
	s_branch .LBB568_14
.LBB568_20:                             ;   in Loop: Header=BB568_7 Depth=1
	v_mov_b64_e32 v[42:43], 0
	v_mov_b64_e32 v[36:37], 0
	v_mov_b64_e32 v[38:39], 0
	v_mov_b64_e32 v[32:33], 0
	v_mov_b64_e32 v[34:35], 0
	v_mov_b64_e32 v[26:27], 0
	v_mov_b64_e32 v[24:25], 0
.LBB568_21:                             ;   in Loop: Header=BB568_7 Depth=1
	s_wait_loadcnt 0x0
	v_add_nc_u64_e32 v[28:29], s[6:7], v[4:5]
	s_delay_alu instid0(VALU_DEP_1)
	v_lshl_add_u64 v[30:31], v[14:15], 4, v[28:29]
	s_wait_xcnt 0x0
	s_and_saveexec_b32 s18, s38
	s_cbranch_execz .LBB568_26
; %bb.22:                               ;   in Loop: Header=BB568_7 Depth=1
	v_mul_f64_e32 v[2:3], s[12:13], v[42:43]
	v_mul_f64_e32 v[4:5], s[10:11], v[42:43]
	s_and_b32 vcc_lo, exec_lo, s37
	s_mov_b32 s19, -1
	s_delay_alu instid0(VALU_DEP_2) | instskip(NEXT) | instid1(VALU_DEP_2)
	v_fma_f64 v[2:3], s[10:11], v[40:41], -v[2:3]
	v_fmac_f64_e32 v[4:5], s[12:13], v[40:41]
	v_lshl_add_u64 v[40:41], v[18:19], 4, v[30:31]
	s_cbranch_vccz .LBB568_24
; %bb.23:                               ;   in Loop: Header=BB568_7 Depth=1
	flat_load_b128 v[46:49], v[40:41]
	s_mov_b32 s19, 0
	s_wait_loadcnt_dscnt 0x0
	v_mul_f64_e32 v[42:43], s[28:29], v[48:49]
	v_mul_f64_e32 v[48:49], s[26:27], v[48:49]
	s_delay_alu instid0(VALU_DEP_2) | instskip(NEXT) | instid1(VALU_DEP_2)
	v_fma_f64 v[42:43], s[26:27], v[46:47], -v[42:43]
	v_fmac_f64_e32 v[48:49], s[28:29], v[46:47]
	s_delay_alu instid0(VALU_DEP_2) | instskip(NEXT) | instid1(VALU_DEP_2)
	v_add_f64_e32 v[46:47], v[2:3], v[42:43]
	v_add_f64_e32 v[48:49], v[4:5], v[48:49]
	flat_store_b128 v[40:41], v[46:49]
.LBB568_24:                             ;   in Loop: Header=BB568_7 Depth=1
	s_and_not1_b32 vcc_lo, exec_lo, s19
	s_cbranch_vccnz .LBB568_26
; %bb.25:                               ;   in Loop: Header=BB568_7 Depth=1
	flat_store_b128 v[40:41], v[2:5]
.LBB568_26:                             ;   in Loop: Header=BB568_7 Depth=1
	s_wait_xcnt 0x0
	s_or_b32 exec_lo, exec_lo, s18
	s_and_saveexec_b32 s18, s39
	s_cbranch_execz .LBB568_31
; %bb.27:                               ;   in Loop: Header=BB568_7 Depth=1
	v_mul_f64_e32 v[2:3], s[12:13], v[38:39]
	v_mul_f64_e32 v[4:5], s[10:11], v[38:39]
	v_lshl_add_u64 v[30:31], v[20:21], 4, v[30:31]
	s_and_not1_b32 vcc_lo, exec_lo, s37
	s_mov_b32 s19, -1
	s_delay_alu instid0(VALU_DEP_3) | instskip(NEXT) | instid1(VALU_DEP_3)
	v_fma_f64 v[2:3], s[10:11], v[36:37], -v[2:3]
	v_fmac_f64_e32 v[4:5], s[12:13], v[36:37]
	s_cbranch_vccnz .LBB568_29
; %bb.28:                               ;   in Loop: Header=BB568_7 Depth=1
	flat_load_b128 v[36:39], v[30:31]
	s_mov_b32 s19, 0
	s_wait_loadcnt_dscnt 0x0
	v_mul_f64_e32 v[40:41], s[28:29], v[38:39]
	v_mul_f64_e32 v[38:39], s[26:27], v[38:39]
	s_delay_alu instid0(VALU_DEP_2) | instskip(NEXT) | instid1(VALU_DEP_2)
	v_fma_f64 v[40:41], s[26:27], v[36:37], -v[40:41]
	v_fmac_f64_e32 v[38:39], s[28:29], v[36:37]
	s_delay_alu instid0(VALU_DEP_2) | instskip(NEXT) | instid1(VALU_DEP_2)
	v_add_f64_e32 v[36:37], v[2:3], v[40:41]
	v_add_f64_e32 v[38:39], v[4:5], v[38:39]
	flat_store_b128 v[30:31], v[36:39]
.LBB568_29:                             ;   in Loop: Header=BB568_7 Depth=1
	s_and_not1_b32 vcc_lo, exec_lo, s19
	s_cbranch_vccnz .LBB568_31
; %bb.30:                               ;   in Loop: Header=BB568_7 Depth=1
	flat_store_b128 v[30:31], v[2:5]
.LBB568_31:                             ;   in Loop: Header=BB568_7 Depth=1
	s_wait_xcnt 0x0
	s_or_b32 exec_lo, exec_lo, s18
	v_lshl_add_u64 v[28:29], v[16:17], 4, v[28:29]
	s_and_saveexec_b32 s18, s1
	s_cbranch_execz .LBB568_36
; %bb.32:                               ;   in Loop: Header=BB568_7 Depth=1
	v_mul_f64_e32 v[2:3], s[12:13], v[34:35]
	v_mul_f64_e32 v[4:5], s[10:11], v[34:35]
	v_lshl_add_u64 v[30:31], v[18:19], 4, v[28:29]
	s_and_not1_b32 vcc_lo, exec_lo, s37
	s_mov_b32 s19, -1
	s_delay_alu instid0(VALU_DEP_3) | instskip(NEXT) | instid1(VALU_DEP_3)
	v_fma_f64 v[2:3], s[10:11], v[32:33], -v[2:3]
	v_fmac_f64_e32 v[4:5], s[12:13], v[32:33]
	s_cbranch_vccnz .LBB568_34
; %bb.33:                               ;   in Loop: Header=BB568_7 Depth=1
	flat_load_b128 v[32:35], v[30:31]
	s_mov_b32 s19, 0
	s_wait_loadcnt_dscnt 0x0
	v_mul_f64_e32 v[36:37], s[28:29], v[34:35]
	v_mul_f64_e32 v[34:35], s[26:27], v[34:35]
	s_delay_alu instid0(VALU_DEP_2) | instskip(NEXT) | instid1(VALU_DEP_2)
	v_fma_f64 v[36:37], s[26:27], v[32:33], -v[36:37]
	v_fmac_f64_e32 v[34:35], s[28:29], v[32:33]
	s_delay_alu instid0(VALU_DEP_2) | instskip(NEXT) | instid1(VALU_DEP_2)
	v_add_f64_e32 v[32:33], v[2:3], v[36:37]
	v_add_f64_e32 v[34:35], v[4:5], v[34:35]
	flat_store_b128 v[30:31], v[32:35]
.LBB568_34:                             ;   in Loop: Header=BB568_7 Depth=1
	s_and_not1_b32 vcc_lo, exec_lo, s19
	s_cbranch_vccnz .LBB568_36
; %bb.35:                               ;   in Loop: Header=BB568_7 Depth=1
	flat_store_b128 v[30:31], v[2:5]
.LBB568_36:                             ;   in Loop: Header=BB568_7 Depth=1
	s_wait_xcnt 0x0
	s_or_b32 exec_lo, exec_lo, s18
	s_and_saveexec_b32 s18, s40
	s_cbranch_execz .LBB568_6
; %bb.37:                               ;   in Loop: Header=BB568_7 Depth=1
	s_delay_alu instid0(VALU_DEP_4) | instskip(SKIP_4) | instid1(VALU_DEP_3)
	v_mul_f64_e32 v[2:3], s[12:13], v[24:25]
	v_mul_f64_e32 v[4:5], s[10:11], v[24:25]
	v_lshl_add_u64 v[24:25], v[20:21], 4, v[28:29]
	s_and_not1_b32 vcc_lo, exec_lo, s37
	s_mov_b32 s19, -1
	v_fma_f64 v[2:3], s[10:11], v[26:27], -v[2:3]
	s_delay_alu instid0(VALU_DEP_3)
	v_fmac_f64_e32 v[4:5], s[12:13], v[26:27]
	s_cbranch_vccnz .LBB568_39
; %bb.38:                               ;   in Loop: Header=BB568_7 Depth=1
	flat_load_b128 v[26:29], v[24:25]
	s_mov_b32 s19, 0
	s_wait_loadcnt_dscnt 0x0
	v_mul_f64_e32 v[30:31], s[28:29], v[28:29]
	v_mul_f64_e32 v[28:29], s[26:27], v[28:29]
	s_delay_alu instid0(VALU_DEP_2) | instskip(NEXT) | instid1(VALU_DEP_2)
	v_fma_f64 v[30:31], s[26:27], v[26:27], -v[30:31]
	v_fmac_f64_e32 v[28:29], s[28:29], v[26:27]
	s_delay_alu instid0(VALU_DEP_2) | instskip(NEXT) | instid1(VALU_DEP_2)
	v_add_f64_e32 v[26:27], v[2:3], v[30:31]
	v_add_f64_e32 v[28:29], v[4:5], v[28:29]
	flat_store_b128 v[24:25], v[26:29]
.LBB568_39:                             ;   in Loop: Header=BB568_7 Depth=1
	s_and_not1_b32 vcc_lo, exec_lo, s19
	s_cbranch_vccnz .LBB568_6
; %bb.40:                               ;   in Loop: Header=BB568_7 Depth=1
	flat_store_b128 v[24:25], v[2:5]
	s_branch .LBB568_6
.LBB568_41:
.LBB568_42:
	s_sendmsg sendmsg(MSG_DEALLOC_VGPRS)
	s_endpgm
	.section	.rodata,"a",@progbits
	.p2align	6, 0x0
	.amdhsa_kernel _ZL29rocblas_internal_gemmt_kernelIlLi16ELi32ELi8ELc78ELc84ELc76ELb0ELb0E19rocblas_complex_numIdES1_PKPKS1_PKPS1_EviT_T9_T10_S9_lSB_S9_lSA_T11_S9_li
		.amdhsa_group_segment_fixed_size 8192
		.amdhsa_private_segment_fixed_size 0
		.amdhsa_kernarg_size 124
		.amdhsa_user_sgpr_count 2
		.amdhsa_user_sgpr_dispatch_ptr 0
		.amdhsa_user_sgpr_queue_ptr 0
		.amdhsa_user_sgpr_kernarg_segment_ptr 1
		.amdhsa_user_sgpr_dispatch_id 0
		.amdhsa_user_sgpr_kernarg_preload_length 0
		.amdhsa_user_sgpr_kernarg_preload_offset 0
		.amdhsa_user_sgpr_private_segment_size 0
		.amdhsa_wavefront_size32 1
		.amdhsa_uses_dynamic_stack 0
		.amdhsa_enable_private_segment 0
		.amdhsa_system_sgpr_workgroup_id_x 1
		.amdhsa_system_sgpr_workgroup_id_y 1
		.amdhsa_system_sgpr_workgroup_id_z 1
		.amdhsa_system_sgpr_workgroup_info 0
		.amdhsa_system_vgpr_workitem_id 1
		.amdhsa_next_free_vgpr 134
		.amdhsa_next_free_sgpr 45
		.amdhsa_named_barrier_count 0
		.amdhsa_reserve_vcc 1
		.amdhsa_float_round_mode_32 0
		.amdhsa_float_round_mode_16_64 0
		.amdhsa_float_denorm_mode_32 3
		.amdhsa_float_denorm_mode_16_64 3
		.amdhsa_fp16_overflow 0
		.amdhsa_memory_ordered 1
		.amdhsa_forward_progress 1
		.amdhsa_inst_pref_size 24
		.amdhsa_round_robin_scheduling 0
		.amdhsa_exception_fp_ieee_invalid_op 0
		.amdhsa_exception_fp_denorm_src 0
		.amdhsa_exception_fp_ieee_div_zero 0
		.amdhsa_exception_fp_ieee_overflow 0
		.amdhsa_exception_fp_ieee_underflow 0
		.amdhsa_exception_fp_ieee_inexact 0
		.amdhsa_exception_int_div_zero 0
	.end_amdhsa_kernel
	.section	.text._ZL29rocblas_internal_gemmt_kernelIlLi16ELi32ELi8ELc78ELc84ELc76ELb0ELb0E19rocblas_complex_numIdES1_PKPKS1_PKPS1_EviT_T9_T10_S9_lSB_S9_lSA_T11_S9_li,"axG",@progbits,_ZL29rocblas_internal_gemmt_kernelIlLi16ELi32ELi8ELc78ELc84ELc76ELb0ELb0E19rocblas_complex_numIdES1_PKPKS1_PKPS1_EviT_T9_T10_S9_lSB_S9_lSA_T11_S9_li,comdat
.Lfunc_end568:
	.size	_ZL29rocblas_internal_gemmt_kernelIlLi16ELi32ELi8ELc78ELc84ELc76ELb0ELb0E19rocblas_complex_numIdES1_PKPKS1_PKPS1_EviT_T9_T10_S9_lSB_S9_lSA_T11_S9_li, .Lfunc_end568-_ZL29rocblas_internal_gemmt_kernelIlLi16ELi32ELi8ELc78ELc84ELc76ELb0ELb0E19rocblas_complex_numIdES1_PKPKS1_PKPS1_EviT_T9_T10_S9_lSB_S9_lSA_T11_S9_li
                                        ; -- End function
	.set _ZL29rocblas_internal_gemmt_kernelIlLi16ELi32ELi8ELc78ELc84ELc76ELb0ELb0E19rocblas_complex_numIdES1_PKPKS1_PKPS1_EviT_T9_T10_S9_lSB_S9_lSA_T11_S9_li.num_vgpr, 134
	.set _ZL29rocblas_internal_gemmt_kernelIlLi16ELi32ELi8ELc78ELc84ELc76ELb0ELb0E19rocblas_complex_numIdES1_PKPKS1_PKPS1_EviT_T9_T10_S9_lSB_S9_lSA_T11_S9_li.num_agpr, 0
	.set _ZL29rocblas_internal_gemmt_kernelIlLi16ELi32ELi8ELc78ELc84ELc76ELb0ELb0E19rocblas_complex_numIdES1_PKPKS1_PKPS1_EviT_T9_T10_S9_lSB_S9_lSA_T11_S9_li.numbered_sgpr, 45
	.set _ZL29rocblas_internal_gemmt_kernelIlLi16ELi32ELi8ELc78ELc84ELc76ELb0ELb0E19rocblas_complex_numIdES1_PKPKS1_PKPS1_EviT_T9_T10_S9_lSB_S9_lSA_T11_S9_li.num_named_barrier, 0
	.set _ZL29rocblas_internal_gemmt_kernelIlLi16ELi32ELi8ELc78ELc84ELc76ELb0ELb0E19rocblas_complex_numIdES1_PKPKS1_PKPS1_EviT_T9_T10_S9_lSB_S9_lSA_T11_S9_li.private_seg_size, 0
	.set _ZL29rocblas_internal_gemmt_kernelIlLi16ELi32ELi8ELc78ELc84ELc76ELb0ELb0E19rocblas_complex_numIdES1_PKPKS1_PKPS1_EviT_T9_T10_S9_lSB_S9_lSA_T11_S9_li.uses_vcc, 1
	.set _ZL29rocblas_internal_gemmt_kernelIlLi16ELi32ELi8ELc78ELc84ELc76ELb0ELb0E19rocblas_complex_numIdES1_PKPKS1_PKPS1_EviT_T9_T10_S9_lSB_S9_lSA_T11_S9_li.uses_flat_scratch, 0
	.set _ZL29rocblas_internal_gemmt_kernelIlLi16ELi32ELi8ELc78ELc84ELc76ELb0ELb0E19rocblas_complex_numIdES1_PKPKS1_PKPS1_EviT_T9_T10_S9_lSB_S9_lSA_T11_S9_li.has_dyn_sized_stack, 0
	.set _ZL29rocblas_internal_gemmt_kernelIlLi16ELi32ELi8ELc78ELc84ELc76ELb0ELb0E19rocblas_complex_numIdES1_PKPKS1_PKPS1_EviT_T9_T10_S9_lSB_S9_lSA_T11_S9_li.has_recursion, 0
	.set _ZL29rocblas_internal_gemmt_kernelIlLi16ELi32ELi8ELc78ELc84ELc76ELb0ELb0E19rocblas_complex_numIdES1_PKPKS1_PKPS1_EviT_T9_T10_S9_lSB_S9_lSA_T11_S9_li.has_indirect_call, 0
	.section	.AMDGPU.csdata,"",@progbits
; Kernel info:
; codeLenInByte = 3024
; TotalNumSgprs: 47
; NumVgprs: 134
; ScratchSize: 0
; MemoryBound: 0
; FloatMode: 240
; IeeeMode: 1
; LDSByteSize: 8192 bytes/workgroup (compile time only)
; SGPRBlocks: 0
; VGPRBlocks: 8
; NumSGPRsForWavesPerEU: 47
; NumVGPRsForWavesPerEU: 134
; NamedBarCnt: 0
; Occupancy: 7
; WaveLimiterHint : 1
; COMPUTE_PGM_RSRC2:SCRATCH_EN: 0
; COMPUTE_PGM_RSRC2:USER_SGPR: 2
; COMPUTE_PGM_RSRC2:TRAP_HANDLER: 0
; COMPUTE_PGM_RSRC2:TGID_X_EN: 1
; COMPUTE_PGM_RSRC2:TGID_Y_EN: 1
; COMPUTE_PGM_RSRC2:TGID_Z_EN: 1
; COMPUTE_PGM_RSRC2:TIDIG_COMP_CNT: 1
	.section	.text._ZL29rocblas_internal_gemmt_kernelIlLi16ELi32ELi8ELc78ELc67ELc76ELb0ELb1E19rocblas_complex_numIdES1_PKPKS1_PKPS1_EviT_T9_T10_S9_lSB_S9_lSA_T11_S9_li,"axG",@progbits,_ZL29rocblas_internal_gemmt_kernelIlLi16ELi32ELi8ELc78ELc67ELc76ELb0ELb1E19rocblas_complex_numIdES1_PKPKS1_PKPS1_EviT_T9_T10_S9_lSB_S9_lSA_T11_S9_li,comdat
	.globl	_ZL29rocblas_internal_gemmt_kernelIlLi16ELi32ELi8ELc78ELc67ELc76ELb0ELb1E19rocblas_complex_numIdES1_PKPKS1_PKPS1_EviT_T9_T10_S9_lSB_S9_lSA_T11_S9_li ; -- Begin function _ZL29rocblas_internal_gemmt_kernelIlLi16ELi32ELi8ELc78ELc67ELc76ELb0ELb1E19rocblas_complex_numIdES1_PKPKS1_PKPS1_EviT_T9_T10_S9_lSB_S9_lSA_T11_S9_li
	.p2align	8
	.type	_ZL29rocblas_internal_gemmt_kernelIlLi16ELi32ELi8ELc78ELc67ELc76ELb0ELb1E19rocblas_complex_numIdES1_PKPKS1_PKPS1_EviT_T9_T10_S9_lSB_S9_lSA_T11_S9_li,@function
_ZL29rocblas_internal_gemmt_kernelIlLi16ELi32ELi8ELc78ELc67ELc76ELb0ELb1E19rocblas_complex_numIdES1_PKPKS1_PKPS1_EviT_T9_T10_S9_lSB_S9_lSA_T11_S9_li: ; @_ZL29rocblas_internal_gemmt_kernelIlLi16ELi32ELi8ELc78ELc67ELc76ELb0ELb1E19rocblas_complex_numIdES1_PKPKS1_PKPS1_EviT_T9_T10_S9_lSB_S9_lSA_T11_S9_li
; %bb.0:
	s_clause 0x1
	s_load_b256 s[24:31], s[0:1], 0x48
	s_load_b512 s[8:23], s[0:1], 0x8
	s_wait_kmcnt 0x0
	v_cmp_eq_f64_e64 s3, s[26:27], 1.0
	v_cmp_eq_f64_e64 s2, s[28:29], 0
	s_and_b32 s3, s3, s2
	s_delay_alu instid0(SALU_CYCLE_1)
	s_and_not1_b32 vcc_lo, exec_lo, s3
	s_mov_b32 s3, -1
	s_cbranch_vccnz .LBB569_3
; %bb.1:
	s_cmp_lg_u64 s[8:9], 0
	s_cbranch_scc0 .LBB569_39
; %bb.2:
	v_cmp_neq_f64_e64 s3, s[10:11], 0
	v_cmp_neq_f64_e64 s4, s[12:13], 0
	s_or_b32 s3, s3, s4
.LBB569_3:
	s_delay_alu instid0(SALU_CYCLE_1)
	s_and_b32 vcc_lo, exec_lo, s3
	s_cbranch_vccz .LBB569_40
; %bb.4:
	s_load_b32 s33, s[0:1], 0x78
	s_bfe_u32 s3, ttmp6, 0x40014
	s_lshr_b32 s4, ttmp7, 16
	s_add_co_i32 s3, s3, 1
	s_bfe_u32 s6, ttmp6, 0x40008
	s_mul_i32 s5, s4, s3
	s_getreg_b32 s3, hwreg(HW_REG_IB_STS2, 6, 4)
	s_add_co_i32 s6, s6, s5
	s_cmp_eq_u32 s3, 0
	s_mov_b32 s35, 0
	s_cselect_b32 s34, s4, s6
	s_wait_kmcnt 0x0
	s_cmp_ge_u32 s34, s33
	s_cbranch_scc1 .LBB569_40
; %bb.5:
	s_clause 0x1
	s_load_b128 s[4:7], s[0:1], 0x68
	s_load_b32 s38, s[0:1], 0x0
	s_wait_xcnt 0x0
	s_bfe_u32 s1, ttmp6, 0x4000c
	s_bfe_u32 s40, ttmp6, 0x40010
	s_and_b32 s39, ttmp7, 0xffff
	s_add_co_i32 s1, s1, 1
	s_add_co_i32 s40, s40, 1
	v_and_b32_e32 v4, 0x3ff, v0
	v_bfe_u32 v5, v0, 10, 10
	s_and_b32 s0, ttmp6, 15
	s_bfe_u32 s41, ttmp6, 0x40004
	s_mul_i32 s1, ttmp9, s1
	s_mul_i32 s40, s39, s40
	s_add_co_i32 s0, s0, s1
	s_add_co_i32 s41, s41, s40
	s_cmp_eq_u32 s3, 0
	v_lshl_add_u32 v1, v5, 4, v4
	s_cselect_b32 s1, s39, s41
	s_cselect_b32 s0, ttmp9, s0
	s_lshl_b32 s1, s1, 5
	s_delay_alu instid0(VALU_DEP_1) | instskip(SKIP_4) | instid1(VALU_DEP_3)
	v_dual_lshrrev_b32 v9, 3, v1 :: v_dual_bitop2_b32 v6, 7, v0 bitop3:0x40
	v_dual_lshrrev_b32 v8, 5, v1 :: v_dual_bitop2_b32 v7, 31, v1 bitop3:0x40
	s_lshl_b32 s39, s0, 5
	v_add_nc_u32_e32 v0, s1, v5
	v_cmp_neq_f64_e64 s36, s[10:11], 0
	v_dual_add_nc_u32 v12, s1, v9 :: v_dual_bitop2_b32 v10, s39, v7 bitop3:0x54
	v_cmp_neq_f64_e64 s37, s[12:13], 0
	s_delay_alu instid0(VALU_DEP_4) | instskip(SKIP_2) | instid1(VALU_DEP_3)
	v_add_nc_u32_e32 v2, 16, v0
	v_cmp_neq_f64_e64 s3, s[26:27], 0
	v_dual_ashrrev_i32 v1, 31, v0 :: v_dual_lshlrev_b32 v11, 4, v6
	v_dual_lshlrev_b32 v7, 4, v7 :: v_dual_ashrrev_i32 v3, 31, v2
	v_add_nc_u32_e32 v18, s39, v4
	s_wait_kmcnt 0x0
	s_delay_alu instid0(VALU_DEP_3)
	v_mul_u64_e32 v[14:15], s[4:5], v[0:1]
	v_lshl_or_b32 v1, v9, 7, v11
	v_ashrrev_i32_e32 v11, 31, v10
	v_mul_u64_e32 v[16:17], s[4:5], v[2:3]
	v_dual_ashrrev_i32 v13, 31, v12 :: v_dual_add_nc_u32 v20, 16, v18
	s_xor_b32 s4, s2, -1
	v_cmp_le_i32_e32 vcc_lo, v0, v18
	v_cmp_gt_i32_e64 s2, s38, v18
	v_cmp_gt_i64_e64 s43, s[8:9], 0
	v_cmp_gt_i32_e64 s0, s38, v10
	v_cmp_gt_i32_e64 s1, s38, v12
	v_cmp_le_i32_e64 s5, v2, v20
	v_lshl_or_b32 v7, v8, 9, v7
	v_add_nc_u32_e32 v9, 0x1000, v1
	v_dual_lshlrev_b32 v46, 4, v4 :: v_dual_ashrrev_i32 v19, 31, v18
	v_lshl_add_u32 v47, v5, 7, 0x1000
	v_dual_ashrrev_i32 v21, 31, v20 :: v_dual_mov_b32 v1, 0
	s_lshl_b64 s[6:7], s[6:7], 4
                                        ; implicit-def: $vgpr22_vgpr23
	s_or_b32 s42, s36, s37
	v_cmp_le_i32_e64 s36, s38, v10
	s_or_b32 s37, s3, s4
	v_cmp_le_i32_e64 s3, v0, v20
	v_cmp_gt_i32_e64 s4, s38, v20
	s_and_b32 s38, vcc_lo, s2
	v_cmp_le_i32_e32 vcc_lo, v2, v18
	s_and_b32 s42, s42, s43
	s_and_b32 s39, s3, s4
	;; [unrolled: 1-line block ×3, first 2 shown]
	s_and_b32 s40, vcc_lo, s2
	s_lshl_b64 s[2:3], s[24:25], 4
	s_lshl_b64 s[4:5], s[18:19], 4
	s_branch .LBB569_7
.LBB569_6:                              ;   in Loop: Header=BB569_7 Depth=1
	s_wait_xcnt 0x0
	s_or_b32 exec_lo, exec_lo, s18
	s_add_co_i32 s34, s34, 0x10000
	s_delay_alu instid0(SALU_CYCLE_1)
	s_cmp_lt_u32 s34, s33
	s_cbranch_scc0 .LBB569_40
.LBB569_7:                              ; =>This Loop Header: Depth=1
                                        ;     Child Loop BB569_10 Depth 2
	v_mov_b32_e32 v0, s34
	v_mov_b64_e32 v[42:43], 0
	s_and_not1_b32 vcc_lo, exec_lo, s42
	global_load_b64 v[24:25], v0, s[30:31] scale_offset
	s_cbranch_vccnz .LBB569_18
; %bb.8:                                ;   in Loop: Header=BB569_7 Depth=1
	s_lshl_b64 s[18:19], s[34:35], 3
	v_mov_b64_e32 v[26:27], 0
	s_add_nc_u64 s[24:25], s[14:15], s[18:19]
	s_add_nc_u64 s[18:19], s[20:21], s[18:19]
	s_clause 0x1
	global_load_b64 v[2:3], v1, s[24:25]
	global_load_b64 v[4:5], v1, s[18:19]
	v_mov_b64_e32 v[28:29], 0
	v_mov_b64_e32 v[36:37], 0
	;; [unrolled: 1-line block ×7, first 2 shown]
	s_wait_xcnt 0x0
	s_mov_b64 s[18:19], 0
	s_wait_loadcnt 0x1
	v_add_nc_u64_e32 v[2:3], s[4:5], v[2:3]
	s_wait_loadcnt 0x0
	v_add_nc_u64_e32 v[4:5], s[2:3], v[4:5]
	s_delay_alu instid0(VALU_DEP_2) | instskip(NEXT) | instid1(VALU_DEP_2)
	v_lshl_add_u64 v[30:31], v[10:11], 4, v[2:3]
	v_lshl_add_u64 v[32:33], v[12:13], 4, v[4:5]
	s_branch .LBB569_10
.LBB569_9:                              ;   in Loop: Header=BB569_10 Depth=2
	s_wait_xcnt 0x0
	s_or_b32 exec_lo, exec_lo, s24
	ds_store_b128 v9, v[2:5]
	s_wait_dscnt 0x0
	s_barrier_signal -1
	s_barrier_wait -1
	ds_load_b128 v[2:5], v47
	ds_load_b128 v[48:51], v46
	ds_load_b128 v[52:55], v46 offset:256
	ds_load_b128 v[56:59], v47 offset:2048
	;; [unrolled: 1-line block ×10, first 2 shown]
	s_add_nc_u64 s[18:19], s[18:19], 8
	s_delay_alu instid0(SALU_CYCLE_1)
	v_cmp_gt_i64_e64 s24, s[8:9], s[18:19]
	s_and_b32 vcc_lo, exec_lo, s24
	s_wait_dscnt 0xa
	v_mul_f64_e32 v[92:93], v[4:5], v[50:51]
	v_mul_f64_e32 v[94:95], v[2:3], v[50:51]
	s_wait_dscnt 0x9
	v_mul_f64_e32 v[96:97], v[4:5], v[54:55]
	v_mul_f64_e32 v[98:99], v[2:3], v[54:55]
	s_wait_dscnt 0x8
	v_mul_f64_e32 v[100:101], v[58:59], v[50:51]
	v_mul_f64_e32 v[102:103], v[56:57], v[50:51]
	v_mul_f64_e32 v[50:51], v[58:59], v[54:55]
	v_mul_f64_e32 v[104:105], v[56:57], v[54:55]
	s_wait_dscnt 0x6
	v_mul_f64_e32 v[106:107], v[62:63], v[66:67]
	v_mul_f64_e32 v[108:109], v[60:61], v[66:67]
	s_wait_dscnt 0x5
	v_mul_f64_e32 v[110:111], v[62:63], v[70:71]
	v_mul_f64_e32 v[112:113], v[60:61], v[70:71]
	s_wait_dscnt 0x4
	v_mul_f64_e32 v[114:115], v[74:75], v[66:67]
	v_mul_f64_e32 v[66:67], v[72:73], v[66:67]
	v_mul_f64_e32 v[116:117], v[74:75], v[70:71]
	v_mul_f64_e32 v[70:71], v[72:73], v[70:71]
	;; [unrolled: 11-line block ×3, first 2 shown]
	v_fma_f64 v[92:93], v[2:3], v[48:49], -v[92:93]
	v_fmac_f64_e32 v[94:95], v[4:5], v[48:49]
	v_fma_f64 v[96:97], v[2:3], v[52:53], -v[96:97]
	v_fmac_f64_e32 v[98:99], v[4:5], v[52:53]
	;; [unrolled: 2-line block ×8, first 2 shown]
	ds_load_b128 v[2:5], v47 offset:48
	ds_load_b128 v[48:51], v47 offset:2096
	;; [unrolled: 1-line block ×4, first 2 shown]
	v_fma_f64 v[120:121], v[76:77], v[80:81], -v[120:121]
	v_fmac_f64_e32 v[122:123], v[78:79], v[80:81]
	v_fma_f64 v[76:77], v[76:77], v[84:85], -v[124:125]
	v_fmac_f64_e32 v[126:127], v[78:79], v[84:85]
	;; [unrolled: 2-line block ×4, first 2 shown]
	v_add_f64_e32 v[68:69], v[42:43], v[92:93]
	v_add_f64_e32 v[72:73], v[94:95], v[44:45]
	v_add_f64_e32 v[74:75], v[38:39], v[96:97]
	v_add_f64_e32 v[92:93], v[98:99], v[40:41]
	v_add_f64_e32 v[94:95], v[34:35], v[100:101]
	v_add_f64_e32 v[96:97], v[102:103], v[36:37]
	v_add_f64_e32 v[98:99], v[28:29], v[118:119]
	v_add_f64_e32 v[100:101], v[104:105], v[26:27]
	s_wait_dscnt 0x1
	v_mul_f64_e32 v[102:103], v[4:5], v[54:55]
	v_mul_f64_e32 v[104:105], v[2:3], v[54:55]
	s_wait_dscnt 0x0
	v_mul_f64_e32 v[110:111], v[4:5], v[58:59]
	v_mul_f64_e32 v[114:115], v[2:3], v[58:59]
	;; [unrolled: 1-line block ×6, first 2 shown]
	ds_load_b128 v[26:29], v47 offset:64
	ds_load_b128 v[34:37], v46 offset:2048
	;; [unrolled: 1-line block ×4, first 2 shown]
	v_add_f64_e32 v[84:85], v[68:69], v[106:107]
	v_add_f64_e32 v[88:89], v[108:109], v[72:73]
	;; [unrolled: 1-line block ×8, first 2 shown]
	s_wait_dscnt 0x2
	v_mul_f64_e32 v[100:101], v[28:29], v[36:37]
	v_mul_f64_e32 v[106:107], v[26:27], v[36:37]
	s_wait_dscnt 0x1
	v_mul_f64_e32 v[108:109], v[28:29], v[40:41]
	v_mul_f64_e32 v[112:113], v[26:27], v[40:41]
	;; [unrolled: 3-line block ×3, first 2 shown]
	v_mul_f64_e32 v[36:37], v[44:45], v[40:41]
	v_mul_f64_e32 v[130:131], v[42:43], v[40:41]
	v_fma_f64 v[40:41], v[2:3], v[52:53], -v[102:103]
	v_fmac_f64_e32 v[104:105], v[4:5], v[52:53]
	v_fma_f64 v[102:103], v[2:3], v[56:57], -v[110:111]
	v_fmac_f64_e32 v[114:115], v[4:5], v[56:57]
	;; [unrolled: 2-line block ×4, first 2 shown]
	ds_load_b128 v[58:61], v47 offset:80
	ds_load_b128 v[62:65], v47 offset:2128
	ds_load_b128 v[66:69], v46 offset:2560
	ds_load_b128 v[70:73], v46 offset:2816
	v_add_f64_e32 v[56:57], v[84:85], v[120:121]
	v_add_f64_e32 v[84:85], v[122:123], v[88:89]
	;; [unrolled: 1-line block ×8, first 2 shown]
	v_fma_f64 v[100:101], v[26:27], v[34:35], -v[100:101]
	v_fmac_f64_e32 v[106:107], v[28:29], v[34:35]
	v_fma_f64 v[108:109], v[26:27], v[38:39], -v[108:109]
	s_wait_dscnt 0x1
	v_mul_f64_e32 v[92:93], v[60:61], v[68:69]
	v_mul_f64_e32 v[94:95], v[58:59], v[68:69]
	s_wait_dscnt 0x0
	v_mul_f64_e32 v[96:97], v[60:61], v[72:73]
	v_mul_f64_e32 v[98:99], v[58:59], v[72:73]
	;; [unrolled: 1-line block ×6, first 2 shown]
	v_fmac_f64_e32 v[112:113], v[28:29], v[38:39]
	v_fma_f64 v[124:125], v[42:43], v[34:35], -v[124:125]
	v_fmac_f64_e32 v[128:129], v[44:45], v[34:35]
	v_fma_f64 v[126:127], v[42:43], v[38:39], -v[36:37]
	v_fmac_f64_e32 v[130:131], v[44:45], v[38:39]
	ds_load_b128 v[2:5], v47 offset:96
	ds_load_b128 v[48:51], v46 offset:3072
	;; [unrolled: 1-line block ×4, first 2 shown]
	v_add_f64_e32 v[56:57], v[56:57], v[40:41]
	v_add_f64_e32 v[84:85], v[104:105], v[84:85]
	;; [unrolled: 1-line block ×8, first 2 shown]
	ds_load_b128 v[26:29], v47 offset:112
	ds_load_b128 v[34:37], v47 offset:2160
	;; [unrolled: 1-line block ×4, first 2 shown]
	s_wait_dscnt 0x0
	v_mul_f64_e32 v[102:103], v[4:5], v[50:51]
	v_mul_f64_e32 v[104:105], v[2:3], v[50:51]
	;; [unrolled: 1-line block ×8, first 2 shown]
	v_fma_f64 v[92:93], v[58:59], v[66:67], -v[92:93]
	v_fmac_f64_e32 v[94:95], v[60:61], v[66:67]
	v_fma_f64 v[58:59], v[58:59], v[70:71], -v[96:97]
	v_fmac_f64_e32 v[98:99], v[60:61], v[70:71]
	;; [unrolled: 2-line block ×4, first 2 shown]
	s_barrier_signal -1
	s_barrier_wait -1
	v_mul_f64_e32 v[96:97], v[26:27], v[44:45]
	v_add_f64_e32 v[56:57], v[56:57], v[100:101]
	v_add_f64_e32 v[64:65], v[106:107], v[84:85]
	;; [unrolled: 1-line block ×8, first 2 shown]
	v_mul_f64_e32 v[86:87], v[28:29], v[40:41]
	v_mul_f64_e32 v[88:89], v[26:27], v[40:41]
	;; [unrolled: 1-line block ×7, first 2 shown]
	v_fma_f64 v[44:45], v[2:3], v[48:49], -v[102:103]
	v_fmac_f64_e32 v[104:105], v[4:5], v[48:49]
	v_fma_f64 v[2:3], v[2:3], v[52:53], -v[110:111]
	v_fmac_f64_e32 v[114:115], v[4:5], v[52:53]
	;; [unrolled: 2-line block ×4, first 2 shown]
	v_fmac_f64_e32 v[96:97], v[28:29], v[42:43]
	v_add_f64_e32 v[52:53], v[56:57], v[92:93]
	v_add_f64_e32 v[56:57], v[94:95], v[64:65]
	;; [unrolled: 1-line block ×8, first 2 shown]
	v_fma_f64 v[70:71], v[26:27], v[38:39], -v[86:87]
	v_fmac_f64_e32 v[88:89], v[28:29], v[38:39]
	v_fma_f64 v[26:27], v[26:27], v[42:43], -v[90:91]
	v_fma_f64 v[28:29], v[34:35], v[38:39], -v[100:101]
	v_fmac_f64_e32 v[106:107], v[36:37], v[38:39]
	v_fma_f64 v[72:73], v[34:35], v[42:43], -v[40:41]
	v_fmac_f64_e32 v[108:109], v[36:37], v[42:43]
	v_add_f64_e32 v[34:35], v[52:53], v[44:45]
	v_add_f64_e32 v[36:37], v[104:105], v[56:57]
	;; [unrolled: 1-line block ×16, first 2 shown]
	s_cbranch_vccz .LBB569_19
.LBB569_10:                             ;   Parent Loop BB569_7 Depth=1
                                        ; =>  This Inner Loop Header: Depth=2
	s_mov_b32 s24, 0
	s_mov_b32 s43, s36
	s_and_saveexec_b32 s25, s0
	s_cbranch_execnz .LBB569_16
; %bb.11:                               ;   in Loop: Header=BB569_10 Depth=2
	s_or_b32 exec_lo, exec_lo, s25
	s_and_saveexec_b32 s25, s43
	s_delay_alu instid0(SALU_CYCLE_1)
	s_xor_b32 s25, exec_lo, s25
	s_cbranch_execnz .LBB569_17
.LBB569_12:                             ;   in Loop: Header=BB569_10 Depth=2
	s_or_b32 exec_lo, exec_lo, s25
	s_and_saveexec_b32 s25, s24
	s_cbranch_execz .LBB569_14
.LBB569_13:                             ;   in Loop: Header=BB569_10 Depth=2
	v_mul_u64_e32 v[2:3], s[16:17], v[22:23]
	s_delay_alu instid0(VALU_DEP_1)
	v_lshl_add_u64 v[2:3], v[2:3], 4, v[30:31]
	flat_load_b128 v[2:5], v[2:3]
	s_wait_loadcnt_dscnt 0x0
	ds_store_2addr_b64 v7, v[2:3], v[4:5] offset1:1
.LBB569_14:                             ;   in Loop: Header=BB569_10 Depth=2
	s_wait_xcnt 0x0
	s_or_b32 exec_lo, exec_lo, s25
	v_add_nc_u32_e32 v0, s18, v6
	v_mov_b64_e32 v[2:3], 0
	v_mov_b64_e32 v[4:5], 0
	s_delay_alu instid0(VALU_DEP_3) | instskip(SKIP_1) | instid1(SALU_CYCLE_1)
	v_cmp_gt_u64_e32 vcc_lo, s[8:9], v[0:1]
	s_and_b32 s25, vcc_lo, s1
	s_and_saveexec_b32 s24, s25
	s_cbranch_execz .LBB569_9
; %bb.15:                               ;   in Loop: Header=BB569_10 Depth=2
	v_mul_u64_e32 v[2:3], s[22:23], v[0:1]
	s_delay_alu instid0(VALU_DEP_1)
	v_lshl_add_u64 v[2:3], v[2:3], 4, v[32:33]
	flat_load_b128 v[2:5], v[2:3]
	s_wait_loadcnt_dscnt 0x0
	v_xor_b32_e32 v5, 0x80000000, v5
	s_branch .LBB569_9
.LBB569_16:                             ;   in Loop: Header=BB569_10 Depth=2
	v_add_nc_u32_e32 v0, s18, v8
	s_and_not1_b32 s43, s36, exec_lo
	s_mov_b32 s24, exec_lo
	s_delay_alu instid0(VALU_DEP_1) | instskip(SKIP_2) | instid1(SALU_CYCLE_1)
	v_cmp_le_u64_e32 vcc_lo, s[8:9], v[0:1]
	v_mov_b64_e32 v[22:23], v[0:1]
	s_and_b32 s44, vcc_lo, exec_lo
	s_or_b32 s43, s43, s44
	s_or_b32 exec_lo, exec_lo, s25
	s_and_saveexec_b32 s25, s43
	s_delay_alu instid0(SALU_CYCLE_1)
	s_xor_b32 s25, exec_lo, s25
	s_cbranch_execz .LBB569_12
.LBB569_17:                             ;   in Loop: Header=BB569_10 Depth=2
	v_dual_mov_b32 v0, v1 :: v_dual_mov_b32 v2, v1
	v_mov_b32_e32 v3, v1
	s_and_not1_b32 s24, s24, exec_lo
	ds_store_b128 v7, v[0:3]
	s_or_b32 exec_lo, exec_lo, s25
	s_and_saveexec_b32 s25, s24
	s_cbranch_execnz .LBB569_13
	s_branch .LBB569_14
.LBB569_18:                             ;   in Loop: Header=BB569_7 Depth=1
	v_mov_b64_e32 v[44:45], 0
	v_mov_b64_e32 v[38:39], 0
	;; [unrolled: 1-line block ×7, first 2 shown]
.LBB569_19:                             ;   in Loop: Header=BB569_7 Depth=1
	s_wait_loadcnt 0x0
	v_add_nc_u64_e32 v[24:25], s[6:7], v[24:25]
	s_delay_alu instid0(VALU_DEP_1)
	v_lshl_add_u64 v[30:31], v[14:15], 4, v[24:25]
	s_wait_xcnt 0x0
	s_and_saveexec_b32 s18, s38
	s_cbranch_execz .LBB569_24
; %bb.20:                               ;   in Loop: Header=BB569_7 Depth=1
	v_mul_f64_e32 v[2:3], s[12:13], v[44:45]
	v_mul_f64_e32 v[4:5], s[10:11], v[44:45]
	v_lshl_add_u64 v[32:33], v[18:19], 4, v[30:31]
	s_and_b32 vcc_lo, exec_lo, s37
	s_mov_b32 s19, -1
	s_delay_alu instid0(VALU_DEP_3) | instskip(NEXT) | instid1(VALU_DEP_3)
	v_fma_f64 v[2:3], s[10:11], v[42:43], -v[2:3]
	v_fmac_f64_e32 v[4:5], s[12:13], v[42:43]
	s_cbranch_vccz .LBB569_22
; %bb.21:                               ;   in Loop: Header=BB569_7 Depth=1
	flat_load_b128 v[42:45], v[32:33]
	s_mov_b32 s19, 0
	s_wait_loadcnt_dscnt 0x0
	v_mul_f64_e32 v[48:49], s[28:29], v[44:45]
	v_mul_f64_e32 v[44:45], s[26:27], v[44:45]
	s_delay_alu instid0(VALU_DEP_2) | instskip(NEXT) | instid1(VALU_DEP_2)
	v_fma_f64 v[48:49], s[26:27], v[42:43], -v[48:49]
	v_fmac_f64_e32 v[44:45], s[28:29], v[42:43]
	s_delay_alu instid0(VALU_DEP_2) | instskip(NEXT) | instid1(VALU_DEP_2)
	v_add_f64_e32 v[42:43], v[2:3], v[48:49]
	v_add_f64_e32 v[44:45], v[4:5], v[44:45]
	flat_store_b128 v[32:33], v[42:45]
.LBB569_22:                             ;   in Loop: Header=BB569_7 Depth=1
	s_and_not1_b32 vcc_lo, exec_lo, s19
	s_cbranch_vccnz .LBB569_24
; %bb.23:                               ;   in Loop: Header=BB569_7 Depth=1
	flat_store_b128 v[32:33], v[2:5]
.LBB569_24:                             ;   in Loop: Header=BB569_7 Depth=1
	s_wait_xcnt 0x0
	s_or_b32 exec_lo, exec_lo, s18
	s_and_saveexec_b32 s18, s39
	s_cbranch_execz .LBB569_29
; %bb.25:                               ;   in Loop: Header=BB569_7 Depth=1
	v_mul_f64_e32 v[2:3], s[12:13], v[40:41]
	v_mul_f64_e32 v[4:5], s[10:11], v[40:41]
	v_lshl_add_u64 v[30:31], v[20:21], 4, v[30:31]
	s_and_not1_b32 vcc_lo, exec_lo, s37
	s_mov_b32 s19, -1
	s_delay_alu instid0(VALU_DEP_3) | instskip(NEXT) | instid1(VALU_DEP_3)
	v_fma_f64 v[2:3], s[10:11], v[38:39], -v[2:3]
	v_fmac_f64_e32 v[4:5], s[12:13], v[38:39]
	s_cbranch_vccnz .LBB569_27
; %bb.26:                               ;   in Loop: Header=BB569_7 Depth=1
	flat_load_b128 v[38:41], v[30:31]
	s_mov_b32 s19, 0
	s_wait_loadcnt_dscnt 0x0
	v_mul_f64_e32 v[32:33], s[28:29], v[40:41]
	v_mul_f64_e32 v[40:41], s[26:27], v[40:41]
	s_delay_alu instid0(VALU_DEP_2) | instskip(NEXT) | instid1(VALU_DEP_2)
	v_fma_f64 v[32:33], s[26:27], v[38:39], -v[32:33]
	v_fmac_f64_e32 v[40:41], s[28:29], v[38:39]
	s_delay_alu instid0(VALU_DEP_2) | instskip(NEXT) | instid1(VALU_DEP_2)
	v_add_f64_e32 v[38:39], v[2:3], v[32:33]
	v_add_f64_e32 v[40:41], v[4:5], v[40:41]
	flat_store_b128 v[30:31], v[38:41]
.LBB569_27:                             ;   in Loop: Header=BB569_7 Depth=1
	s_and_not1_b32 vcc_lo, exec_lo, s19
	s_cbranch_vccnz .LBB569_29
; %bb.28:                               ;   in Loop: Header=BB569_7 Depth=1
	flat_store_b128 v[30:31], v[2:5]
.LBB569_29:                             ;   in Loop: Header=BB569_7 Depth=1
	s_wait_xcnt 0x0
	s_or_b32 exec_lo, exec_lo, s18
	v_lshl_add_u64 v[24:25], v[16:17], 4, v[24:25]
	s_and_saveexec_b32 s18, s40
	s_cbranch_execz .LBB569_34
; %bb.30:                               ;   in Loop: Header=BB569_7 Depth=1
	v_mul_f64_e32 v[2:3], s[12:13], v[36:37]
	v_mul_f64_e32 v[4:5], s[10:11], v[36:37]
	v_lshl_add_u64 v[30:31], v[18:19], 4, v[24:25]
	s_and_not1_b32 vcc_lo, exec_lo, s37
	s_mov_b32 s19, -1
	s_delay_alu instid0(VALU_DEP_3) | instskip(NEXT) | instid1(VALU_DEP_3)
	v_fma_f64 v[2:3], s[10:11], v[34:35], -v[2:3]
	v_fmac_f64_e32 v[4:5], s[12:13], v[34:35]
	s_cbranch_vccnz .LBB569_32
; %bb.31:                               ;   in Loop: Header=BB569_7 Depth=1
	flat_load_b128 v[32:35], v[30:31]
	s_mov_b32 s19, 0
	s_wait_loadcnt_dscnt 0x0
	v_mul_f64_e32 v[36:37], s[28:29], v[34:35]
	v_mul_f64_e32 v[34:35], s[26:27], v[34:35]
	s_delay_alu instid0(VALU_DEP_2) | instskip(NEXT) | instid1(VALU_DEP_2)
	v_fma_f64 v[36:37], s[26:27], v[32:33], -v[36:37]
	v_fmac_f64_e32 v[34:35], s[28:29], v[32:33]
	s_delay_alu instid0(VALU_DEP_2) | instskip(NEXT) | instid1(VALU_DEP_2)
	v_add_f64_e32 v[32:33], v[2:3], v[36:37]
	v_add_f64_e32 v[34:35], v[4:5], v[34:35]
	flat_store_b128 v[30:31], v[32:35]
.LBB569_32:                             ;   in Loop: Header=BB569_7 Depth=1
	s_and_not1_b32 vcc_lo, exec_lo, s19
	s_cbranch_vccnz .LBB569_34
; %bb.33:                               ;   in Loop: Header=BB569_7 Depth=1
	flat_store_b128 v[30:31], v[2:5]
.LBB569_34:                             ;   in Loop: Header=BB569_7 Depth=1
	s_wait_xcnt 0x0
	s_or_b32 exec_lo, exec_lo, s18
	s_and_saveexec_b32 s18, s41
	s_cbranch_execz .LBB569_6
; %bb.35:                               ;   in Loop: Header=BB569_7 Depth=1
	s_delay_alu instid0(VALU_DEP_4) | instskip(SKIP_4) | instid1(VALU_DEP_3)
	v_mul_f64_e32 v[2:3], s[12:13], v[26:27]
	v_mul_f64_e32 v[4:5], s[10:11], v[26:27]
	v_lshl_add_u64 v[24:25], v[20:21], 4, v[24:25]
	s_and_not1_b32 vcc_lo, exec_lo, s37
	s_mov_b32 s19, -1
	v_fma_f64 v[2:3], s[10:11], v[28:29], -v[2:3]
	s_delay_alu instid0(VALU_DEP_3)
	v_fmac_f64_e32 v[4:5], s[12:13], v[28:29]
	s_cbranch_vccnz .LBB569_37
; %bb.36:                               ;   in Loop: Header=BB569_7 Depth=1
	flat_load_b128 v[26:29], v[24:25]
	s_mov_b32 s19, 0
	s_wait_loadcnt_dscnt 0x0
	v_mul_f64_e32 v[30:31], s[28:29], v[28:29]
	v_mul_f64_e32 v[28:29], s[26:27], v[28:29]
	s_delay_alu instid0(VALU_DEP_2) | instskip(NEXT) | instid1(VALU_DEP_2)
	v_fma_f64 v[30:31], s[26:27], v[26:27], -v[30:31]
	v_fmac_f64_e32 v[28:29], s[28:29], v[26:27]
	s_delay_alu instid0(VALU_DEP_2) | instskip(NEXT) | instid1(VALU_DEP_2)
	v_add_f64_e32 v[26:27], v[2:3], v[30:31]
	v_add_f64_e32 v[28:29], v[4:5], v[28:29]
	flat_store_b128 v[24:25], v[26:29]
.LBB569_37:                             ;   in Loop: Header=BB569_7 Depth=1
	s_and_not1_b32 vcc_lo, exec_lo, s19
	s_cbranch_vccnz .LBB569_6
; %bb.38:                               ;   in Loop: Header=BB569_7 Depth=1
	flat_store_b128 v[24:25], v[2:5]
	s_branch .LBB569_6
.LBB569_39:
.LBB569_40:
	s_sendmsg sendmsg(MSG_DEALLOC_VGPRS)
	s_endpgm
	.section	.rodata,"a",@progbits
	.p2align	6, 0x0
	.amdhsa_kernel _ZL29rocblas_internal_gemmt_kernelIlLi16ELi32ELi8ELc78ELc67ELc76ELb0ELb1E19rocblas_complex_numIdES1_PKPKS1_PKPS1_EviT_T9_T10_S9_lSB_S9_lSA_T11_S9_li
		.amdhsa_group_segment_fixed_size 8192
		.amdhsa_private_segment_fixed_size 0
		.amdhsa_kernarg_size 124
		.amdhsa_user_sgpr_count 2
		.amdhsa_user_sgpr_dispatch_ptr 0
		.amdhsa_user_sgpr_queue_ptr 0
		.amdhsa_user_sgpr_kernarg_segment_ptr 1
		.amdhsa_user_sgpr_dispatch_id 0
		.amdhsa_user_sgpr_kernarg_preload_length 0
		.amdhsa_user_sgpr_kernarg_preload_offset 0
		.amdhsa_user_sgpr_private_segment_size 0
		.amdhsa_wavefront_size32 1
		.amdhsa_uses_dynamic_stack 0
		.amdhsa_enable_private_segment 0
		.amdhsa_system_sgpr_workgroup_id_x 1
		.amdhsa_system_sgpr_workgroup_id_y 1
		.amdhsa_system_sgpr_workgroup_id_z 1
		.amdhsa_system_sgpr_workgroup_info 0
		.amdhsa_system_vgpr_workitem_id 1
		.amdhsa_next_free_vgpr 134
		.amdhsa_next_free_sgpr 45
		.amdhsa_named_barrier_count 0
		.amdhsa_reserve_vcc 1
		.amdhsa_float_round_mode_32 0
		.amdhsa_float_round_mode_16_64 0
		.amdhsa_float_denorm_mode_32 3
		.amdhsa_float_denorm_mode_16_64 3
		.amdhsa_fp16_overflow 0
		.amdhsa_memory_ordered 1
		.amdhsa_forward_progress 1
		.amdhsa_inst_pref_size 24
		.amdhsa_round_robin_scheduling 0
		.amdhsa_exception_fp_ieee_invalid_op 0
		.amdhsa_exception_fp_denorm_src 0
		.amdhsa_exception_fp_ieee_div_zero 0
		.amdhsa_exception_fp_ieee_overflow 0
		.amdhsa_exception_fp_ieee_underflow 0
		.amdhsa_exception_fp_ieee_inexact 0
		.amdhsa_exception_int_div_zero 0
	.end_amdhsa_kernel
	.section	.text._ZL29rocblas_internal_gemmt_kernelIlLi16ELi32ELi8ELc78ELc67ELc76ELb0ELb1E19rocblas_complex_numIdES1_PKPKS1_PKPS1_EviT_T9_T10_S9_lSB_S9_lSA_T11_S9_li,"axG",@progbits,_ZL29rocblas_internal_gemmt_kernelIlLi16ELi32ELi8ELc78ELc67ELc76ELb0ELb1E19rocblas_complex_numIdES1_PKPKS1_PKPS1_EviT_T9_T10_S9_lSB_S9_lSA_T11_S9_li,comdat
.Lfunc_end569:
	.size	_ZL29rocblas_internal_gemmt_kernelIlLi16ELi32ELi8ELc78ELc67ELc76ELb0ELb1E19rocblas_complex_numIdES1_PKPKS1_PKPS1_EviT_T9_T10_S9_lSB_S9_lSA_T11_S9_li, .Lfunc_end569-_ZL29rocblas_internal_gemmt_kernelIlLi16ELi32ELi8ELc78ELc67ELc76ELb0ELb1E19rocblas_complex_numIdES1_PKPKS1_PKPS1_EviT_T9_T10_S9_lSB_S9_lSA_T11_S9_li
                                        ; -- End function
	.set _ZL29rocblas_internal_gemmt_kernelIlLi16ELi32ELi8ELc78ELc67ELc76ELb0ELb1E19rocblas_complex_numIdES1_PKPKS1_PKPS1_EviT_T9_T10_S9_lSB_S9_lSA_T11_S9_li.num_vgpr, 134
	.set _ZL29rocblas_internal_gemmt_kernelIlLi16ELi32ELi8ELc78ELc67ELc76ELb0ELb1E19rocblas_complex_numIdES1_PKPKS1_PKPS1_EviT_T9_T10_S9_lSB_S9_lSA_T11_S9_li.num_agpr, 0
	.set _ZL29rocblas_internal_gemmt_kernelIlLi16ELi32ELi8ELc78ELc67ELc76ELb0ELb1E19rocblas_complex_numIdES1_PKPKS1_PKPS1_EviT_T9_T10_S9_lSB_S9_lSA_T11_S9_li.numbered_sgpr, 45
	.set _ZL29rocblas_internal_gemmt_kernelIlLi16ELi32ELi8ELc78ELc67ELc76ELb0ELb1E19rocblas_complex_numIdES1_PKPKS1_PKPS1_EviT_T9_T10_S9_lSB_S9_lSA_T11_S9_li.num_named_barrier, 0
	.set _ZL29rocblas_internal_gemmt_kernelIlLi16ELi32ELi8ELc78ELc67ELc76ELb0ELb1E19rocblas_complex_numIdES1_PKPKS1_PKPS1_EviT_T9_T10_S9_lSB_S9_lSA_T11_S9_li.private_seg_size, 0
	.set _ZL29rocblas_internal_gemmt_kernelIlLi16ELi32ELi8ELc78ELc67ELc76ELb0ELb1E19rocblas_complex_numIdES1_PKPKS1_PKPS1_EviT_T9_T10_S9_lSB_S9_lSA_T11_S9_li.uses_vcc, 1
	.set _ZL29rocblas_internal_gemmt_kernelIlLi16ELi32ELi8ELc78ELc67ELc76ELb0ELb1E19rocblas_complex_numIdES1_PKPKS1_PKPS1_EviT_T9_T10_S9_lSB_S9_lSA_T11_S9_li.uses_flat_scratch, 0
	.set _ZL29rocblas_internal_gemmt_kernelIlLi16ELi32ELi8ELc78ELc67ELc76ELb0ELb1E19rocblas_complex_numIdES1_PKPKS1_PKPS1_EviT_T9_T10_S9_lSB_S9_lSA_T11_S9_li.has_dyn_sized_stack, 0
	.set _ZL29rocblas_internal_gemmt_kernelIlLi16ELi32ELi8ELc78ELc67ELc76ELb0ELb1E19rocblas_complex_numIdES1_PKPKS1_PKPS1_EviT_T9_T10_S9_lSB_S9_lSA_T11_S9_li.has_recursion, 0
	.set _ZL29rocblas_internal_gemmt_kernelIlLi16ELi32ELi8ELc78ELc67ELc76ELb0ELb1E19rocblas_complex_numIdES1_PKPKS1_PKPS1_EviT_T9_T10_S9_lSB_S9_lSA_T11_S9_li.has_indirect_call, 0
	.section	.AMDGPU.csdata,"",@progbits
; Kernel info:
; codeLenInByte = 2996
; TotalNumSgprs: 47
; NumVgprs: 134
; ScratchSize: 0
; MemoryBound: 1
; FloatMode: 240
; IeeeMode: 1
; LDSByteSize: 8192 bytes/workgroup (compile time only)
; SGPRBlocks: 0
; VGPRBlocks: 8
; NumSGPRsForWavesPerEU: 47
; NumVGPRsForWavesPerEU: 134
; NamedBarCnt: 0
; Occupancy: 7
; WaveLimiterHint : 1
; COMPUTE_PGM_RSRC2:SCRATCH_EN: 0
; COMPUTE_PGM_RSRC2:USER_SGPR: 2
; COMPUTE_PGM_RSRC2:TRAP_HANDLER: 0
; COMPUTE_PGM_RSRC2:TGID_X_EN: 1
; COMPUTE_PGM_RSRC2:TGID_Y_EN: 1
; COMPUTE_PGM_RSRC2:TGID_Z_EN: 1
; COMPUTE_PGM_RSRC2:TIDIG_COMP_CNT: 1
	.section	.text._ZL29rocblas_internal_gemmt_kernelIlLi16ELi32ELi8ELc84ELc78ELc76ELb0ELb0E19rocblas_complex_numIdES1_PKPKS1_PKPS1_EviT_T9_T10_S9_lSB_S9_lSA_T11_S9_li,"axG",@progbits,_ZL29rocblas_internal_gemmt_kernelIlLi16ELi32ELi8ELc84ELc78ELc76ELb0ELb0E19rocblas_complex_numIdES1_PKPKS1_PKPS1_EviT_T9_T10_S9_lSB_S9_lSA_T11_S9_li,comdat
	.globl	_ZL29rocblas_internal_gemmt_kernelIlLi16ELi32ELi8ELc84ELc78ELc76ELb0ELb0E19rocblas_complex_numIdES1_PKPKS1_PKPS1_EviT_T9_T10_S9_lSB_S9_lSA_T11_S9_li ; -- Begin function _ZL29rocblas_internal_gemmt_kernelIlLi16ELi32ELi8ELc84ELc78ELc76ELb0ELb0E19rocblas_complex_numIdES1_PKPKS1_PKPS1_EviT_T9_T10_S9_lSB_S9_lSA_T11_S9_li
	.p2align	8
	.type	_ZL29rocblas_internal_gemmt_kernelIlLi16ELi32ELi8ELc84ELc78ELc76ELb0ELb0E19rocblas_complex_numIdES1_PKPKS1_PKPS1_EviT_T9_T10_S9_lSB_S9_lSA_T11_S9_li,@function
_ZL29rocblas_internal_gemmt_kernelIlLi16ELi32ELi8ELc84ELc78ELc76ELb0ELb0E19rocblas_complex_numIdES1_PKPKS1_PKPS1_EviT_T9_T10_S9_lSB_S9_lSA_T11_S9_li: ; @_ZL29rocblas_internal_gemmt_kernelIlLi16ELi32ELi8ELc84ELc78ELc76ELb0ELb0E19rocblas_complex_numIdES1_PKPKS1_PKPS1_EviT_T9_T10_S9_lSB_S9_lSA_T11_S9_li
; %bb.0:
	s_clause 0x1
	s_load_b256 s[24:31], s[0:1], 0x48
	s_load_b512 s[8:23], s[0:1], 0x8
	s_wait_kmcnt 0x0
	v_cmp_eq_f64_e64 s3, s[26:27], 1.0
	v_cmp_eq_f64_e64 s2, s[28:29], 0
	s_and_b32 s3, s3, s2
	s_delay_alu instid0(SALU_CYCLE_1)
	s_and_not1_b32 vcc_lo, exec_lo, s3
	s_mov_b32 s3, -1
	s_cbranch_vccnz .LBB570_3
; %bb.1:
	s_cmp_lg_u64 s[8:9], 0
	s_cbranch_scc0 .LBB570_41
; %bb.2:
	v_cmp_neq_f64_e64 s3, s[10:11], 0
	v_cmp_neq_f64_e64 s4, s[12:13], 0
	s_or_b32 s3, s3, s4
.LBB570_3:
	s_delay_alu instid0(SALU_CYCLE_1)
	s_and_b32 vcc_lo, exec_lo, s3
	s_cbranch_vccz .LBB570_42
; %bb.4:
	s_load_b32 s33, s[0:1], 0x78
	s_bfe_u32 s3, ttmp6, 0x40014
	s_lshr_b32 s4, ttmp7, 16
	s_add_co_i32 s3, s3, 1
	s_bfe_u32 s6, ttmp6, 0x40008
	s_mul_i32 s5, s4, s3
	s_getreg_b32 s3, hwreg(HW_REG_IB_STS2, 6, 4)
	s_add_co_i32 s6, s6, s5
	s_cmp_eq_u32 s3, 0
	s_mov_b32 s35, 0
	s_cselect_b32 s34, s4, s6
	s_wait_kmcnt 0x0
	s_cmp_ge_u32 s34, s33
	s_cbranch_scc1 .LBB570_42
; %bb.5:
	v_and_b32_e32 v19, 0x3ff, v0
	v_bfe_u32 v21, v0, 10, 10
	s_clause 0x1
	s_load_b128 s[4:7], s[0:1], 0x68
	s_load_b32 s38, s[0:1], 0x0
	s_wait_xcnt 0x0
	s_bfe_u32 s1, ttmp6, 0x4000c
	s_bfe_u32 s40, ttmp6, 0x40010
	s_and_b32 s39, ttmp7, 0xffff
	s_add_co_i32 s1, s1, 1
	s_add_co_i32 s40, s40, 1
	v_lshl_add_u32 v1, v21, 4, v19
	s_and_b32 s0, ttmp6, 15
	s_bfe_u32 s41, ttmp6, 0x40004
	s_mul_i32 s1, ttmp9, s1
	s_mul_i32 s40, s39, s40
	s_add_co_i32 s0, s0, s1
	s_add_co_i32 s41, s41, s40
	s_cmp_eq_u32 s3, 0
	v_dual_lshrrev_b32 v8, 5, v1 :: v_dual_bitop2_b32 v3, 31, v1 bitop3:0x40
	s_cselect_b32 s1, s39, s41
	s_cselect_b32 s0, ttmp9, s0
	v_dual_lshrrev_b32 v7, 3, v1 :: v_dual_bitop2_b32 v6, 7, v0 bitop3:0x40
	s_lshl_b32 s39, s0, 5
	s_lshl_b32 s0, s1, 5
	s_delay_alu instid0(SALU_CYCLE_1) | instskip(NEXT) | instid1(VALU_DEP_2)
	v_dual_add_nc_u32 v2, s0, v21 :: v_dual_bitop2_b32 v0, s39, v3 bitop3:0x54
	v_add_nc_u32_e32 v4, s0, v7
	v_cmp_neq_f64_e64 s36, s[10:11], 0
	v_cmp_neq_f64_e64 s37, s[12:13], 0
	;; [unrolled: 1-line block ×3, first 2 shown]
	v_dual_add_nc_u32 v22, 16, v2 :: v_dual_lshlrev_b32 v9, 4, v3
	v_ashrrev_i32_e32 v1, 31, v0
	v_dual_ashrrev_i32 v5, 31, v4 :: v_dual_ashrrev_i32 v3, 31, v2
	s_delay_alu instid0(VALU_DEP_3) | instskip(SKIP_1) | instid1(VALU_DEP_4)
	v_ashrrev_i32_e32 v23, 31, v22
	v_dual_lshlrev_b32 v18, 4, v6 :: v_dual_lshlrev_b32 v44, 4, v19
	v_mul_u64_e32 v[10:11], s[16:17], v[0:1]
	s_delay_alu instid0(VALU_DEP_4)
	v_mul_u64_e32 v[12:13], s[22:23], v[4:5]
	s_wait_kmcnt 0x0
	v_mul_u64_e32 v[14:15], s[4:5], v[2:3]
	v_lshl_or_b32 v1, v7, 7, v18
	v_add_nc_u32_e32 v18, s39, v19
	v_mul_u64_e32 v[16:17], s[4:5], v[22:23]
	s_xor_b32 s4, s2, -1
	v_cmp_gt_i64_e64 s42, s[8:9], 0
	v_cmp_gt_i32_e32 vcc_lo, s38, v4
	v_dual_add_nc_u32 v20, 16, v18 :: v_dual_ashrrev_i32 v19, 31, v18
	v_cmp_le_i32_e64 s1, v2, v18
	v_cmp_gt_i32_e64 s2, s38, v18
	v_cmp_gt_i32_e64 s0, s38, v0
	s_delay_alu instid0(VALU_DEP_4)
	v_cmp_le_i32_e64 s5, v22, v20
	v_cmp_le_i32_e64 s22, s38, v0
	v_lshl_or_b32 v7, v8, 9, v9
	v_add_nc_u32_e32 v9, 0x1000, v1
	v_lshl_add_u32 v45, v21, 7, 0x1000
	v_dual_ashrrev_i32 v21, 31, v20 :: v_dual_mov_b32 v1, 0
	s_lshl_b64 s[6:7], s[6:7], 4
	s_or_b32 s40, s36, s37
	s_or_b32 s23, s3, s4
	v_cmp_le_i32_e64 s3, v2, v20
	v_cmp_gt_i32_e64 s4, s38, v20
	s_and_b32 s36, s1, s2
	v_cmp_le_i32_e64 s1, v22, v18
	s_and_b32 s39, s40, s42
                                        ; implicit-def: $vgpr22_vgpr23
	s_and_b32 s37, s3, s4
	s_and_b32 s38, s5, s4
	;; [unrolled: 1-line block ×3, first 2 shown]
	s_lshl_b64 s[2:3], s[24:25], 4
	s_lshl_b64 s[4:5], s[18:19], 4
	s_xor_b32 s18, vcc_lo, -1
	s_branch .LBB570_7
.LBB570_6:                              ;   in Loop: Header=BB570_7 Depth=1
	s_wait_xcnt 0x0
	s_or_b32 exec_lo, exec_lo, s16
	s_add_co_i32 s34, s34, 0x10000
	s_delay_alu instid0(SALU_CYCLE_1)
	s_cmp_lt_u32 s34, s33
	s_cbranch_scc0 .LBB570_42
.LBB570_7:                              ; =>This Loop Header: Depth=1
                                        ;     Child Loop BB570_10 Depth 2
	v_mov_b32_e32 v0, s34
	v_mov_b64_e32 v[40:41], 0
	s_and_not1_b32 vcc_lo, exec_lo, s39
	global_load_b64 v[4:5], v0, s[30:31] scale_offset
	s_cbranch_vccnz .LBB570_20
; %bb.8:                                ;   in Loop: Header=BB570_7 Depth=1
	s_lshl_b64 s[16:17], s[34:35], 3
	v_mov_b64_e32 v[24:25], 0
	s_add_nc_u64 s[24:25], s[14:15], s[16:17]
	s_add_nc_u64 s[16:17], s[20:21], s[16:17]
	s_clause 0x1
	global_load_b64 v[2:3], v1, s[24:25]
	global_load_b64 v[28:29], v1, s[16:17]
	v_mov_b64_e32 v[26:27], 0
	v_mov_b64_e32 v[34:35], 0
	;; [unrolled: 1-line block ×7, first 2 shown]
	s_wait_xcnt 0x0
	s_mov_b64 s[16:17], 0
	s_wait_loadcnt 0x1
	v_add_nc_u64_e32 v[2:3], s[4:5], v[2:3]
	s_wait_loadcnt 0x0
	v_add_nc_u64_e32 v[30:31], s[2:3], v[28:29]
	s_delay_alu instid0(VALU_DEP_2) | instskip(NEXT) | instid1(VALU_DEP_2)
	v_lshl_add_u64 v[28:29], v[10:11], 4, v[2:3]
	v_lshl_add_u64 v[30:31], v[12:13], 4, v[30:31]
	s_branch .LBB570_10
.LBB570_9:                              ;   in Loop: Header=BB570_10 Depth=2
	s_wait_xcnt 0x0
	s_or_b32 exec_lo, exec_lo, s19
	s_wait_dscnt 0x0
	s_barrier_signal -1
	s_barrier_wait -1
	ds_load_b128 v[46:49], v45
	ds_load_b128 v[50:53], v44
	ds_load_b128 v[54:57], v44 offset:256
	ds_load_b128 v[58:61], v45 offset:2048
	;; [unrolled: 1-line block ×10, first 2 shown]
	s_add_nc_u64 s[16:17], s[16:17], 8
	s_delay_alu instid0(SALU_CYCLE_1)
	v_cmp_gt_i64_e64 s19, s[8:9], s[16:17]
	s_and_b32 vcc_lo, exec_lo, s19
	s_wait_dscnt 0xa
	v_mul_f64_e32 v[2:3], v[48:49], v[52:53]
	v_mul_f64_e32 v[94:95], v[46:47], v[52:53]
	s_wait_dscnt 0x9
	v_mul_f64_e32 v[96:97], v[48:49], v[56:57]
	v_mul_f64_e32 v[98:99], v[46:47], v[56:57]
	s_wait_dscnt 0x8
	v_mul_f64_e32 v[100:101], v[60:61], v[52:53]
	v_mul_f64_e32 v[102:103], v[58:59], v[52:53]
	v_mul_f64_e32 v[52:53], v[60:61], v[56:57]
	v_mul_f64_e32 v[104:105], v[58:59], v[56:57]
	s_wait_dscnt 0x6
	v_mul_f64_e32 v[106:107], v[64:65], v[68:69]
	v_mul_f64_e32 v[108:109], v[62:63], v[68:69]
	s_wait_dscnt 0x5
	v_mul_f64_e32 v[110:111], v[64:65], v[72:73]
	v_mul_f64_e32 v[112:113], v[62:63], v[72:73]
	s_wait_dscnt 0x4
	v_mul_f64_e32 v[114:115], v[76:77], v[68:69]
	v_mul_f64_e32 v[68:69], v[74:75], v[68:69]
	v_mul_f64_e32 v[116:117], v[76:77], v[72:73]
	v_mul_f64_e32 v[72:73], v[74:75], v[72:73]
	;; [unrolled: 11-line block ×3, first 2 shown]
	v_fma_f64 v[2:3], v[46:47], v[50:51], -v[2:3]
	v_fmac_f64_e32 v[94:95], v[48:49], v[50:51]
	v_fma_f64 v[96:97], v[46:47], v[54:55], -v[96:97]
	v_fmac_f64_e32 v[98:99], v[48:49], v[54:55]
	;; [unrolled: 2-line block ×8, first 2 shown]
	ds_load_b128 v[46:49], v45 offset:48
	ds_load_b128 v[50:53], v45 offset:2096
	;; [unrolled: 1-line block ×4, first 2 shown]
	v_fma_f64 v[120:121], v[78:79], v[82:83], -v[120:121]
	v_fmac_f64_e32 v[122:123], v[80:81], v[82:83]
	v_fma_f64 v[78:79], v[78:79], v[86:87], -v[124:125]
	v_fmac_f64_e32 v[126:127], v[80:81], v[86:87]
	;; [unrolled: 2-line block ×4, first 2 shown]
	v_add_f64_e32 v[2:3], v[40:41], v[2:3]
	v_add_f64_e32 v[70:71], v[94:95], v[42:43]
	;; [unrolled: 1-line block ×8, first 2 shown]
	s_wait_dscnt 0x1
	v_mul_f64_e32 v[102:103], v[48:49], v[56:57]
	v_mul_f64_e32 v[104:105], v[46:47], v[56:57]
	s_wait_dscnt 0x0
	v_mul_f64_e32 v[110:111], v[48:49], v[60:61]
	v_mul_f64_e32 v[114:115], v[46:47], v[60:61]
	;; [unrolled: 1-line block ×6, first 2 shown]
	ds_load_b128 v[24:27], v45 offset:64
	ds_load_b128 v[32:35], v44 offset:2048
	;; [unrolled: 1-line block ×4, first 2 shown]
	v_add_f64_e32 v[2:3], v[2:3], v[106:107]
	v_add_f64_e32 v[86:87], v[108:109], v[70:71]
	;; [unrolled: 1-line block ×8, first 2 shown]
	s_wait_dscnt 0x2
	v_mul_f64_e32 v[100:101], v[26:27], v[34:35]
	v_mul_f64_e32 v[106:107], v[24:25], v[34:35]
	s_wait_dscnt 0x1
	v_mul_f64_e32 v[108:109], v[26:27], v[38:39]
	v_mul_f64_e32 v[112:113], v[24:25], v[38:39]
	;; [unrolled: 3-line block ×3, first 2 shown]
	v_mul_f64_e32 v[34:35], v[42:43], v[38:39]
	v_mul_f64_e32 v[130:131], v[40:41], v[38:39]
	v_fma_f64 v[38:39], v[46:47], v[54:55], -v[102:103]
	v_fmac_f64_e32 v[104:105], v[48:49], v[54:55]
	v_fma_f64 v[102:103], v[46:47], v[58:59], -v[110:111]
	v_fmac_f64_e32 v[114:115], v[48:49], v[58:59]
	;; [unrolled: 2-line block ×4, first 2 shown]
	ds_load_b128 v[60:63], v45 offset:80
	ds_load_b128 v[64:67], v45 offset:2128
	;; [unrolled: 1-line block ×4, first 2 shown]
	v_add_f64_e32 v[2:3], v[2:3], v[120:121]
	v_add_f64_e32 v[58:59], v[122:123], v[86:87]
	;; [unrolled: 1-line block ×8, first 2 shown]
	v_fma_f64 v[100:101], v[24:25], v[32:33], -v[100:101]
	v_fmac_f64_e32 v[106:107], v[26:27], v[32:33]
	v_fma_f64 v[108:109], v[24:25], v[36:37], -v[108:109]
	s_wait_dscnt 0x1
	v_mul_f64_e32 v[92:93], v[62:63], v[70:71]
	v_mul_f64_e32 v[94:95], v[60:61], v[70:71]
	s_wait_dscnt 0x0
	v_mul_f64_e32 v[96:97], v[62:63], v[74:75]
	v_mul_f64_e32 v[98:99], v[60:61], v[74:75]
	;; [unrolled: 1-line block ×6, first 2 shown]
	v_fmac_f64_e32 v[112:113], v[26:27], v[36:37]
	v_fma_f64 v[124:125], v[40:41], v[32:33], -v[124:125]
	v_fmac_f64_e32 v[128:129], v[42:43], v[32:33]
	v_fma_f64 v[126:127], v[40:41], v[36:37], -v[34:35]
	v_fmac_f64_e32 v[130:131], v[42:43], v[36:37]
	ds_load_b128 v[46:49], v45 offset:96
	ds_load_b128 v[50:53], v44 offset:3072
	;; [unrolled: 1-line block ×4, first 2 shown]
	v_add_f64_e32 v[2:3], v[2:3], v[38:39]
	v_add_f64_e32 v[58:59], v[104:105], v[58:59]
	;; [unrolled: 1-line block ×8, first 2 shown]
	ds_load_b128 v[24:27], v45 offset:112
	ds_load_b128 v[32:35], v45 offset:2160
	;; [unrolled: 1-line block ×4, first 2 shown]
	s_wait_dscnt 0x0
	v_mul_f64_e32 v[102:103], v[48:49], v[52:53]
	v_mul_f64_e32 v[104:105], v[46:47], v[52:53]
	;; [unrolled: 1-line block ×8, first 2 shown]
	v_fma_f64 v[92:93], v[60:61], v[68:69], -v[92:93]
	v_fmac_f64_e32 v[94:95], v[62:63], v[68:69]
	v_fma_f64 v[60:61], v[60:61], v[72:73], -v[96:97]
	v_fmac_f64_e32 v[98:99], v[62:63], v[72:73]
	;; [unrolled: 2-line block ×4, first 2 shown]
	s_barrier_signal -1
	s_barrier_wait -1
	v_mul_f64_e32 v[96:97], v[24:25], v[42:43]
	v_add_f64_e32 v[2:3], v[2:3], v[100:101]
	v_add_f64_e32 v[58:59], v[106:107], v[58:59]
	;; [unrolled: 1-line block ×8, first 2 shown]
	v_mul_f64_e32 v[86:87], v[26:27], v[38:39]
	v_mul_f64_e32 v[88:89], v[24:25], v[38:39]
	;; [unrolled: 1-line block ×7, first 2 shown]
	v_fma_f64 v[42:43], v[46:47], v[50:51], -v[102:103]
	v_fmac_f64_e32 v[104:105], v[48:49], v[50:51]
	v_fma_f64 v[46:47], v[46:47], v[54:55], -v[110:111]
	v_fmac_f64_e32 v[114:115], v[48:49], v[54:55]
	;; [unrolled: 2-line block ×4, first 2 shown]
	v_fmac_f64_e32 v[96:97], v[26:27], v[40:41]
	v_add_f64_e32 v[2:3], v[2:3], v[92:93]
	v_add_f64_e32 v[54:55], v[94:95], v[58:59]
	;; [unrolled: 1-line block ×8, first 2 shown]
	v_fma_f64 v[70:71], v[24:25], v[36:37], -v[86:87]
	v_fmac_f64_e32 v[88:89], v[26:27], v[36:37]
	v_fma_f64 v[24:25], v[24:25], v[40:41], -v[90:91]
	v_fma_f64 v[26:27], v[32:33], v[36:37], -v[100:101]
	v_fmac_f64_e32 v[106:107], v[34:35], v[36:37]
	v_fma_f64 v[72:73], v[32:33], v[40:41], -v[38:39]
	v_fmac_f64_e32 v[108:109], v[34:35], v[40:41]
	v_add_f64_e32 v[2:3], v[2:3], v[42:43]
	v_add_f64_e32 v[32:33], v[104:105], v[54:55]
	;; [unrolled: 1-line block ×16, first 2 shown]
	s_cbranch_vccz .LBB570_21
.LBB570_10:                             ;   Parent Loop BB570_7 Depth=1
                                        ; =>  This Inner Loop Header: Depth=2
	s_mov_b32 s19, 0
	s_mov_b32 s25, s22
	s_and_saveexec_b32 s24, s0
	s_cbranch_execnz .LBB570_18
; %bb.11:                               ;   in Loop: Header=BB570_10 Depth=2
	s_or_b32 exec_lo, exec_lo, s24
	s_and_saveexec_b32 s24, s25
	s_delay_alu instid0(SALU_CYCLE_1)
	s_xor_b32 s24, exec_lo, s24
	s_cbranch_execnz .LBB570_19
.LBB570_12:                             ;   in Loop: Header=BB570_10 Depth=2
	s_or_b32 exec_lo, exec_lo, s24
	s_and_saveexec_b32 s24, s19
	s_cbranch_execz .LBB570_14
.LBB570_13:                             ;   in Loop: Header=BB570_10 Depth=2
	v_lshl_add_u64 v[2:3], v[22:23], 4, v[28:29]
	flat_load_b128 v[46:49], v[2:3]
	s_wait_loadcnt_dscnt 0x0
	ds_store_2addr_b64 v7, v[46:47], v[48:49] offset1:1
.LBB570_14:                             ;   in Loop: Header=BB570_10 Depth=2
	s_wait_xcnt 0x0
	s_or_b32 exec_lo, exec_lo, s24
	v_add_nc_u32_e32 v0, s16, v6
	s_delay_alu instid0(VALU_DEP_1) | instskip(SKIP_1) | instid1(SALU_CYCLE_1)
	v_cmp_le_u64_e32 vcc_lo, s[8:9], v[0:1]
	s_or_b32 s19, vcc_lo, s18
	s_and_saveexec_b32 s24, s19
	s_delay_alu instid0(SALU_CYCLE_1)
	s_xor_b32 s19, exec_lo, s24
; %bb.15:                               ;   in Loop: Header=BB570_10 Depth=2
	v_dual_mov_b32 v0, v1 :: v_dual_mov_b32 v2, v1
	v_mov_b32_e32 v3, v1
	ds_store_b128 v9, v[0:3]
; %bb.16:                               ;   in Loop: Header=BB570_10 Depth=2
	s_and_not1_saveexec_b32 s19, s19
	s_cbranch_execz .LBB570_9
; %bb.17:                               ;   in Loop: Header=BB570_10 Depth=2
	v_lshl_add_u64 v[2:3], v[0:1], 4, v[30:31]
	flat_load_b128 v[46:49], v[2:3]
	s_wait_loadcnt_dscnt 0x0
	ds_store_2addr_b64 v9, v[46:47], v[48:49] offset1:1
	s_branch .LBB570_9
.LBB570_18:                             ;   in Loop: Header=BB570_10 Depth=2
	v_add_nc_u32_e32 v0, s16, v8
	s_and_not1_b32 s25, s22, exec_lo
	s_mov_b32 s19, exec_lo
	s_delay_alu instid0(VALU_DEP_1) | instskip(SKIP_2) | instid1(SALU_CYCLE_1)
	v_cmp_le_u64_e32 vcc_lo, s[8:9], v[0:1]
	v_mov_b64_e32 v[22:23], v[0:1]
	s_and_b32 s40, vcc_lo, exec_lo
	s_or_b32 s25, s25, s40
	s_or_b32 exec_lo, exec_lo, s24
	s_and_saveexec_b32 s24, s25
	s_delay_alu instid0(SALU_CYCLE_1)
	s_xor_b32 s24, exec_lo, s24
	s_cbranch_execz .LBB570_12
.LBB570_19:                             ;   in Loop: Header=BB570_10 Depth=2
	v_dual_mov_b32 v0, v1 :: v_dual_mov_b32 v2, v1
	v_mov_b32_e32 v3, v1
	s_and_not1_b32 s19, s19, exec_lo
	ds_store_b128 v7, v[0:3]
	s_or_b32 exec_lo, exec_lo, s24
	s_and_saveexec_b32 s24, s19
	s_cbranch_execnz .LBB570_13
	s_branch .LBB570_14
.LBB570_20:                             ;   in Loop: Header=BB570_7 Depth=1
	v_mov_b64_e32 v[42:43], 0
	v_mov_b64_e32 v[36:37], 0
	;; [unrolled: 1-line block ×7, first 2 shown]
.LBB570_21:                             ;   in Loop: Header=BB570_7 Depth=1
	s_wait_loadcnt 0x0
	v_add_nc_u64_e32 v[28:29], s[6:7], v[4:5]
	s_delay_alu instid0(VALU_DEP_1)
	v_lshl_add_u64 v[30:31], v[14:15], 4, v[28:29]
	s_wait_xcnt 0x0
	s_and_saveexec_b32 s16, s36
	s_cbranch_execz .LBB570_26
; %bb.22:                               ;   in Loop: Header=BB570_7 Depth=1
	v_mul_f64_e32 v[2:3], s[12:13], v[42:43]
	v_mul_f64_e32 v[4:5], s[10:11], v[42:43]
	s_and_b32 vcc_lo, exec_lo, s23
	s_mov_b32 s17, -1
	s_delay_alu instid0(VALU_DEP_2) | instskip(NEXT) | instid1(VALU_DEP_2)
	v_fma_f64 v[2:3], s[10:11], v[40:41], -v[2:3]
	v_fmac_f64_e32 v[4:5], s[12:13], v[40:41]
	v_lshl_add_u64 v[40:41], v[18:19], 4, v[30:31]
	s_cbranch_vccz .LBB570_24
; %bb.23:                               ;   in Loop: Header=BB570_7 Depth=1
	flat_load_b128 v[46:49], v[40:41]
	s_mov_b32 s17, 0
	s_wait_loadcnt_dscnt 0x0
	v_mul_f64_e32 v[42:43], s[28:29], v[48:49]
	v_mul_f64_e32 v[48:49], s[26:27], v[48:49]
	s_delay_alu instid0(VALU_DEP_2) | instskip(NEXT) | instid1(VALU_DEP_2)
	v_fma_f64 v[42:43], s[26:27], v[46:47], -v[42:43]
	v_fmac_f64_e32 v[48:49], s[28:29], v[46:47]
	s_delay_alu instid0(VALU_DEP_2) | instskip(NEXT) | instid1(VALU_DEP_2)
	v_add_f64_e32 v[46:47], v[2:3], v[42:43]
	v_add_f64_e32 v[48:49], v[4:5], v[48:49]
	flat_store_b128 v[40:41], v[46:49]
.LBB570_24:                             ;   in Loop: Header=BB570_7 Depth=1
	s_and_not1_b32 vcc_lo, exec_lo, s17
	s_cbranch_vccnz .LBB570_26
; %bb.25:                               ;   in Loop: Header=BB570_7 Depth=1
	flat_store_b128 v[40:41], v[2:5]
.LBB570_26:                             ;   in Loop: Header=BB570_7 Depth=1
	s_wait_xcnt 0x0
	s_or_b32 exec_lo, exec_lo, s16
	s_and_saveexec_b32 s16, s37
	s_cbranch_execz .LBB570_31
; %bb.27:                               ;   in Loop: Header=BB570_7 Depth=1
	v_mul_f64_e32 v[2:3], s[12:13], v[38:39]
	v_mul_f64_e32 v[4:5], s[10:11], v[38:39]
	v_lshl_add_u64 v[30:31], v[20:21], 4, v[30:31]
	s_and_not1_b32 vcc_lo, exec_lo, s23
	s_mov_b32 s17, -1
	s_delay_alu instid0(VALU_DEP_3) | instskip(NEXT) | instid1(VALU_DEP_3)
	v_fma_f64 v[2:3], s[10:11], v[36:37], -v[2:3]
	v_fmac_f64_e32 v[4:5], s[12:13], v[36:37]
	s_cbranch_vccnz .LBB570_29
; %bb.28:                               ;   in Loop: Header=BB570_7 Depth=1
	flat_load_b128 v[36:39], v[30:31]
	s_mov_b32 s17, 0
	s_wait_loadcnt_dscnt 0x0
	v_mul_f64_e32 v[40:41], s[28:29], v[38:39]
	v_mul_f64_e32 v[38:39], s[26:27], v[38:39]
	s_delay_alu instid0(VALU_DEP_2) | instskip(NEXT) | instid1(VALU_DEP_2)
	v_fma_f64 v[40:41], s[26:27], v[36:37], -v[40:41]
	v_fmac_f64_e32 v[38:39], s[28:29], v[36:37]
	s_delay_alu instid0(VALU_DEP_2) | instskip(NEXT) | instid1(VALU_DEP_2)
	v_add_f64_e32 v[36:37], v[2:3], v[40:41]
	v_add_f64_e32 v[38:39], v[4:5], v[38:39]
	flat_store_b128 v[30:31], v[36:39]
.LBB570_29:                             ;   in Loop: Header=BB570_7 Depth=1
	s_and_not1_b32 vcc_lo, exec_lo, s17
	s_cbranch_vccnz .LBB570_31
; %bb.30:                               ;   in Loop: Header=BB570_7 Depth=1
	flat_store_b128 v[30:31], v[2:5]
.LBB570_31:                             ;   in Loop: Header=BB570_7 Depth=1
	s_wait_xcnt 0x0
	s_or_b32 exec_lo, exec_lo, s16
	v_lshl_add_u64 v[28:29], v[16:17], 4, v[28:29]
	s_and_saveexec_b32 s16, s1
	s_cbranch_execz .LBB570_36
; %bb.32:                               ;   in Loop: Header=BB570_7 Depth=1
	v_mul_f64_e32 v[2:3], s[12:13], v[34:35]
	v_mul_f64_e32 v[4:5], s[10:11], v[34:35]
	v_lshl_add_u64 v[30:31], v[18:19], 4, v[28:29]
	s_and_not1_b32 vcc_lo, exec_lo, s23
	s_mov_b32 s17, -1
	s_delay_alu instid0(VALU_DEP_3) | instskip(NEXT) | instid1(VALU_DEP_3)
	v_fma_f64 v[2:3], s[10:11], v[32:33], -v[2:3]
	v_fmac_f64_e32 v[4:5], s[12:13], v[32:33]
	s_cbranch_vccnz .LBB570_34
; %bb.33:                               ;   in Loop: Header=BB570_7 Depth=1
	flat_load_b128 v[32:35], v[30:31]
	s_mov_b32 s17, 0
	s_wait_loadcnt_dscnt 0x0
	v_mul_f64_e32 v[36:37], s[28:29], v[34:35]
	v_mul_f64_e32 v[34:35], s[26:27], v[34:35]
	s_delay_alu instid0(VALU_DEP_2) | instskip(NEXT) | instid1(VALU_DEP_2)
	v_fma_f64 v[36:37], s[26:27], v[32:33], -v[36:37]
	v_fmac_f64_e32 v[34:35], s[28:29], v[32:33]
	s_delay_alu instid0(VALU_DEP_2) | instskip(NEXT) | instid1(VALU_DEP_2)
	v_add_f64_e32 v[32:33], v[2:3], v[36:37]
	v_add_f64_e32 v[34:35], v[4:5], v[34:35]
	flat_store_b128 v[30:31], v[32:35]
.LBB570_34:                             ;   in Loop: Header=BB570_7 Depth=1
	s_and_not1_b32 vcc_lo, exec_lo, s17
	s_cbranch_vccnz .LBB570_36
; %bb.35:                               ;   in Loop: Header=BB570_7 Depth=1
	flat_store_b128 v[30:31], v[2:5]
.LBB570_36:                             ;   in Loop: Header=BB570_7 Depth=1
	s_wait_xcnt 0x0
	s_or_b32 exec_lo, exec_lo, s16
	s_and_saveexec_b32 s16, s38
	s_cbranch_execz .LBB570_6
; %bb.37:                               ;   in Loop: Header=BB570_7 Depth=1
	s_delay_alu instid0(VALU_DEP_4) | instskip(SKIP_4) | instid1(VALU_DEP_3)
	v_mul_f64_e32 v[2:3], s[12:13], v[24:25]
	v_mul_f64_e32 v[4:5], s[10:11], v[24:25]
	v_lshl_add_u64 v[24:25], v[20:21], 4, v[28:29]
	s_and_not1_b32 vcc_lo, exec_lo, s23
	s_mov_b32 s17, -1
	v_fma_f64 v[2:3], s[10:11], v[26:27], -v[2:3]
	s_delay_alu instid0(VALU_DEP_3)
	v_fmac_f64_e32 v[4:5], s[12:13], v[26:27]
	s_cbranch_vccnz .LBB570_39
; %bb.38:                               ;   in Loop: Header=BB570_7 Depth=1
	flat_load_b128 v[26:29], v[24:25]
	s_mov_b32 s17, 0
	s_wait_loadcnt_dscnt 0x0
	v_mul_f64_e32 v[30:31], s[28:29], v[28:29]
	v_mul_f64_e32 v[28:29], s[26:27], v[28:29]
	s_delay_alu instid0(VALU_DEP_2) | instskip(NEXT) | instid1(VALU_DEP_2)
	v_fma_f64 v[30:31], s[26:27], v[26:27], -v[30:31]
	v_fmac_f64_e32 v[28:29], s[28:29], v[26:27]
	s_delay_alu instid0(VALU_DEP_2) | instskip(NEXT) | instid1(VALU_DEP_2)
	v_add_f64_e32 v[26:27], v[2:3], v[30:31]
	v_add_f64_e32 v[28:29], v[4:5], v[28:29]
	flat_store_b128 v[24:25], v[26:29]
.LBB570_39:                             ;   in Loop: Header=BB570_7 Depth=1
	s_and_not1_b32 vcc_lo, exec_lo, s17
	s_cbranch_vccnz .LBB570_6
; %bb.40:                               ;   in Loop: Header=BB570_7 Depth=1
	flat_store_b128 v[24:25], v[2:5]
	s_branch .LBB570_6
.LBB570_41:
.LBB570_42:
	s_sendmsg sendmsg(MSG_DEALLOC_VGPRS)
	s_endpgm
	.section	.rodata,"a",@progbits
	.p2align	6, 0x0
	.amdhsa_kernel _ZL29rocblas_internal_gemmt_kernelIlLi16ELi32ELi8ELc84ELc78ELc76ELb0ELb0E19rocblas_complex_numIdES1_PKPKS1_PKPS1_EviT_T9_T10_S9_lSB_S9_lSA_T11_S9_li
		.amdhsa_group_segment_fixed_size 8192
		.amdhsa_private_segment_fixed_size 0
		.amdhsa_kernarg_size 124
		.amdhsa_user_sgpr_count 2
		.amdhsa_user_sgpr_dispatch_ptr 0
		.amdhsa_user_sgpr_queue_ptr 0
		.amdhsa_user_sgpr_kernarg_segment_ptr 1
		.amdhsa_user_sgpr_dispatch_id 0
		.amdhsa_user_sgpr_kernarg_preload_length 0
		.amdhsa_user_sgpr_kernarg_preload_offset 0
		.amdhsa_user_sgpr_private_segment_size 0
		.amdhsa_wavefront_size32 1
		.amdhsa_uses_dynamic_stack 0
		.amdhsa_enable_private_segment 0
		.amdhsa_system_sgpr_workgroup_id_x 1
		.amdhsa_system_sgpr_workgroup_id_y 1
		.amdhsa_system_sgpr_workgroup_id_z 1
		.amdhsa_system_sgpr_workgroup_info 0
		.amdhsa_system_vgpr_workitem_id 1
		.amdhsa_next_free_vgpr 134
		.amdhsa_next_free_sgpr 43
		.amdhsa_named_barrier_count 0
		.amdhsa_reserve_vcc 1
		.amdhsa_float_round_mode_32 0
		.amdhsa_float_round_mode_16_64 0
		.amdhsa_float_denorm_mode_32 3
		.amdhsa_float_denorm_mode_16_64 3
		.amdhsa_fp16_overflow 0
		.amdhsa_memory_ordered 1
		.amdhsa_forward_progress 1
		.amdhsa_inst_pref_size 24
		.amdhsa_round_robin_scheduling 0
		.amdhsa_exception_fp_ieee_invalid_op 0
		.amdhsa_exception_fp_denorm_src 0
		.amdhsa_exception_fp_ieee_div_zero 0
		.amdhsa_exception_fp_ieee_overflow 0
		.amdhsa_exception_fp_ieee_underflow 0
		.amdhsa_exception_fp_ieee_inexact 0
		.amdhsa_exception_int_div_zero 0
	.end_amdhsa_kernel
	.section	.text._ZL29rocblas_internal_gemmt_kernelIlLi16ELi32ELi8ELc84ELc78ELc76ELb0ELb0E19rocblas_complex_numIdES1_PKPKS1_PKPS1_EviT_T9_T10_S9_lSB_S9_lSA_T11_S9_li,"axG",@progbits,_ZL29rocblas_internal_gemmt_kernelIlLi16ELi32ELi8ELc84ELc78ELc76ELb0ELb0E19rocblas_complex_numIdES1_PKPKS1_PKPS1_EviT_T9_T10_S9_lSB_S9_lSA_T11_S9_li,comdat
.Lfunc_end570:
	.size	_ZL29rocblas_internal_gemmt_kernelIlLi16ELi32ELi8ELc84ELc78ELc76ELb0ELb0E19rocblas_complex_numIdES1_PKPKS1_PKPS1_EviT_T9_T10_S9_lSB_S9_lSA_T11_S9_li, .Lfunc_end570-_ZL29rocblas_internal_gemmt_kernelIlLi16ELi32ELi8ELc84ELc78ELc76ELb0ELb0E19rocblas_complex_numIdES1_PKPKS1_PKPS1_EviT_T9_T10_S9_lSB_S9_lSA_T11_S9_li
                                        ; -- End function
	.set _ZL29rocblas_internal_gemmt_kernelIlLi16ELi32ELi8ELc84ELc78ELc76ELb0ELb0E19rocblas_complex_numIdES1_PKPKS1_PKPS1_EviT_T9_T10_S9_lSB_S9_lSA_T11_S9_li.num_vgpr, 134
	.set _ZL29rocblas_internal_gemmt_kernelIlLi16ELi32ELi8ELc84ELc78ELc76ELb0ELb0E19rocblas_complex_numIdES1_PKPKS1_PKPS1_EviT_T9_T10_S9_lSB_S9_lSA_T11_S9_li.num_agpr, 0
	.set _ZL29rocblas_internal_gemmt_kernelIlLi16ELi32ELi8ELc84ELc78ELc76ELb0ELb0E19rocblas_complex_numIdES1_PKPKS1_PKPS1_EviT_T9_T10_S9_lSB_S9_lSA_T11_S9_li.numbered_sgpr, 43
	.set _ZL29rocblas_internal_gemmt_kernelIlLi16ELi32ELi8ELc84ELc78ELc76ELb0ELb0E19rocblas_complex_numIdES1_PKPKS1_PKPS1_EviT_T9_T10_S9_lSB_S9_lSA_T11_S9_li.num_named_barrier, 0
	.set _ZL29rocblas_internal_gemmt_kernelIlLi16ELi32ELi8ELc84ELc78ELc76ELb0ELb0E19rocblas_complex_numIdES1_PKPKS1_PKPS1_EviT_T9_T10_S9_lSB_S9_lSA_T11_S9_li.private_seg_size, 0
	.set _ZL29rocblas_internal_gemmt_kernelIlLi16ELi32ELi8ELc84ELc78ELc76ELb0ELb0E19rocblas_complex_numIdES1_PKPKS1_PKPS1_EviT_T9_T10_S9_lSB_S9_lSA_T11_S9_li.uses_vcc, 1
	.set _ZL29rocblas_internal_gemmt_kernelIlLi16ELi32ELi8ELc84ELc78ELc76ELb0ELb0E19rocblas_complex_numIdES1_PKPKS1_PKPS1_EviT_T9_T10_S9_lSB_S9_lSA_T11_S9_li.uses_flat_scratch, 0
	.set _ZL29rocblas_internal_gemmt_kernelIlLi16ELi32ELi8ELc84ELc78ELc76ELb0ELb0E19rocblas_complex_numIdES1_PKPKS1_PKPS1_EviT_T9_T10_S9_lSB_S9_lSA_T11_S9_li.has_dyn_sized_stack, 0
	.set _ZL29rocblas_internal_gemmt_kernelIlLi16ELi32ELi8ELc84ELc78ELc76ELb0ELb0E19rocblas_complex_numIdES1_PKPKS1_PKPS1_EviT_T9_T10_S9_lSB_S9_lSA_T11_S9_li.has_recursion, 0
	.set _ZL29rocblas_internal_gemmt_kernelIlLi16ELi32ELi8ELc84ELc78ELc76ELb0ELb0E19rocblas_complex_numIdES1_PKPKS1_PKPS1_EviT_T9_T10_S9_lSB_S9_lSA_T11_S9_li.has_indirect_call, 0
	.section	.AMDGPU.csdata,"",@progbits
; Kernel info:
; codeLenInByte = 3020
; TotalNumSgprs: 45
; NumVgprs: 134
; ScratchSize: 0
; MemoryBound: 0
; FloatMode: 240
; IeeeMode: 1
; LDSByteSize: 8192 bytes/workgroup (compile time only)
; SGPRBlocks: 0
; VGPRBlocks: 8
; NumSGPRsForWavesPerEU: 45
; NumVGPRsForWavesPerEU: 134
; NamedBarCnt: 0
; Occupancy: 7
; WaveLimiterHint : 1
; COMPUTE_PGM_RSRC2:SCRATCH_EN: 0
; COMPUTE_PGM_RSRC2:USER_SGPR: 2
; COMPUTE_PGM_RSRC2:TRAP_HANDLER: 0
; COMPUTE_PGM_RSRC2:TGID_X_EN: 1
; COMPUTE_PGM_RSRC2:TGID_Y_EN: 1
; COMPUTE_PGM_RSRC2:TGID_Z_EN: 1
; COMPUTE_PGM_RSRC2:TIDIG_COMP_CNT: 1
	.section	.text._ZL29rocblas_internal_gemmt_kernelIlLi16ELi32ELi8ELc84ELc84ELc76ELb0ELb0E19rocblas_complex_numIdES1_PKPKS1_PKPS1_EviT_T9_T10_S9_lSB_S9_lSA_T11_S9_li,"axG",@progbits,_ZL29rocblas_internal_gemmt_kernelIlLi16ELi32ELi8ELc84ELc84ELc76ELb0ELb0E19rocblas_complex_numIdES1_PKPKS1_PKPS1_EviT_T9_T10_S9_lSB_S9_lSA_T11_S9_li,comdat
	.globl	_ZL29rocblas_internal_gemmt_kernelIlLi16ELi32ELi8ELc84ELc84ELc76ELb0ELb0E19rocblas_complex_numIdES1_PKPKS1_PKPS1_EviT_T9_T10_S9_lSB_S9_lSA_T11_S9_li ; -- Begin function _ZL29rocblas_internal_gemmt_kernelIlLi16ELi32ELi8ELc84ELc84ELc76ELb0ELb0E19rocblas_complex_numIdES1_PKPKS1_PKPS1_EviT_T9_T10_S9_lSB_S9_lSA_T11_S9_li
	.p2align	8
	.type	_ZL29rocblas_internal_gemmt_kernelIlLi16ELi32ELi8ELc84ELc84ELc76ELb0ELb0E19rocblas_complex_numIdES1_PKPKS1_PKPS1_EviT_T9_T10_S9_lSB_S9_lSA_T11_S9_li,@function
_ZL29rocblas_internal_gemmt_kernelIlLi16ELi32ELi8ELc84ELc84ELc76ELb0ELb0E19rocblas_complex_numIdES1_PKPKS1_PKPS1_EviT_T9_T10_S9_lSB_S9_lSA_T11_S9_li: ; @_ZL29rocblas_internal_gemmt_kernelIlLi16ELi32ELi8ELc84ELc84ELc76ELb0ELb0E19rocblas_complex_numIdES1_PKPKS1_PKPS1_EviT_T9_T10_S9_lSB_S9_lSA_T11_S9_li
; %bb.0:
	s_clause 0x1
	s_load_b256 s[24:31], s[0:1], 0x48
	s_load_b512 s[8:23], s[0:1], 0x8
	s_wait_kmcnt 0x0
	v_cmp_eq_f64_e64 s3, s[26:27], 1.0
	v_cmp_eq_f64_e64 s2, s[28:29], 0
	s_and_b32 s3, s3, s2
	s_delay_alu instid0(SALU_CYCLE_1)
	s_and_not1_b32 vcc_lo, exec_lo, s3
	s_mov_b32 s3, -1
	s_cbranch_vccnz .LBB571_3
; %bb.1:
	s_cmp_lg_u64 s[8:9], 0
	s_cbranch_scc0 .LBB571_41
; %bb.2:
	v_cmp_neq_f64_e64 s3, s[10:11], 0
	v_cmp_neq_f64_e64 s4, s[12:13], 0
	s_or_b32 s3, s3, s4
.LBB571_3:
	s_delay_alu instid0(SALU_CYCLE_1)
	s_and_b32 vcc_lo, exec_lo, s3
	s_cbranch_vccz .LBB571_42
; %bb.4:
	s_load_b32 s33, s[0:1], 0x78
	s_bfe_u32 s3, ttmp6, 0x40014
	s_lshr_b32 s4, ttmp7, 16
	s_add_co_i32 s3, s3, 1
	s_bfe_u32 s6, ttmp6, 0x40008
	s_mul_i32 s5, s4, s3
	s_getreg_b32 s3, hwreg(HW_REG_IB_STS2, 6, 4)
	s_add_co_i32 s6, s6, s5
	s_cmp_eq_u32 s3, 0
	s_mov_b32 s35, 0
	s_cselect_b32 s34, s4, s6
	s_wait_kmcnt 0x0
	s_cmp_ge_u32 s34, s33
	s_cbranch_scc1 .LBB571_42
; %bb.5:
	s_clause 0x1
	s_load_b128 s[4:7], s[0:1], 0x68
	s_load_b32 s38, s[0:1], 0x0
	s_wait_xcnt 0x0
	s_bfe_u32 s1, ttmp6, 0x4000c
	s_bfe_u32 s40, ttmp6, 0x40010
	s_and_b32 s39, ttmp7, 0xffff
	s_add_co_i32 s1, s1, 1
	s_add_co_i32 s40, s40, 1
	v_and_b32_e32 v19, 0x3ff, v0
	v_bfe_u32 v21, v0, 10, 10
	s_and_b32 s0, ttmp6, 15
	s_bfe_u32 s41, ttmp6, 0x40004
	s_mul_i32 s1, ttmp9, s1
	s_mul_i32 s40, s39, s40
	s_add_co_i32 s0, s0, s1
	s_add_co_i32 s41, s41, s40
	s_cmp_eq_u32 s3, 0
	v_lshl_add_u32 v1, v21, 4, v19
	s_cselect_b32 s1, s39, s41
	s_cselect_b32 s0, ttmp9, s0
	s_lshl_b32 s1, s1, 5
	s_delay_alu instid0(VALU_DEP_1) | instskip(SKIP_4) | instid1(VALU_DEP_3)
	v_dual_lshrrev_b32 v9, 3, v1 :: v_dual_bitop2_b32 v6, 7, v0 bitop3:0x40
	v_dual_lshrrev_b32 v8, 5, v1 :: v_dual_bitop2_b32 v7, 31, v1 bitop3:0x40
	s_lshl_b32 s39, s0, 5
	v_add_nc_u32_e32 v0, s1, v21
	v_cmp_neq_f64_e64 s36, s[10:11], 0
	v_dual_add_nc_u32 v10, s1, v9 :: v_dual_bitop2_b32 v2, s39, v7 bitop3:0x54
	v_cmp_neq_f64_e64 s37, s[12:13], 0
	s_delay_alu instid0(VALU_DEP_4) | instskip(SKIP_1) | instid1(VALU_DEP_4)
	v_add_nc_u32_e32 v4, 16, v0
	v_cmp_neq_f64_e64 s3, s[26:27], 0
	v_dual_ashrrev_i32 v3, 31, v2 :: v_dual_ashrrev_i32 v1, 31, v0
	s_delay_alu instid0(VALU_DEP_3) | instskip(SKIP_1) | instid1(VALU_DEP_3)
	v_dual_lshlrev_b32 v11, 4, v6 :: v_dual_ashrrev_i32 v5, 31, v4
	v_dual_add_nc_u32 v18, s39, v19 :: v_dual_lshlrev_b32 v44, 4, v19
	v_mul_u64_e32 v[12:13], s[16:17], v[2:3]
	s_wait_kmcnt 0x0
	v_mul_u64_e32 v[14:15], s[4:5], v[0:1]
	v_mul_u64_e32 v[16:17], s[4:5], v[4:5]
	s_xor_b32 s4, s2, -1
	v_dual_add_nc_u32 v20, 16, v18 :: v_dual_ashrrev_i32 v19, 31, v18
	v_cmp_le_i32_e64 s1, v0, v18
	v_cmp_gt_i32_e64 s2, s38, v18
	v_lshlrev_b32_e32 v7, 4, v7
	v_lshl_or_b32 v3, v9, 7, v11
	v_cmp_gt_i64_e64 s42, s[8:9], 0
	v_cmp_gt_i32_e64 s0, s38, v2
	v_cmp_gt_i32_e32 vcc_lo, s38, v10
	v_cmp_le_i32_e64 s5, v4, v20
	v_add_nc_u32_e32 v9, 0x1000, v3
	v_ashrrev_i32_e32 v11, 31, v10
	v_lshl_or_b32 v7, v8, 9, v7
	v_lshl_add_u32 v45, v21, 7, 0x1000
	v_dual_ashrrev_i32 v21, 31, v20 :: v_dual_mov_b32 v1, 0
	s_lshl_b64 s[6:7], s[6:7], 4
                                        ; implicit-def: $vgpr22_vgpr23
	s_or_b32 s41, s36, s37
	v_cmp_le_i32_e64 s36, s38, v2
	s_or_b32 s37, s3, s4
	v_cmp_le_i32_e64 s3, v0, v20
	v_cmp_gt_i32_e64 s4, s38, v20
	s_and_b32 s38, s1, s2
	v_cmp_le_i32_e64 s1, v4, v18
	s_and_b32 s41, s41, s42
	s_and_b32 s39, s3, s4
	;; [unrolled: 1-line block ×4, first 2 shown]
	s_lshl_b64 s[2:3], s[24:25], 4
	s_lshl_b64 s[4:5], s[18:19], 4
	s_xor_b32 s18, vcc_lo, -1
	s_branch .LBB571_7
.LBB571_6:                              ;   in Loop: Header=BB571_7 Depth=1
	s_wait_xcnt 0x0
	s_or_b32 exec_lo, exec_lo, s16
	s_add_co_i32 s34, s34, 0x10000
	s_delay_alu instid0(SALU_CYCLE_1)
	s_cmp_lt_u32 s34, s33
	s_cbranch_scc0 .LBB571_42
.LBB571_7:                              ; =>This Loop Header: Depth=1
                                        ;     Child Loop BB571_10 Depth 2
	v_mov_b32_e32 v0, s34
	v_mov_b64_e32 v[40:41], 0
	s_and_not1_b32 vcc_lo, exec_lo, s41
	global_load_b64 v[4:5], v0, s[30:31] scale_offset
	s_cbranch_vccnz .LBB571_20
; %bb.8:                                ;   in Loop: Header=BB571_7 Depth=1
	s_lshl_b64 s[16:17], s[34:35], 3
	v_mov_b64_e32 v[24:25], 0
	s_add_nc_u64 s[24:25], s[14:15], s[16:17]
	s_add_nc_u64 s[16:17], s[20:21], s[16:17]
	s_clause 0x1
	global_load_b64 v[2:3], v1, s[24:25]
	global_load_b64 v[28:29], v1, s[16:17]
	v_mov_b64_e32 v[26:27], 0
	v_mov_b64_e32 v[34:35], 0
	;; [unrolled: 1-line block ×7, first 2 shown]
	s_wait_xcnt 0x0
	s_mov_b64 s[16:17], 0
	s_wait_loadcnt 0x1
	v_add_nc_u64_e32 v[2:3], s[4:5], v[2:3]
	s_wait_loadcnt 0x0
	v_add_nc_u64_e32 v[30:31], s[2:3], v[28:29]
	s_delay_alu instid0(VALU_DEP_2) | instskip(NEXT) | instid1(VALU_DEP_2)
	v_lshl_add_u64 v[28:29], v[12:13], 4, v[2:3]
	v_lshl_add_u64 v[30:31], v[10:11], 4, v[30:31]
	s_branch .LBB571_10
.LBB571_9:                              ;   in Loop: Header=BB571_10 Depth=2
	s_wait_xcnt 0x0
	s_or_b32 exec_lo, exec_lo, s19
	s_wait_dscnt 0x0
	s_barrier_signal -1
	s_barrier_wait -1
	ds_load_b128 v[46:49], v45
	ds_load_b128 v[50:53], v44
	ds_load_b128 v[54:57], v44 offset:256
	ds_load_b128 v[58:61], v45 offset:2048
	;; [unrolled: 1-line block ×10, first 2 shown]
	s_add_nc_u64 s[16:17], s[16:17], 8
	s_delay_alu instid0(SALU_CYCLE_1)
	v_cmp_gt_i64_e64 s19, s[8:9], s[16:17]
	s_and_b32 vcc_lo, exec_lo, s19
	s_wait_dscnt 0xa
	v_mul_f64_e32 v[2:3], v[48:49], v[52:53]
	v_mul_f64_e32 v[94:95], v[46:47], v[52:53]
	s_wait_dscnt 0x9
	v_mul_f64_e32 v[96:97], v[48:49], v[56:57]
	v_mul_f64_e32 v[98:99], v[46:47], v[56:57]
	s_wait_dscnt 0x8
	v_mul_f64_e32 v[100:101], v[60:61], v[52:53]
	v_mul_f64_e32 v[102:103], v[58:59], v[52:53]
	v_mul_f64_e32 v[52:53], v[60:61], v[56:57]
	v_mul_f64_e32 v[104:105], v[58:59], v[56:57]
	s_wait_dscnt 0x6
	v_mul_f64_e32 v[106:107], v[64:65], v[68:69]
	v_mul_f64_e32 v[108:109], v[62:63], v[68:69]
	s_wait_dscnt 0x5
	v_mul_f64_e32 v[110:111], v[64:65], v[72:73]
	v_mul_f64_e32 v[112:113], v[62:63], v[72:73]
	s_wait_dscnt 0x4
	v_mul_f64_e32 v[114:115], v[76:77], v[68:69]
	v_mul_f64_e32 v[68:69], v[74:75], v[68:69]
	v_mul_f64_e32 v[116:117], v[76:77], v[72:73]
	v_mul_f64_e32 v[72:73], v[74:75], v[72:73]
	;; [unrolled: 11-line block ×3, first 2 shown]
	v_fma_f64 v[2:3], v[46:47], v[50:51], -v[2:3]
	v_fmac_f64_e32 v[94:95], v[48:49], v[50:51]
	v_fma_f64 v[96:97], v[46:47], v[54:55], -v[96:97]
	v_fmac_f64_e32 v[98:99], v[48:49], v[54:55]
	;; [unrolled: 2-line block ×8, first 2 shown]
	ds_load_b128 v[46:49], v45 offset:48
	ds_load_b128 v[50:53], v45 offset:2096
	;; [unrolled: 1-line block ×4, first 2 shown]
	v_fma_f64 v[120:121], v[78:79], v[82:83], -v[120:121]
	v_fmac_f64_e32 v[122:123], v[80:81], v[82:83]
	v_fma_f64 v[78:79], v[78:79], v[86:87], -v[124:125]
	v_fmac_f64_e32 v[126:127], v[80:81], v[86:87]
	v_fma_f64 v[80:81], v[90:91], v[82:83], -v[128:129]
	v_fmac_f64_e32 v[84:85], v[92:93], v[82:83]
	v_fma_f64 v[82:83], v[90:91], v[86:87], -v[130:131]
	v_fmac_f64_e32 v[88:89], v[92:93], v[86:87]
	v_add_f64_e32 v[2:3], v[40:41], v[2:3]
	v_add_f64_e32 v[70:71], v[94:95], v[42:43]
	;; [unrolled: 1-line block ×8, first 2 shown]
	s_wait_dscnt 0x1
	v_mul_f64_e32 v[102:103], v[48:49], v[56:57]
	v_mul_f64_e32 v[104:105], v[46:47], v[56:57]
	s_wait_dscnt 0x0
	v_mul_f64_e32 v[110:111], v[48:49], v[60:61]
	v_mul_f64_e32 v[114:115], v[46:47], v[60:61]
	;; [unrolled: 1-line block ×6, first 2 shown]
	ds_load_b128 v[24:27], v45 offset:64
	ds_load_b128 v[32:35], v44 offset:2048
	;; [unrolled: 1-line block ×4, first 2 shown]
	v_add_f64_e32 v[2:3], v[2:3], v[106:107]
	v_add_f64_e32 v[86:87], v[108:109], v[70:71]
	;; [unrolled: 1-line block ×8, first 2 shown]
	s_wait_dscnt 0x2
	v_mul_f64_e32 v[100:101], v[26:27], v[34:35]
	v_mul_f64_e32 v[106:107], v[24:25], v[34:35]
	s_wait_dscnt 0x1
	v_mul_f64_e32 v[108:109], v[26:27], v[38:39]
	v_mul_f64_e32 v[112:113], v[24:25], v[38:39]
	;; [unrolled: 3-line block ×3, first 2 shown]
	v_mul_f64_e32 v[34:35], v[42:43], v[38:39]
	v_mul_f64_e32 v[130:131], v[40:41], v[38:39]
	v_fma_f64 v[38:39], v[46:47], v[54:55], -v[102:103]
	v_fmac_f64_e32 v[104:105], v[48:49], v[54:55]
	v_fma_f64 v[102:103], v[46:47], v[58:59], -v[110:111]
	v_fmac_f64_e32 v[114:115], v[48:49], v[58:59]
	;; [unrolled: 2-line block ×4, first 2 shown]
	ds_load_b128 v[60:63], v45 offset:80
	ds_load_b128 v[64:67], v45 offset:2128
	;; [unrolled: 1-line block ×4, first 2 shown]
	v_add_f64_e32 v[2:3], v[2:3], v[120:121]
	v_add_f64_e32 v[58:59], v[122:123], v[86:87]
	;; [unrolled: 1-line block ×8, first 2 shown]
	v_fma_f64 v[100:101], v[24:25], v[32:33], -v[100:101]
	v_fmac_f64_e32 v[106:107], v[26:27], v[32:33]
	v_fma_f64 v[108:109], v[24:25], v[36:37], -v[108:109]
	s_wait_dscnt 0x1
	v_mul_f64_e32 v[92:93], v[62:63], v[70:71]
	v_mul_f64_e32 v[94:95], v[60:61], v[70:71]
	s_wait_dscnt 0x0
	v_mul_f64_e32 v[96:97], v[62:63], v[74:75]
	v_mul_f64_e32 v[98:99], v[60:61], v[74:75]
	;; [unrolled: 1-line block ×6, first 2 shown]
	v_fmac_f64_e32 v[112:113], v[26:27], v[36:37]
	v_fma_f64 v[124:125], v[40:41], v[32:33], -v[124:125]
	v_fmac_f64_e32 v[128:129], v[42:43], v[32:33]
	v_fma_f64 v[126:127], v[40:41], v[36:37], -v[34:35]
	v_fmac_f64_e32 v[130:131], v[42:43], v[36:37]
	ds_load_b128 v[46:49], v45 offset:96
	ds_load_b128 v[50:53], v44 offset:3072
	;; [unrolled: 1-line block ×4, first 2 shown]
	v_add_f64_e32 v[2:3], v[2:3], v[38:39]
	v_add_f64_e32 v[58:59], v[104:105], v[58:59]
	v_add_f64_e32 v[86:87], v[86:87], v[102:103]
	v_add_f64_e32 v[90:91], v[114:115], v[90:91]
	v_add_f64_e32 v[80:81], v[80:81], v[110:111]
	v_add_f64_e32 v[84:85], v[118:119], v[84:85]
	v_add_f64_e32 v[82:83], v[82:83], v[116:117]
	v_add_f64_e32 v[88:89], v[132:133], v[88:89]
	ds_load_b128 v[24:27], v45 offset:112
	ds_load_b128 v[32:35], v45 offset:2160
	;; [unrolled: 1-line block ×4, first 2 shown]
	s_wait_dscnt 0x0
	v_mul_f64_e32 v[102:103], v[48:49], v[52:53]
	v_mul_f64_e32 v[104:105], v[46:47], v[52:53]
	;; [unrolled: 1-line block ×8, first 2 shown]
	v_fma_f64 v[92:93], v[60:61], v[68:69], -v[92:93]
	v_fmac_f64_e32 v[94:95], v[62:63], v[68:69]
	v_fma_f64 v[60:61], v[60:61], v[72:73], -v[96:97]
	v_fmac_f64_e32 v[98:99], v[62:63], v[72:73]
	;; [unrolled: 2-line block ×4, first 2 shown]
	s_barrier_signal -1
	s_barrier_wait -1
	v_mul_f64_e32 v[96:97], v[24:25], v[42:43]
	v_add_f64_e32 v[2:3], v[2:3], v[100:101]
	v_add_f64_e32 v[58:59], v[106:107], v[58:59]
	;; [unrolled: 1-line block ×8, first 2 shown]
	v_mul_f64_e32 v[86:87], v[26:27], v[38:39]
	v_mul_f64_e32 v[88:89], v[24:25], v[38:39]
	v_mul_f64_e32 v[90:91], v[26:27], v[42:43]
	v_mul_f64_e32 v[100:101], v[34:35], v[38:39]
	v_mul_f64_e32 v[106:107], v[32:33], v[38:39]
	v_mul_f64_e32 v[38:39], v[34:35], v[42:43]
	v_mul_f64_e32 v[108:109], v[32:33], v[42:43]
	v_fma_f64 v[42:43], v[46:47], v[50:51], -v[102:103]
	v_fmac_f64_e32 v[104:105], v[48:49], v[50:51]
	v_fma_f64 v[46:47], v[46:47], v[54:55], -v[110:111]
	v_fmac_f64_e32 v[114:115], v[48:49], v[54:55]
	;; [unrolled: 2-line block ×4, first 2 shown]
	v_fmac_f64_e32 v[96:97], v[26:27], v[40:41]
	v_add_f64_e32 v[2:3], v[2:3], v[92:93]
	v_add_f64_e32 v[54:55], v[94:95], v[58:59]
	;; [unrolled: 1-line block ×8, first 2 shown]
	v_fma_f64 v[70:71], v[24:25], v[36:37], -v[86:87]
	v_fmac_f64_e32 v[88:89], v[26:27], v[36:37]
	v_fma_f64 v[24:25], v[24:25], v[40:41], -v[90:91]
	v_fma_f64 v[26:27], v[32:33], v[36:37], -v[100:101]
	v_fmac_f64_e32 v[106:107], v[34:35], v[36:37]
	v_fma_f64 v[72:73], v[32:33], v[40:41], -v[38:39]
	v_fmac_f64_e32 v[108:109], v[34:35], v[40:41]
	v_add_f64_e32 v[2:3], v[2:3], v[42:43]
	v_add_f64_e32 v[32:33], v[104:105], v[54:55]
	;; [unrolled: 1-line block ×16, first 2 shown]
	s_cbranch_vccz .LBB571_21
.LBB571_10:                             ;   Parent Loop BB571_7 Depth=1
                                        ; =>  This Inner Loop Header: Depth=2
	s_mov_b32 s19, 0
	s_mov_b32 s25, s36
	s_and_saveexec_b32 s24, s0
	s_cbranch_execnz .LBB571_18
; %bb.11:                               ;   in Loop: Header=BB571_10 Depth=2
	s_or_b32 exec_lo, exec_lo, s24
	s_and_saveexec_b32 s24, s25
	s_delay_alu instid0(SALU_CYCLE_1)
	s_xor_b32 s24, exec_lo, s24
	s_cbranch_execnz .LBB571_19
.LBB571_12:                             ;   in Loop: Header=BB571_10 Depth=2
	s_or_b32 exec_lo, exec_lo, s24
	s_and_saveexec_b32 s24, s19
	s_cbranch_execz .LBB571_14
.LBB571_13:                             ;   in Loop: Header=BB571_10 Depth=2
	v_lshl_add_u64 v[2:3], v[22:23], 4, v[28:29]
	flat_load_b128 v[46:49], v[2:3]
	s_wait_loadcnt_dscnt 0x0
	ds_store_2addr_b64 v7, v[46:47], v[48:49] offset1:1
.LBB571_14:                             ;   in Loop: Header=BB571_10 Depth=2
	s_wait_xcnt 0x0
	s_or_b32 exec_lo, exec_lo, s24
	v_add_nc_u32_e32 v0, s16, v6
	s_delay_alu instid0(VALU_DEP_1) | instskip(SKIP_1) | instid1(SALU_CYCLE_1)
	v_cmp_le_u64_e32 vcc_lo, s[8:9], v[0:1]
	s_or_b32 s19, vcc_lo, s18
	s_and_saveexec_b32 s24, s19
	s_delay_alu instid0(SALU_CYCLE_1)
	s_xor_b32 s19, exec_lo, s24
; %bb.15:                               ;   in Loop: Header=BB571_10 Depth=2
	v_dual_mov_b32 v0, v1 :: v_dual_mov_b32 v2, v1
	v_mov_b32_e32 v3, v1
	ds_store_b128 v9, v[0:3]
; %bb.16:                               ;   in Loop: Header=BB571_10 Depth=2
	s_and_not1_saveexec_b32 s19, s19
	s_cbranch_execz .LBB571_9
; %bb.17:                               ;   in Loop: Header=BB571_10 Depth=2
	v_mul_u64_e32 v[2:3], s[22:23], v[0:1]
	s_delay_alu instid0(VALU_DEP_1)
	v_lshl_add_u64 v[2:3], v[2:3], 4, v[30:31]
	flat_load_b128 v[46:49], v[2:3]
	s_wait_loadcnt_dscnt 0x0
	ds_store_2addr_b64 v9, v[46:47], v[48:49] offset1:1
	s_branch .LBB571_9
.LBB571_18:                             ;   in Loop: Header=BB571_10 Depth=2
	v_add_nc_u32_e32 v0, s16, v8
	s_and_not1_b32 s25, s36, exec_lo
	s_mov_b32 s19, exec_lo
	s_delay_alu instid0(VALU_DEP_1) | instskip(SKIP_2) | instid1(SALU_CYCLE_1)
	v_cmp_le_u64_e32 vcc_lo, s[8:9], v[0:1]
	v_mov_b64_e32 v[22:23], v[0:1]
	s_and_b32 s42, vcc_lo, exec_lo
	s_or_b32 s25, s25, s42
	s_or_b32 exec_lo, exec_lo, s24
	s_and_saveexec_b32 s24, s25
	s_delay_alu instid0(SALU_CYCLE_1)
	s_xor_b32 s24, exec_lo, s24
	s_cbranch_execz .LBB571_12
.LBB571_19:                             ;   in Loop: Header=BB571_10 Depth=2
	v_dual_mov_b32 v0, v1 :: v_dual_mov_b32 v2, v1
	v_mov_b32_e32 v3, v1
	s_and_not1_b32 s19, s19, exec_lo
	ds_store_b128 v7, v[0:3]
	s_or_b32 exec_lo, exec_lo, s24
	s_and_saveexec_b32 s24, s19
	s_cbranch_execnz .LBB571_13
	s_branch .LBB571_14
.LBB571_20:                             ;   in Loop: Header=BB571_7 Depth=1
	v_mov_b64_e32 v[42:43], 0
	v_mov_b64_e32 v[36:37], 0
	v_mov_b64_e32 v[38:39], 0
	v_mov_b64_e32 v[32:33], 0
	v_mov_b64_e32 v[34:35], 0
	v_mov_b64_e32 v[26:27], 0
	v_mov_b64_e32 v[24:25], 0
.LBB571_21:                             ;   in Loop: Header=BB571_7 Depth=1
	s_wait_loadcnt 0x0
	v_add_nc_u64_e32 v[28:29], s[6:7], v[4:5]
	s_delay_alu instid0(VALU_DEP_1)
	v_lshl_add_u64 v[30:31], v[14:15], 4, v[28:29]
	s_wait_xcnt 0x0
	s_and_saveexec_b32 s16, s38
	s_cbranch_execz .LBB571_26
; %bb.22:                               ;   in Loop: Header=BB571_7 Depth=1
	v_mul_f64_e32 v[2:3], s[12:13], v[42:43]
	v_mul_f64_e32 v[4:5], s[10:11], v[42:43]
	s_and_b32 vcc_lo, exec_lo, s37
	s_mov_b32 s17, -1
	s_delay_alu instid0(VALU_DEP_2) | instskip(NEXT) | instid1(VALU_DEP_2)
	v_fma_f64 v[2:3], s[10:11], v[40:41], -v[2:3]
	v_fmac_f64_e32 v[4:5], s[12:13], v[40:41]
	v_lshl_add_u64 v[40:41], v[18:19], 4, v[30:31]
	s_cbranch_vccz .LBB571_24
; %bb.23:                               ;   in Loop: Header=BB571_7 Depth=1
	flat_load_b128 v[46:49], v[40:41]
	s_mov_b32 s17, 0
	s_wait_loadcnt_dscnt 0x0
	v_mul_f64_e32 v[42:43], s[28:29], v[48:49]
	v_mul_f64_e32 v[48:49], s[26:27], v[48:49]
	s_delay_alu instid0(VALU_DEP_2) | instskip(NEXT) | instid1(VALU_DEP_2)
	v_fma_f64 v[42:43], s[26:27], v[46:47], -v[42:43]
	v_fmac_f64_e32 v[48:49], s[28:29], v[46:47]
	s_delay_alu instid0(VALU_DEP_2) | instskip(NEXT) | instid1(VALU_DEP_2)
	v_add_f64_e32 v[46:47], v[2:3], v[42:43]
	v_add_f64_e32 v[48:49], v[4:5], v[48:49]
	flat_store_b128 v[40:41], v[46:49]
.LBB571_24:                             ;   in Loop: Header=BB571_7 Depth=1
	s_and_not1_b32 vcc_lo, exec_lo, s17
	s_cbranch_vccnz .LBB571_26
; %bb.25:                               ;   in Loop: Header=BB571_7 Depth=1
	flat_store_b128 v[40:41], v[2:5]
.LBB571_26:                             ;   in Loop: Header=BB571_7 Depth=1
	s_wait_xcnt 0x0
	s_or_b32 exec_lo, exec_lo, s16
	s_and_saveexec_b32 s16, s39
	s_cbranch_execz .LBB571_31
; %bb.27:                               ;   in Loop: Header=BB571_7 Depth=1
	v_mul_f64_e32 v[2:3], s[12:13], v[38:39]
	v_mul_f64_e32 v[4:5], s[10:11], v[38:39]
	v_lshl_add_u64 v[30:31], v[20:21], 4, v[30:31]
	s_and_not1_b32 vcc_lo, exec_lo, s37
	s_mov_b32 s17, -1
	s_delay_alu instid0(VALU_DEP_3) | instskip(NEXT) | instid1(VALU_DEP_3)
	v_fma_f64 v[2:3], s[10:11], v[36:37], -v[2:3]
	v_fmac_f64_e32 v[4:5], s[12:13], v[36:37]
	s_cbranch_vccnz .LBB571_29
; %bb.28:                               ;   in Loop: Header=BB571_7 Depth=1
	flat_load_b128 v[36:39], v[30:31]
	s_mov_b32 s17, 0
	s_wait_loadcnt_dscnt 0x0
	v_mul_f64_e32 v[40:41], s[28:29], v[38:39]
	v_mul_f64_e32 v[38:39], s[26:27], v[38:39]
	s_delay_alu instid0(VALU_DEP_2) | instskip(NEXT) | instid1(VALU_DEP_2)
	v_fma_f64 v[40:41], s[26:27], v[36:37], -v[40:41]
	v_fmac_f64_e32 v[38:39], s[28:29], v[36:37]
	s_delay_alu instid0(VALU_DEP_2) | instskip(NEXT) | instid1(VALU_DEP_2)
	v_add_f64_e32 v[36:37], v[2:3], v[40:41]
	v_add_f64_e32 v[38:39], v[4:5], v[38:39]
	flat_store_b128 v[30:31], v[36:39]
.LBB571_29:                             ;   in Loop: Header=BB571_7 Depth=1
	s_and_not1_b32 vcc_lo, exec_lo, s17
	s_cbranch_vccnz .LBB571_31
; %bb.30:                               ;   in Loop: Header=BB571_7 Depth=1
	flat_store_b128 v[30:31], v[2:5]
.LBB571_31:                             ;   in Loop: Header=BB571_7 Depth=1
	s_wait_xcnt 0x0
	s_or_b32 exec_lo, exec_lo, s16
	v_lshl_add_u64 v[28:29], v[16:17], 4, v[28:29]
	s_and_saveexec_b32 s16, s1
	s_cbranch_execz .LBB571_36
; %bb.32:                               ;   in Loop: Header=BB571_7 Depth=1
	v_mul_f64_e32 v[2:3], s[12:13], v[34:35]
	v_mul_f64_e32 v[4:5], s[10:11], v[34:35]
	v_lshl_add_u64 v[30:31], v[18:19], 4, v[28:29]
	s_and_not1_b32 vcc_lo, exec_lo, s37
	s_mov_b32 s17, -1
	s_delay_alu instid0(VALU_DEP_3) | instskip(NEXT) | instid1(VALU_DEP_3)
	v_fma_f64 v[2:3], s[10:11], v[32:33], -v[2:3]
	v_fmac_f64_e32 v[4:5], s[12:13], v[32:33]
	s_cbranch_vccnz .LBB571_34
; %bb.33:                               ;   in Loop: Header=BB571_7 Depth=1
	flat_load_b128 v[32:35], v[30:31]
	s_mov_b32 s17, 0
	s_wait_loadcnt_dscnt 0x0
	v_mul_f64_e32 v[36:37], s[28:29], v[34:35]
	v_mul_f64_e32 v[34:35], s[26:27], v[34:35]
	s_delay_alu instid0(VALU_DEP_2) | instskip(NEXT) | instid1(VALU_DEP_2)
	v_fma_f64 v[36:37], s[26:27], v[32:33], -v[36:37]
	v_fmac_f64_e32 v[34:35], s[28:29], v[32:33]
	s_delay_alu instid0(VALU_DEP_2) | instskip(NEXT) | instid1(VALU_DEP_2)
	v_add_f64_e32 v[32:33], v[2:3], v[36:37]
	v_add_f64_e32 v[34:35], v[4:5], v[34:35]
	flat_store_b128 v[30:31], v[32:35]
.LBB571_34:                             ;   in Loop: Header=BB571_7 Depth=1
	s_and_not1_b32 vcc_lo, exec_lo, s17
	s_cbranch_vccnz .LBB571_36
; %bb.35:                               ;   in Loop: Header=BB571_7 Depth=1
	flat_store_b128 v[30:31], v[2:5]
.LBB571_36:                             ;   in Loop: Header=BB571_7 Depth=1
	s_wait_xcnt 0x0
	s_or_b32 exec_lo, exec_lo, s16
	s_and_saveexec_b32 s16, s40
	s_cbranch_execz .LBB571_6
; %bb.37:                               ;   in Loop: Header=BB571_7 Depth=1
	s_delay_alu instid0(VALU_DEP_4) | instskip(SKIP_4) | instid1(VALU_DEP_3)
	v_mul_f64_e32 v[2:3], s[12:13], v[24:25]
	v_mul_f64_e32 v[4:5], s[10:11], v[24:25]
	v_lshl_add_u64 v[24:25], v[20:21], 4, v[28:29]
	s_and_not1_b32 vcc_lo, exec_lo, s37
	s_mov_b32 s17, -1
	v_fma_f64 v[2:3], s[10:11], v[26:27], -v[2:3]
	s_delay_alu instid0(VALU_DEP_3)
	v_fmac_f64_e32 v[4:5], s[12:13], v[26:27]
	s_cbranch_vccnz .LBB571_39
; %bb.38:                               ;   in Loop: Header=BB571_7 Depth=1
	flat_load_b128 v[26:29], v[24:25]
	s_mov_b32 s17, 0
	s_wait_loadcnt_dscnt 0x0
	v_mul_f64_e32 v[30:31], s[28:29], v[28:29]
	v_mul_f64_e32 v[28:29], s[26:27], v[28:29]
	s_delay_alu instid0(VALU_DEP_2) | instskip(NEXT) | instid1(VALU_DEP_2)
	v_fma_f64 v[30:31], s[26:27], v[26:27], -v[30:31]
	v_fmac_f64_e32 v[28:29], s[28:29], v[26:27]
	s_delay_alu instid0(VALU_DEP_2) | instskip(NEXT) | instid1(VALU_DEP_2)
	v_add_f64_e32 v[26:27], v[2:3], v[30:31]
	v_add_f64_e32 v[28:29], v[4:5], v[28:29]
	flat_store_b128 v[24:25], v[26:29]
.LBB571_39:                             ;   in Loop: Header=BB571_7 Depth=1
	s_and_not1_b32 vcc_lo, exec_lo, s17
	s_cbranch_vccnz .LBB571_6
; %bb.40:                               ;   in Loop: Header=BB571_7 Depth=1
	flat_store_b128 v[24:25], v[2:5]
	s_branch .LBB571_6
.LBB571_41:
.LBB571_42:
	s_sendmsg sendmsg(MSG_DEALLOC_VGPRS)
	s_endpgm
	.section	.rodata,"a",@progbits
	.p2align	6, 0x0
	.amdhsa_kernel _ZL29rocblas_internal_gemmt_kernelIlLi16ELi32ELi8ELc84ELc84ELc76ELb0ELb0E19rocblas_complex_numIdES1_PKPKS1_PKPS1_EviT_T9_T10_S9_lSB_S9_lSA_T11_S9_li
		.amdhsa_group_segment_fixed_size 8192
		.amdhsa_private_segment_fixed_size 0
		.amdhsa_kernarg_size 124
		.amdhsa_user_sgpr_count 2
		.amdhsa_user_sgpr_dispatch_ptr 0
		.amdhsa_user_sgpr_queue_ptr 0
		.amdhsa_user_sgpr_kernarg_segment_ptr 1
		.amdhsa_user_sgpr_dispatch_id 0
		.amdhsa_user_sgpr_kernarg_preload_length 0
		.amdhsa_user_sgpr_kernarg_preload_offset 0
		.amdhsa_user_sgpr_private_segment_size 0
		.amdhsa_wavefront_size32 1
		.amdhsa_uses_dynamic_stack 0
		.amdhsa_enable_private_segment 0
		.amdhsa_system_sgpr_workgroup_id_x 1
		.amdhsa_system_sgpr_workgroup_id_y 1
		.amdhsa_system_sgpr_workgroup_id_z 1
		.amdhsa_system_sgpr_workgroup_info 0
		.amdhsa_system_vgpr_workitem_id 1
		.amdhsa_next_free_vgpr 134
		.amdhsa_next_free_sgpr 43
		.amdhsa_named_barrier_count 0
		.amdhsa_reserve_vcc 1
		.amdhsa_float_round_mode_32 0
		.amdhsa_float_round_mode_16_64 0
		.amdhsa_float_denorm_mode_32 3
		.amdhsa_float_denorm_mode_16_64 3
		.amdhsa_fp16_overflow 0
		.amdhsa_memory_ordered 1
		.amdhsa_forward_progress 1
		.amdhsa_inst_pref_size 24
		.amdhsa_round_robin_scheduling 0
		.amdhsa_exception_fp_ieee_invalid_op 0
		.amdhsa_exception_fp_denorm_src 0
		.amdhsa_exception_fp_ieee_div_zero 0
		.amdhsa_exception_fp_ieee_overflow 0
		.amdhsa_exception_fp_ieee_underflow 0
		.amdhsa_exception_fp_ieee_inexact 0
		.amdhsa_exception_int_div_zero 0
	.end_amdhsa_kernel
	.section	.text._ZL29rocblas_internal_gemmt_kernelIlLi16ELi32ELi8ELc84ELc84ELc76ELb0ELb0E19rocblas_complex_numIdES1_PKPKS1_PKPS1_EviT_T9_T10_S9_lSB_S9_lSA_T11_S9_li,"axG",@progbits,_ZL29rocblas_internal_gemmt_kernelIlLi16ELi32ELi8ELc84ELc84ELc76ELb0ELb0E19rocblas_complex_numIdES1_PKPKS1_PKPS1_EviT_T9_T10_S9_lSB_S9_lSA_T11_S9_li,comdat
.Lfunc_end571:
	.size	_ZL29rocblas_internal_gemmt_kernelIlLi16ELi32ELi8ELc84ELc84ELc76ELb0ELb0E19rocblas_complex_numIdES1_PKPKS1_PKPS1_EviT_T9_T10_S9_lSB_S9_lSA_T11_S9_li, .Lfunc_end571-_ZL29rocblas_internal_gemmt_kernelIlLi16ELi32ELi8ELc84ELc84ELc76ELb0ELb0E19rocblas_complex_numIdES1_PKPKS1_PKPS1_EviT_T9_T10_S9_lSB_S9_lSA_T11_S9_li
                                        ; -- End function
	.set _ZL29rocblas_internal_gemmt_kernelIlLi16ELi32ELi8ELc84ELc84ELc76ELb0ELb0E19rocblas_complex_numIdES1_PKPKS1_PKPS1_EviT_T9_T10_S9_lSB_S9_lSA_T11_S9_li.num_vgpr, 134
	.set _ZL29rocblas_internal_gemmt_kernelIlLi16ELi32ELi8ELc84ELc84ELc76ELb0ELb0E19rocblas_complex_numIdES1_PKPKS1_PKPS1_EviT_T9_T10_S9_lSB_S9_lSA_T11_S9_li.num_agpr, 0
	.set _ZL29rocblas_internal_gemmt_kernelIlLi16ELi32ELi8ELc84ELc84ELc76ELb0ELb0E19rocblas_complex_numIdES1_PKPKS1_PKPS1_EviT_T9_T10_S9_lSB_S9_lSA_T11_S9_li.numbered_sgpr, 43
	.set _ZL29rocblas_internal_gemmt_kernelIlLi16ELi32ELi8ELc84ELc84ELc76ELb0ELb0E19rocblas_complex_numIdES1_PKPKS1_PKPS1_EviT_T9_T10_S9_lSB_S9_lSA_T11_S9_li.num_named_barrier, 0
	.set _ZL29rocblas_internal_gemmt_kernelIlLi16ELi32ELi8ELc84ELc84ELc76ELb0ELb0E19rocblas_complex_numIdES1_PKPKS1_PKPS1_EviT_T9_T10_S9_lSB_S9_lSA_T11_S9_li.private_seg_size, 0
	.set _ZL29rocblas_internal_gemmt_kernelIlLi16ELi32ELi8ELc84ELc84ELc76ELb0ELb0E19rocblas_complex_numIdES1_PKPKS1_PKPS1_EviT_T9_T10_S9_lSB_S9_lSA_T11_S9_li.uses_vcc, 1
	.set _ZL29rocblas_internal_gemmt_kernelIlLi16ELi32ELi8ELc84ELc84ELc76ELb0ELb0E19rocblas_complex_numIdES1_PKPKS1_PKPS1_EviT_T9_T10_S9_lSB_S9_lSA_T11_S9_li.uses_flat_scratch, 0
	.set _ZL29rocblas_internal_gemmt_kernelIlLi16ELi32ELi8ELc84ELc84ELc76ELb0ELb0E19rocblas_complex_numIdES1_PKPKS1_PKPS1_EviT_T9_T10_S9_lSB_S9_lSA_T11_S9_li.has_dyn_sized_stack, 0
	.set _ZL29rocblas_internal_gemmt_kernelIlLi16ELi32ELi8ELc84ELc84ELc76ELb0ELb0E19rocblas_complex_numIdES1_PKPKS1_PKPS1_EviT_T9_T10_S9_lSB_S9_lSA_T11_S9_li.has_recursion, 0
	.set _ZL29rocblas_internal_gemmt_kernelIlLi16ELi32ELi8ELc84ELc84ELc76ELb0ELb0E19rocblas_complex_numIdES1_PKPKS1_PKPS1_EviT_T9_T10_S9_lSB_S9_lSA_T11_S9_li.has_indirect_call, 0
	.section	.AMDGPU.csdata,"",@progbits
; Kernel info:
; codeLenInByte = 3020
; TotalNumSgprs: 45
; NumVgprs: 134
; ScratchSize: 0
; MemoryBound: 0
; FloatMode: 240
; IeeeMode: 1
; LDSByteSize: 8192 bytes/workgroup (compile time only)
; SGPRBlocks: 0
; VGPRBlocks: 8
; NumSGPRsForWavesPerEU: 45
; NumVGPRsForWavesPerEU: 134
; NamedBarCnt: 0
; Occupancy: 7
; WaveLimiterHint : 1
; COMPUTE_PGM_RSRC2:SCRATCH_EN: 0
; COMPUTE_PGM_RSRC2:USER_SGPR: 2
; COMPUTE_PGM_RSRC2:TRAP_HANDLER: 0
; COMPUTE_PGM_RSRC2:TGID_X_EN: 1
; COMPUTE_PGM_RSRC2:TGID_Y_EN: 1
; COMPUTE_PGM_RSRC2:TGID_Z_EN: 1
; COMPUTE_PGM_RSRC2:TIDIG_COMP_CNT: 1
	.section	.text._ZL29rocblas_internal_gemmt_kernelIlLi16ELi32ELi8ELc84ELc67ELc76ELb0ELb1E19rocblas_complex_numIdES1_PKPKS1_PKPS1_EviT_T9_T10_S9_lSB_S9_lSA_T11_S9_li,"axG",@progbits,_ZL29rocblas_internal_gemmt_kernelIlLi16ELi32ELi8ELc84ELc67ELc76ELb0ELb1E19rocblas_complex_numIdES1_PKPKS1_PKPS1_EviT_T9_T10_S9_lSB_S9_lSA_T11_S9_li,comdat
	.globl	_ZL29rocblas_internal_gemmt_kernelIlLi16ELi32ELi8ELc84ELc67ELc76ELb0ELb1E19rocblas_complex_numIdES1_PKPKS1_PKPS1_EviT_T9_T10_S9_lSB_S9_lSA_T11_S9_li ; -- Begin function _ZL29rocblas_internal_gemmt_kernelIlLi16ELi32ELi8ELc84ELc67ELc76ELb0ELb1E19rocblas_complex_numIdES1_PKPKS1_PKPS1_EviT_T9_T10_S9_lSB_S9_lSA_T11_S9_li
	.p2align	8
	.type	_ZL29rocblas_internal_gemmt_kernelIlLi16ELi32ELi8ELc84ELc67ELc76ELb0ELb1E19rocblas_complex_numIdES1_PKPKS1_PKPS1_EviT_T9_T10_S9_lSB_S9_lSA_T11_S9_li,@function
_ZL29rocblas_internal_gemmt_kernelIlLi16ELi32ELi8ELc84ELc67ELc76ELb0ELb1E19rocblas_complex_numIdES1_PKPKS1_PKPS1_EviT_T9_T10_S9_lSB_S9_lSA_T11_S9_li: ; @_ZL29rocblas_internal_gemmt_kernelIlLi16ELi32ELi8ELc84ELc67ELc76ELb0ELb1E19rocblas_complex_numIdES1_PKPKS1_PKPS1_EviT_T9_T10_S9_lSB_S9_lSA_T11_S9_li
; %bb.0:
	s_clause 0x1
	s_load_b256 s[24:31], s[0:1], 0x48
	s_load_b512 s[8:23], s[0:1], 0x8
	s_wait_kmcnt 0x0
	v_cmp_eq_f64_e64 s3, s[26:27], 1.0
	v_cmp_eq_f64_e64 s2, s[28:29], 0
	s_and_b32 s3, s3, s2
	s_delay_alu instid0(SALU_CYCLE_1)
	s_and_not1_b32 vcc_lo, exec_lo, s3
	s_mov_b32 s3, -1
	s_cbranch_vccnz .LBB572_3
; %bb.1:
	s_cmp_lg_u64 s[8:9], 0
	s_cbranch_scc0 .LBB572_39
; %bb.2:
	v_cmp_neq_f64_e64 s3, s[10:11], 0
	v_cmp_neq_f64_e64 s4, s[12:13], 0
	s_or_b32 s3, s3, s4
.LBB572_3:
	s_delay_alu instid0(SALU_CYCLE_1)
	s_and_b32 vcc_lo, exec_lo, s3
	s_cbranch_vccz .LBB572_40
; %bb.4:
	s_load_b32 s33, s[0:1], 0x78
	s_bfe_u32 s3, ttmp6, 0x40014
	s_lshr_b32 s4, ttmp7, 16
	s_add_co_i32 s3, s3, 1
	s_bfe_u32 s6, ttmp6, 0x40008
	s_mul_i32 s5, s4, s3
	s_getreg_b32 s3, hwreg(HW_REG_IB_STS2, 6, 4)
	s_add_co_i32 s6, s6, s5
	s_cmp_eq_u32 s3, 0
	s_mov_b32 s35, 0
	s_cselect_b32 s34, s4, s6
	s_wait_kmcnt 0x0
	s_cmp_ge_u32 s34, s33
	s_cbranch_scc1 .LBB572_40
; %bb.5:
	s_clause 0x1
	s_load_b128 s[4:7], s[0:1], 0x68
	s_load_b32 s38, s[0:1], 0x0
	s_wait_xcnt 0x0
	s_bfe_u32 s1, ttmp6, 0x4000c
	s_bfe_u32 s40, ttmp6, 0x40010
	s_and_b32 s39, ttmp7, 0xffff
	s_add_co_i32 s1, s1, 1
	s_add_co_i32 s40, s40, 1
	v_and_b32_e32 v19, 0x3ff, v0
	v_bfe_u32 v21, v0, 10, 10
	s_and_b32 s0, ttmp6, 15
	s_bfe_u32 s41, ttmp6, 0x40004
	s_mul_i32 s1, ttmp9, s1
	s_mul_i32 s40, s39, s40
	s_add_co_i32 s0, s0, s1
	s_add_co_i32 s41, s41, s40
	s_cmp_eq_u32 s3, 0
	v_lshl_add_u32 v1, v21, 4, v19
	s_cselect_b32 s1, s39, s41
	s_cselect_b32 s0, ttmp9, s0
	s_lshl_b32 s1, s1, 5
	s_delay_alu instid0(VALU_DEP_1) | instskip(SKIP_4) | instid1(VALU_DEP_3)
	v_dual_lshrrev_b32 v9, 3, v1 :: v_dual_bitop2_b32 v6, 7, v0 bitop3:0x40
	v_dual_lshrrev_b32 v8, 5, v1 :: v_dual_bitop2_b32 v7, 31, v1 bitop3:0x40
	s_lshl_b32 s39, s0, 5
	v_add_nc_u32_e32 v0, s1, v21
	v_cmp_neq_f64_e64 s36, s[10:11], 0
	v_dual_add_nc_u32 v10, s1, v9 :: v_dual_bitop2_b32 v2, s39, v7 bitop3:0x54
	v_cmp_neq_f64_e64 s37, s[12:13], 0
	s_delay_alu instid0(VALU_DEP_4) | instskip(SKIP_1) | instid1(VALU_DEP_4)
	v_add_nc_u32_e32 v4, 16, v0
	v_cmp_neq_f64_e64 s3, s[26:27], 0
	v_dual_ashrrev_i32 v3, 31, v2 :: v_dual_ashrrev_i32 v1, 31, v0
	s_delay_alu instid0(VALU_DEP_3) | instskip(SKIP_1) | instid1(VALU_DEP_3)
	v_dual_lshlrev_b32 v11, 4, v6 :: v_dual_ashrrev_i32 v5, 31, v4
	v_dual_add_nc_u32 v18, s39, v19 :: v_dual_lshlrev_b32 v46, 4, v19
	v_mul_u64_e32 v[12:13], s[16:17], v[2:3]
	s_wait_kmcnt 0x0
	v_mul_u64_e32 v[14:15], s[4:5], v[0:1]
	v_mul_u64_e32 v[16:17], s[4:5], v[4:5]
	s_xor_b32 s4, s2, -1
	v_dual_add_nc_u32 v20, 16, v18 :: v_dual_ashrrev_i32 v19, 31, v18
	v_cmp_le_i32_e32 vcc_lo, v0, v18
	v_cmp_gt_i32_e64 s2, s38, v18
	v_lshlrev_b32_e32 v7, 4, v7
	v_lshl_or_b32 v1, v9, 7, v11
	v_cmp_gt_i64_e64 s43, s[8:9], 0
	v_cmp_gt_i32_e64 s0, s38, v2
	v_cmp_gt_i32_e64 s1, s38, v10
	v_cmp_le_i32_e64 s5, v4, v20
	v_add_nc_u32_e32 v9, 0x1000, v1
	v_ashrrev_i32_e32 v11, 31, v10
	v_lshl_or_b32 v7, v8, 9, v7
	v_lshl_add_u32 v47, v21, 7, 0x1000
	v_dual_ashrrev_i32 v21, 31, v20 :: v_dual_mov_b32 v1, 0
	s_lshl_b64 s[6:7], s[6:7], 4
                                        ; implicit-def: $vgpr22_vgpr23
	s_or_b32 s42, s36, s37
	v_cmp_le_i32_e64 s36, s38, v2
	s_or_b32 s37, s3, s4
	v_cmp_le_i32_e64 s3, v0, v20
	v_cmp_gt_i32_e64 s4, s38, v20
	s_and_b32 s38, vcc_lo, s2
	v_cmp_le_i32_e32 vcc_lo, v4, v18
	s_and_b32 s42, s42, s43
	s_and_b32 s39, s3, s4
	;; [unrolled: 1-line block ×3, first 2 shown]
	s_and_b32 s40, vcc_lo, s2
	s_lshl_b64 s[2:3], s[24:25], 4
	s_lshl_b64 s[4:5], s[18:19], 4
	s_branch .LBB572_7
.LBB572_6:                              ;   in Loop: Header=BB572_7 Depth=1
	s_wait_xcnt 0x0
	s_or_b32 exec_lo, exec_lo, s16
	s_add_co_i32 s34, s34, 0x10000
	s_delay_alu instid0(SALU_CYCLE_1)
	s_cmp_lt_u32 s34, s33
	s_cbranch_scc0 .LBB572_40
.LBB572_7:                              ; =>This Loop Header: Depth=1
                                        ;     Child Loop BB572_10 Depth 2
	v_mov_b32_e32 v0, s34
	v_mov_b64_e32 v[42:43], 0
	s_and_not1_b32 vcc_lo, exec_lo, s42
	global_load_b64 v[24:25], v0, s[30:31] scale_offset
	s_cbranch_vccnz .LBB572_18
; %bb.8:                                ;   in Loop: Header=BB572_7 Depth=1
	s_lshl_b64 s[16:17], s[34:35], 3
	v_mov_b64_e32 v[26:27], 0
	s_add_nc_u64 s[18:19], s[14:15], s[16:17]
	s_add_nc_u64 s[16:17], s[20:21], s[16:17]
	s_clause 0x1
	global_load_b64 v[2:3], v1, s[18:19]
	global_load_b64 v[4:5], v1, s[16:17]
	v_mov_b64_e32 v[28:29], 0
	v_mov_b64_e32 v[36:37], 0
	;; [unrolled: 1-line block ×7, first 2 shown]
	s_wait_xcnt 0x0
	s_mov_b64 s[16:17], 0
	s_wait_loadcnt 0x1
	v_add_nc_u64_e32 v[2:3], s[4:5], v[2:3]
	s_wait_loadcnt 0x0
	v_add_nc_u64_e32 v[4:5], s[2:3], v[4:5]
	s_delay_alu instid0(VALU_DEP_2) | instskip(NEXT) | instid1(VALU_DEP_2)
	v_lshl_add_u64 v[30:31], v[12:13], 4, v[2:3]
	v_lshl_add_u64 v[32:33], v[10:11], 4, v[4:5]
	s_branch .LBB572_10
.LBB572_9:                              ;   in Loop: Header=BB572_10 Depth=2
	s_wait_xcnt 0x0
	s_or_b32 exec_lo, exec_lo, s18
	ds_store_b128 v9, v[2:5]
	s_wait_dscnt 0x0
	s_barrier_signal -1
	s_barrier_wait -1
	ds_load_b128 v[2:5], v47
	ds_load_b128 v[48:51], v46
	ds_load_b128 v[52:55], v46 offset:256
	ds_load_b128 v[56:59], v47 offset:2048
	;; [unrolled: 1-line block ×10, first 2 shown]
	s_add_nc_u64 s[16:17], s[16:17], 8
	s_delay_alu instid0(SALU_CYCLE_1)
	v_cmp_gt_i64_e64 s18, s[8:9], s[16:17]
	s_and_b32 vcc_lo, exec_lo, s18
	s_wait_dscnt 0xa
	v_mul_f64_e32 v[92:93], v[4:5], v[50:51]
	v_mul_f64_e32 v[94:95], v[2:3], v[50:51]
	s_wait_dscnt 0x9
	v_mul_f64_e32 v[96:97], v[4:5], v[54:55]
	v_mul_f64_e32 v[98:99], v[2:3], v[54:55]
	s_wait_dscnt 0x8
	v_mul_f64_e32 v[100:101], v[58:59], v[50:51]
	v_mul_f64_e32 v[102:103], v[56:57], v[50:51]
	v_mul_f64_e32 v[50:51], v[58:59], v[54:55]
	v_mul_f64_e32 v[104:105], v[56:57], v[54:55]
	s_wait_dscnt 0x6
	v_mul_f64_e32 v[106:107], v[62:63], v[66:67]
	v_mul_f64_e32 v[108:109], v[60:61], v[66:67]
	s_wait_dscnt 0x5
	v_mul_f64_e32 v[110:111], v[62:63], v[70:71]
	v_mul_f64_e32 v[112:113], v[60:61], v[70:71]
	s_wait_dscnt 0x4
	v_mul_f64_e32 v[114:115], v[74:75], v[66:67]
	v_mul_f64_e32 v[66:67], v[72:73], v[66:67]
	v_mul_f64_e32 v[116:117], v[74:75], v[70:71]
	v_mul_f64_e32 v[70:71], v[72:73], v[70:71]
	s_wait_dscnt 0x2
	v_mul_f64_e32 v[120:121], v[78:79], v[82:83]
	v_mul_f64_e32 v[122:123], v[76:77], v[82:83]
	s_wait_dscnt 0x1
	v_mul_f64_e32 v[124:125], v[78:79], v[86:87]
	v_mul_f64_e32 v[126:127], v[76:77], v[86:87]
	s_wait_dscnt 0x0
	v_mul_f64_e32 v[128:129], v[90:91], v[82:83]
	v_mul_f64_e32 v[82:83], v[88:89], v[82:83]
	v_mul_f64_e32 v[130:131], v[90:91], v[86:87]
	v_mul_f64_e32 v[86:87], v[88:89], v[86:87]
	v_fma_f64 v[92:93], v[2:3], v[48:49], -v[92:93]
	v_fmac_f64_e32 v[94:95], v[4:5], v[48:49]
	v_fma_f64 v[96:97], v[2:3], v[52:53], -v[96:97]
	v_fmac_f64_e32 v[98:99], v[4:5], v[52:53]
	v_fma_f64 v[100:101], v[56:57], v[48:49], -v[100:101]
	v_fmac_f64_e32 v[102:103], v[58:59], v[48:49]
	v_fma_f64 v[118:119], v[56:57], v[52:53], -v[50:51]
	v_fmac_f64_e32 v[104:105], v[58:59], v[52:53]
	v_fma_f64 v[106:107], v[60:61], v[64:65], -v[106:107]
	v_fmac_f64_e32 v[108:109], v[62:63], v[64:65]
	v_fma_f64 v[60:61], v[60:61], v[68:69], -v[110:111]
	v_fmac_f64_e32 v[112:113], v[62:63], v[68:69]
	v_fma_f64 v[62:63], v[72:73], v[64:65], -v[114:115]
	v_fmac_f64_e32 v[66:67], v[74:75], v[64:65]
	v_fma_f64 v[64:65], v[72:73], v[68:69], -v[116:117]
	v_fmac_f64_e32 v[70:71], v[74:75], v[68:69]
	ds_load_b128 v[2:5], v47 offset:48
	ds_load_b128 v[48:51], v47 offset:2096
	;; [unrolled: 1-line block ×4, first 2 shown]
	v_fma_f64 v[120:121], v[76:77], v[80:81], -v[120:121]
	v_fmac_f64_e32 v[122:123], v[78:79], v[80:81]
	v_fma_f64 v[76:77], v[76:77], v[84:85], -v[124:125]
	v_fmac_f64_e32 v[126:127], v[78:79], v[84:85]
	;; [unrolled: 2-line block ×4, first 2 shown]
	v_add_f64_e32 v[68:69], v[42:43], v[92:93]
	v_add_f64_e32 v[72:73], v[94:95], v[44:45]
	;; [unrolled: 1-line block ×8, first 2 shown]
	s_wait_dscnt 0x1
	v_mul_f64_e32 v[102:103], v[4:5], v[54:55]
	v_mul_f64_e32 v[104:105], v[2:3], v[54:55]
	s_wait_dscnt 0x0
	v_mul_f64_e32 v[110:111], v[4:5], v[58:59]
	v_mul_f64_e32 v[114:115], v[2:3], v[58:59]
	;; [unrolled: 1-line block ×6, first 2 shown]
	ds_load_b128 v[26:29], v47 offset:64
	ds_load_b128 v[34:37], v46 offset:2048
	;; [unrolled: 1-line block ×4, first 2 shown]
	v_add_f64_e32 v[84:85], v[68:69], v[106:107]
	v_add_f64_e32 v[88:89], v[108:109], v[72:73]
	;; [unrolled: 1-line block ×8, first 2 shown]
	s_wait_dscnt 0x2
	v_mul_f64_e32 v[100:101], v[28:29], v[36:37]
	v_mul_f64_e32 v[106:107], v[26:27], v[36:37]
	s_wait_dscnt 0x1
	v_mul_f64_e32 v[108:109], v[28:29], v[40:41]
	v_mul_f64_e32 v[112:113], v[26:27], v[40:41]
	;; [unrolled: 3-line block ×3, first 2 shown]
	v_mul_f64_e32 v[36:37], v[44:45], v[40:41]
	v_mul_f64_e32 v[130:131], v[42:43], v[40:41]
	v_fma_f64 v[40:41], v[2:3], v[52:53], -v[102:103]
	v_fmac_f64_e32 v[104:105], v[4:5], v[52:53]
	v_fma_f64 v[102:103], v[2:3], v[56:57], -v[110:111]
	v_fmac_f64_e32 v[114:115], v[4:5], v[56:57]
	;; [unrolled: 2-line block ×4, first 2 shown]
	ds_load_b128 v[58:61], v47 offset:80
	ds_load_b128 v[62:65], v47 offset:2128
	;; [unrolled: 1-line block ×4, first 2 shown]
	v_add_f64_e32 v[56:57], v[84:85], v[120:121]
	v_add_f64_e32 v[84:85], v[122:123], v[88:89]
	;; [unrolled: 1-line block ×8, first 2 shown]
	v_fma_f64 v[100:101], v[26:27], v[34:35], -v[100:101]
	v_fmac_f64_e32 v[106:107], v[28:29], v[34:35]
	v_fma_f64 v[108:109], v[26:27], v[38:39], -v[108:109]
	s_wait_dscnt 0x1
	v_mul_f64_e32 v[92:93], v[60:61], v[68:69]
	v_mul_f64_e32 v[94:95], v[58:59], v[68:69]
	s_wait_dscnt 0x0
	v_mul_f64_e32 v[96:97], v[60:61], v[72:73]
	v_mul_f64_e32 v[98:99], v[58:59], v[72:73]
	v_mul_f64_e32 v[120:121], v[64:65], v[68:69]
	v_mul_f64_e32 v[68:69], v[62:63], v[68:69]
	v_mul_f64_e32 v[122:123], v[64:65], v[72:73]
	v_mul_f64_e32 v[72:73], v[62:63], v[72:73]
	v_fmac_f64_e32 v[112:113], v[28:29], v[38:39]
	v_fma_f64 v[124:125], v[42:43], v[34:35], -v[124:125]
	v_fmac_f64_e32 v[128:129], v[44:45], v[34:35]
	v_fma_f64 v[126:127], v[42:43], v[38:39], -v[36:37]
	v_fmac_f64_e32 v[130:131], v[44:45], v[38:39]
	ds_load_b128 v[2:5], v47 offset:96
	ds_load_b128 v[48:51], v46 offset:3072
	;; [unrolled: 1-line block ×4, first 2 shown]
	v_add_f64_e32 v[56:57], v[56:57], v[40:41]
	v_add_f64_e32 v[84:85], v[104:105], v[84:85]
	;; [unrolled: 1-line block ×8, first 2 shown]
	ds_load_b128 v[26:29], v47 offset:112
	ds_load_b128 v[34:37], v47 offset:2160
	ds_load_b128 v[38:41], v46 offset:3584
	ds_load_b128 v[42:45], v46 offset:3840
	s_wait_dscnt 0x0
	v_mul_f64_e32 v[102:103], v[4:5], v[50:51]
	v_mul_f64_e32 v[104:105], v[2:3], v[50:51]
	;; [unrolled: 1-line block ×8, first 2 shown]
	v_fma_f64 v[92:93], v[58:59], v[66:67], -v[92:93]
	v_fmac_f64_e32 v[94:95], v[60:61], v[66:67]
	v_fma_f64 v[58:59], v[58:59], v[70:71], -v[96:97]
	v_fmac_f64_e32 v[98:99], v[60:61], v[70:71]
	;; [unrolled: 2-line block ×4, first 2 shown]
	s_barrier_signal -1
	s_barrier_wait -1
	v_mul_f64_e32 v[96:97], v[26:27], v[44:45]
	v_add_f64_e32 v[56:57], v[56:57], v[100:101]
	v_add_f64_e32 v[64:65], v[106:107], v[84:85]
	;; [unrolled: 1-line block ×8, first 2 shown]
	v_mul_f64_e32 v[86:87], v[28:29], v[40:41]
	v_mul_f64_e32 v[88:89], v[26:27], v[40:41]
	;; [unrolled: 1-line block ×7, first 2 shown]
	v_fma_f64 v[44:45], v[2:3], v[48:49], -v[102:103]
	v_fmac_f64_e32 v[104:105], v[4:5], v[48:49]
	v_fma_f64 v[2:3], v[2:3], v[52:53], -v[110:111]
	v_fmac_f64_e32 v[114:115], v[4:5], v[52:53]
	;; [unrolled: 2-line block ×4, first 2 shown]
	v_fmac_f64_e32 v[96:97], v[28:29], v[42:43]
	v_add_f64_e32 v[52:53], v[56:57], v[92:93]
	v_add_f64_e32 v[56:57], v[94:95], v[64:65]
	;; [unrolled: 1-line block ×8, first 2 shown]
	v_fma_f64 v[70:71], v[26:27], v[38:39], -v[86:87]
	v_fmac_f64_e32 v[88:89], v[28:29], v[38:39]
	v_fma_f64 v[26:27], v[26:27], v[42:43], -v[90:91]
	v_fma_f64 v[28:29], v[34:35], v[38:39], -v[100:101]
	v_fmac_f64_e32 v[106:107], v[36:37], v[38:39]
	v_fma_f64 v[72:73], v[34:35], v[42:43], -v[40:41]
	v_fmac_f64_e32 v[108:109], v[36:37], v[42:43]
	v_add_f64_e32 v[34:35], v[52:53], v[44:45]
	v_add_f64_e32 v[36:37], v[104:105], v[56:57]
	;; [unrolled: 1-line block ×16, first 2 shown]
	s_cbranch_vccz .LBB572_19
.LBB572_10:                             ;   Parent Loop BB572_7 Depth=1
                                        ; =>  This Inner Loop Header: Depth=2
	s_mov_b32 s18, 0
	s_mov_b32 s24, s36
	s_and_saveexec_b32 s19, s0
	s_cbranch_execnz .LBB572_16
; %bb.11:                               ;   in Loop: Header=BB572_10 Depth=2
	s_or_b32 exec_lo, exec_lo, s19
	s_and_saveexec_b32 s19, s24
	s_delay_alu instid0(SALU_CYCLE_1)
	s_xor_b32 s19, exec_lo, s19
	s_cbranch_execnz .LBB572_17
.LBB572_12:                             ;   in Loop: Header=BB572_10 Depth=2
	s_or_b32 exec_lo, exec_lo, s19
	s_and_saveexec_b32 s19, s18
	s_cbranch_execz .LBB572_14
.LBB572_13:                             ;   in Loop: Header=BB572_10 Depth=2
	v_lshl_add_u64 v[2:3], v[22:23], 4, v[30:31]
	flat_load_b128 v[2:5], v[2:3]
	s_wait_loadcnt_dscnt 0x0
	ds_store_2addr_b64 v7, v[2:3], v[4:5] offset1:1
.LBB572_14:                             ;   in Loop: Header=BB572_10 Depth=2
	s_wait_xcnt 0x0
	s_or_b32 exec_lo, exec_lo, s19
	v_add_nc_u32_e32 v0, s16, v6
	v_mov_b64_e32 v[2:3], 0
	v_mov_b64_e32 v[4:5], 0
	s_delay_alu instid0(VALU_DEP_3) | instskip(SKIP_1) | instid1(SALU_CYCLE_1)
	v_cmp_gt_u64_e32 vcc_lo, s[8:9], v[0:1]
	s_and_b32 s19, vcc_lo, s1
	s_and_saveexec_b32 s18, s19
	s_cbranch_execz .LBB572_9
; %bb.15:                               ;   in Loop: Header=BB572_10 Depth=2
	v_mul_u64_e32 v[2:3], s[22:23], v[0:1]
	s_delay_alu instid0(VALU_DEP_1)
	v_lshl_add_u64 v[2:3], v[2:3], 4, v[32:33]
	flat_load_b128 v[2:5], v[2:3]
	s_wait_loadcnt_dscnt 0x0
	v_xor_b32_e32 v5, 0x80000000, v5
	s_branch .LBB572_9
.LBB572_16:                             ;   in Loop: Header=BB572_10 Depth=2
	v_add_nc_u32_e32 v0, s16, v8
	s_and_not1_b32 s24, s36, exec_lo
	s_mov_b32 s18, exec_lo
	s_delay_alu instid0(VALU_DEP_1) | instskip(SKIP_2) | instid1(SALU_CYCLE_1)
	v_cmp_le_u64_e32 vcc_lo, s[8:9], v[0:1]
	v_mov_b64_e32 v[22:23], v[0:1]
	s_and_b32 s25, vcc_lo, exec_lo
	s_or_b32 s24, s24, s25
	s_or_b32 exec_lo, exec_lo, s19
	s_and_saveexec_b32 s19, s24
	s_delay_alu instid0(SALU_CYCLE_1)
	s_xor_b32 s19, exec_lo, s19
	s_cbranch_execz .LBB572_12
.LBB572_17:                             ;   in Loop: Header=BB572_10 Depth=2
	v_dual_mov_b32 v0, v1 :: v_dual_mov_b32 v2, v1
	v_mov_b32_e32 v3, v1
	s_and_not1_b32 s18, s18, exec_lo
	ds_store_b128 v7, v[0:3]
	s_or_b32 exec_lo, exec_lo, s19
	s_and_saveexec_b32 s19, s18
	s_cbranch_execnz .LBB572_13
	s_branch .LBB572_14
.LBB572_18:                             ;   in Loop: Header=BB572_7 Depth=1
	v_mov_b64_e32 v[44:45], 0
	v_mov_b64_e32 v[38:39], 0
	;; [unrolled: 1-line block ×7, first 2 shown]
.LBB572_19:                             ;   in Loop: Header=BB572_7 Depth=1
	s_wait_loadcnt 0x0
	v_add_nc_u64_e32 v[24:25], s[6:7], v[24:25]
	s_delay_alu instid0(VALU_DEP_1)
	v_lshl_add_u64 v[30:31], v[14:15], 4, v[24:25]
	s_wait_xcnt 0x0
	s_and_saveexec_b32 s16, s38
	s_cbranch_execz .LBB572_24
; %bb.20:                               ;   in Loop: Header=BB572_7 Depth=1
	v_mul_f64_e32 v[2:3], s[12:13], v[44:45]
	v_mul_f64_e32 v[4:5], s[10:11], v[44:45]
	v_lshl_add_u64 v[32:33], v[18:19], 4, v[30:31]
	s_and_b32 vcc_lo, exec_lo, s37
	s_mov_b32 s17, -1
	s_delay_alu instid0(VALU_DEP_3) | instskip(NEXT) | instid1(VALU_DEP_3)
	v_fma_f64 v[2:3], s[10:11], v[42:43], -v[2:3]
	v_fmac_f64_e32 v[4:5], s[12:13], v[42:43]
	s_cbranch_vccz .LBB572_22
; %bb.21:                               ;   in Loop: Header=BB572_7 Depth=1
	flat_load_b128 v[42:45], v[32:33]
	s_mov_b32 s17, 0
	s_wait_loadcnt_dscnt 0x0
	v_mul_f64_e32 v[48:49], s[28:29], v[44:45]
	v_mul_f64_e32 v[44:45], s[26:27], v[44:45]
	s_delay_alu instid0(VALU_DEP_2) | instskip(NEXT) | instid1(VALU_DEP_2)
	v_fma_f64 v[48:49], s[26:27], v[42:43], -v[48:49]
	v_fmac_f64_e32 v[44:45], s[28:29], v[42:43]
	s_delay_alu instid0(VALU_DEP_2) | instskip(NEXT) | instid1(VALU_DEP_2)
	v_add_f64_e32 v[42:43], v[2:3], v[48:49]
	v_add_f64_e32 v[44:45], v[4:5], v[44:45]
	flat_store_b128 v[32:33], v[42:45]
.LBB572_22:                             ;   in Loop: Header=BB572_7 Depth=1
	s_and_not1_b32 vcc_lo, exec_lo, s17
	s_cbranch_vccnz .LBB572_24
; %bb.23:                               ;   in Loop: Header=BB572_7 Depth=1
	flat_store_b128 v[32:33], v[2:5]
.LBB572_24:                             ;   in Loop: Header=BB572_7 Depth=1
	s_wait_xcnt 0x0
	s_or_b32 exec_lo, exec_lo, s16
	s_and_saveexec_b32 s16, s39
	s_cbranch_execz .LBB572_29
; %bb.25:                               ;   in Loop: Header=BB572_7 Depth=1
	v_mul_f64_e32 v[2:3], s[12:13], v[40:41]
	v_mul_f64_e32 v[4:5], s[10:11], v[40:41]
	v_lshl_add_u64 v[30:31], v[20:21], 4, v[30:31]
	s_and_not1_b32 vcc_lo, exec_lo, s37
	s_mov_b32 s17, -1
	s_delay_alu instid0(VALU_DEP_3) | instskip(NEXT) | instid1(VALU_DEP_3)
	v_fma_f64 v[2:3], s[10:11], v[38:39], -v[2:3]
	v_fmac_f64_e32 v[4:5], s[12:13], v[38:39]
	s_cbranch_vccnz .LBB572_27
; %bb.26:                               ;   in Loop: Header=BB572_7 Depth=1
	flat_load_b128 v[38:41], v[30:31]
	s_mov_b32 s17, 0
	s_wait_loadcnt_dscnt 0x0
	v_mul_f64_e32 v[32:33], s[28:29], v[40:41]
	v_mul_f64_e32 v[40:41], s[26:27], v[40:41]
	s_delay_alu instid0(VALU_DEP_2) | instskip(NEXT) | instid1(VALU_DEP_2)
	v_fma_f64 v[32:33], s[26:27], v[38:39], -v[32:33]
	v_fmac_f64_e32 v[40:41], s[28:29], v[38:39]
	s_delay_alu instid0(VALU_DEP_2) | instskip(NEXT) | instid1(VALU_DEP_2)
	v_add_f64_e32 v[38:39], v[2:3], v[32:33]
	v_add_f64_e32 v[40:41], v[4:5], v[40:41]
	flat_store_b128 v[30:31], v[38:41]
.LBB572_27:                             ;   in Loop: Header=BB572_7 Depth=1
	s_and_not1_b32 vcc_lo, exec_lo, s17
	s_cbranch_vccnz .LBB572_29
; %bb.28:                               ;   in Loop: Header=BB572_7 Depth=1
	flat_store_b128 v[30:31], v[2:5]
.LBB572_29:                             ;   in Loop: Header=BB572_7 Depth=1
	s_wait_xcnt 0x0
	s_or_b32 exec_lo, exec_lo, s16
	v_lshl_add_u64 v[24:25], v[16:17], 4, v[24:25]
	s_and_saveexec_b32 s16, s40
	s_cbranch_execz .LBB572_34
; %bb.30:                               ;   in Loop: Header=BB572_7 Depth=1
	v_mul_f64_e32 v[2:3], s[12:13], v[36:37]
	v_mul_f64_e32 v[4:5], s[10:11], v[36:37]
	v_lshl_add_u64 v[30:31], v[18:19], 4, v[24:25]
	s_and_not1_b32 vcc_lo, exec_lo, s37
	s_mov_b32 s17, -1
	s_delay_alu instid0(VALU_DEP_3) | instskip(NEXT) | instid1(VALU_DEP_3)
	v_fma_f64 v[2:3], s[10:11], v[34:35], -v[2:3]
	v_fmac_f64_e32 v[4:5], s[12:13], v[34:35]
	s_cbranch_vccnz .LBB572_32
; %bb.31:                               ;   in Loop: Header=BB572_7 Depth=1
	flat_load_b128 v[32:35], v[30:31]
	s_mov_b32 s17, 0
	s_wait_loadcnt_dscnt 0x0
	v_mul_f64_e32 v[36:37], s[28:29], v[34:35]
	v_mul_f64_e32 v[34:35], s[26:27], v[34:35]
	s_delay_alu instid0(VALU_DEP_2) | instskip(NEXT) | instid1(VALU_DEP_2)
	v_fma_f64 v[36:37], s[26:27], v[32:33], -v[36:37]
	v_fmac_f64_e32 v[34:35], s[28:29], v[32:33]
	s_delay_alu instid0(VALU_DEP_2) | instskip(NEXT) | instid1(VALU_DEP_2)
	v_add_f64_e32 v[32:33], v[2:3], v[36:37]
	v_add_f64_e32 v[34:35], v[4:5], v[34:35]
	flat_store_b128 v[30:31], v[32:35]
.LBB572_32:                             ;   in Loop: Header=BB572_7 Depth=1
	s_and_not1_b32 vcc_lo, exec_lo, s17
	s_cbranch_vccnz .LBB572_34
; %bb.33:                               ;   in Loop: Header=BB572_7 Depth=1
	flat_store_b128 v[30:31], v[2:5]
.LBB572_34:                             ;   in Loop: Header=BB572_7 Depth=1
	s_wait_xcnt 0x0
	s_or_b32 exec_lo, exec_lo, s16
	s_and_saveexec_b32 s16, s41
	s_cbranch_execz .LBB572_6
; %bb.35:                               ;   in Loop: Header=BB572_7 Depth=1
	s_delay_alu instid0(VALU_DEP_4) | instskip(SKIP_4) | instid1(VALU_DEP_3)
	v_mul_f64_e32 v[2:3], s[12:13], v[26:27]
	v_mul_f64_e32 v[4:5], s[10:11], v[26:27]
	v_lshl_add_u64 v[24:25], v[20:21], 4, v[24:25]
	s_and_not1_b32 vcc_lo, exec_lo, s37
	s_mov_b32 s17, -1
	v_fma_f64 v[2:3], s[10:11], v[28:29], -v[2:3]
	s_delay_alu instid0(VALU_DEP_3)
	v_fmac_f64_e32 v[4:5], s[12:13], v[28:29]
	s_cbranch_vccnz .LBB572_37
; %bb.36:                               ;   in Loop: Header=BB572_7 Depth=1
	flat_load_b128 v[26:29], v[24:25]
	s_mov_b32 s17, 0
	s_wait_loadcnt_dscnt 0x0
	v_mul_f64_e32 v[30:31], s[28:29], v[28:29]
	v_mul_f64_e32 v[28:29], s[26:27], v[28:29]
	s_delay_alu instid0(VALU_DEP_2) | instskip(NEXT) | instid1(VALU_DEP_2)
	v_fma_f64 v[30:31], s[26:27], v[26:27], -v[30:31]
	v_fmac_f64_e32 v[28:29], s[28:29], v[26:27]
	s_delay_alu instid0(VALU_DEP_2) | instskip(NEXT) | instid1(VALU_DEP_2)
	v_add_f64_e32 v[26:27], v[2:3], v[30:31]
	v_add_f64_e32 v[28:29], v[4:5], v[28:29]
	flat_store_b128 v[24:25], v[26:29]
.LBB572_37:                             ;   in Loop: Header=BB572_7 Depth=1
	s_and_not1_b32 vcc_lo, exec_lo, s17
	s_cbranch_vccnz .LBB572_6
; %bb.38:                               ;   in Loop: Header=BB572_7 Depth=1
	flat_store_b128 v[24:25], v[2:5]
	s_branch .LBB572_6
.LBB572_39:
.LBB572_40:
	s_sendmsg sendmsg(MSG_DEALLOC_VGPRS)
	s_endpgm
	.section	.rodata,"a",@progbits
	.p2align	6, 0x0
	.amdhsa_kernel _ZL29rocblas_internal_gemmt_kernelIlLi16ELi32ELi8ELc84ELc67ELc76ELb0ELb1E19rocblas_complex_numIdES1_PKPKS1_PKPS1_EviT_T9_T10_S9_lSB_S9_lSA_T11_S9_li
		.amdhsa_group_segment_fixed_size 8192
		.amdhsa_private_segment_fixed_size 0
		.amdhsa_kernarg_size 124
		.amdhsa_user_sgpr_count 2
		.amdhsa_user_sgpr_dispatch_ptr 0
		.amdhsa_user_sgpr_queue_ptr 0
		.amdhsa_user_sgpr_kernarg_segment_ptr 1
		.amdhsa_user_sgpr_dispatch_id 0
		.amdhsa_user_sgpr_kernarg_preload_length 0
		.amdhsa_user_sgpr_kernarg_preload_offset 0
		.amdhsa_user_sgpr_private_segment_size 0
		.amdhsa_wavefront_size32 1
		.amdhsa_uses_dynamic_stack 0
		.amdhsa_enable_private_segment 0
		.amdhsa_system_sgpr_workgroup_id_x 1
		.amdhsa_system_sgpr_workgroup_id_y 1
		.amdhsa_system_sgpr_workgroup_id_z 1
		.amdhsa_system_sgpr_workgroup_info 0
		.amdhsa_system_vgpr_workitem_id 1
		.amdhsa_next_free_vgpr 134
		.amdhsa_next_free_sgpr 44
		.amdhsa_named_barrier_count 0
		.amdhsa_reserve_vcc 1
		.amdhsa_float_round_mode_32 0
		.amdhsa_float_round_mode_16_64 0
		.amdhsa_float_denorm_mode_32 3
		.amdhsa_float_denorm_mode_16_64 3
		.amdhsa_fp16_overflow 0
		.amdhsa_memory_ordered 1
		.amdhsa_forward_progress 1
		.amdhsa_inst_pref_size 24
		.amdhsa_round_robin_scheduling 0
		.amdhsa_exception_fp_ieee_invalid_op 0
		.amdhsa_exception_fp_denorm_src 0
		.amdhsa_exception_fp_ieee_div_zero 0
		.amdhsa_exception_fp_ieee_overflow 0
		.amdhsa_exception_fp_ieee_underflow 0
		.amdhsa_exception_fp_ieee_inexact 0
		.amdhsa_exception_int_div_zero 0
	.end_amdhsa_kernel
	.section	.text._ZL29rocblas_internal_gemmt_kernelIlLi16ELi32ELi8ELc84ELc67ELc76ELb0ELb1E19rocblas_complex_numIdES1_PKPKS1_PKPS1_EviT_T9_T10_S9_lSB_S9_lSA_T11_S9_li,"axG",@progbits,_ZL29rocblas_internal_gemmt_kernelIlLi16ELi32ELi8ELc84ELc67ELc76ELb0ELb1E19rocblas_complex_numIdES1_PKPKS1_PKPS1_EviT_T9_T10_S9_lSB_S9_lSA_T11_S9_li,comdat
.Lfunc_end572:
	.size	_ZL29rocblas_internal_gemmt_kernelIlLi16ELi32ELi8ELc84ELc67ELc76ELb0ELb1E19rocblas_complex_numIdES1_PKPKS1_PKPS1_EviT_T9_T10_S9_lSB_S9_lSA_T11_S9_li, .Lfunc_end572-_ZL29rocblas_internal_gemmt_kernelIlLi16ELi32ELi8ELc84ELc67ELc76ELb0ELb1E19rocblas_complex_numIdES1_PKPKS1_PKPS1_EviT_T9_T10_S9_lSB_S9_lSA_T11_S9_li
                                        ; -- End function
	.set _ZL29rocblas_internal_gemmt_kernelIlLi16ELi32ELi8ELc84ELc67ELc76ELb0ELb1E19rocblas_complex_numIdES1_PKPKS1_PKPS1_EviT_T9_T10_S9_lSB_S9_lSA_T11_S9_li.num_vgpr, 134
	.set _ZL29rocblas_internal_gemmt_kernelIlLi16ELi32ELi8ELc84ELc67ELc76ELb0ELb1E19rocblas_complex_numIdES1_PKPKS1_PKPS1_EviT_T9_T10_S9_lSB_S9_lSA_T11_S9_li.num_agpr, 0
	.set _ZL29rocblas_internal_gemmt_kernelIlLi16ELi32ELi8ELc84ELc67ELc76ELb0ELb1E19rocblas_complex_numIdES1_PKPKS1_PKPS1_EviT_T9_T10_S9_lSB_S9_lSA_T11_S9_li.numbered_sgpr, 44
	.set _ZL29rocblas_internal_gemmt_kernelIlLi16ELi32ELi8ELc84ELc67ELc76ELb0ELb1E19rocblas_complex_numIdES1_PKPKS1_PKPS1_EviT_T9_T10_S9_lSB_S9_lSA_T11_S9_li.num_named_barrier, 0
	.set _ZL29rocblas_internal_gemmt_kernelIlLi16ELi32ELi8ELc84ELc67ELc76ELb0ELb1E19rocblas_complex_numIdES1_PKPKS1_PKPS1_EviT_T9_T10_S9_lSB_S9_lSA_T11_S9_li.private_seg_size, 0
	.set _ZL29rocblas_internal_gemmt_kernelIlLi16ELi32ELi8ELc84ELc67ELc76ELb0ELb1E19rocblas_complex_numIdES1_PKPKS1_PKPS1_EviT_T9_T10_S9_lSB_S9_lSA_T11_S9_li.uses_vcc, 1
	.set _ZL29rocblas_internal_gemmt_kernelIlLi16ELi32ELi8ELc84ELc67ELc76ELb0ELb1E19rocblas_complex_numIdES1_PKPKS1_PKPS1_EviT_T9_T10_S9_lSB_S9_lSA_T11_S9_li.uses_flat_scratch, 0
	.set _ZL29rocblas_internal_gemmt_kernelIlLi16ELi32ELi8ELc84ELc67ELc76ELb0ELb1E19rocblas_complex_numIdES1_PKPKS1_PKPS1_EviT_T9_T10_S9_lSB_S9_lSA_T11_S9_li.has_dyn_sized_stack, 0
	.set _ZL29rocblas_internal_gemmt_kernelIlLi16ELi32ELi8ELc84ELc67ELc76ELb0ELb1E19rocblas_complex_numIdES1_PKPKS1_PKPS1_EviT_T9_T10_S9_lSB_S9_lSA_T11_S9_li.has_recursion, 0
	.set _ZL29rocblas_internal_gemmt_kernelIlLi16ELi32ELi8ELc84ELc67ELc76ELb0ELb1E19rocblas_complex_numIdES1_PKPKS1_PKPS1_EviT_T9_T10_S9_lSB_S9_lSA_T11_S9_li.has_indirect_call, 0
	.section	.AMDGPU.csdata,"",@progbits
; Kernel info:
; codeLenInByte = 2992
; TotalNumSgprs: 46
; NumVgprs: 134
; ScratchSize: 0
; MemoryBound: 1
; FloatMode: 240
; IeeeMode: 1
; LDSByteSize: 8192 bytes/workgroup (compile time only)
; SGPRBlocks: 0
; VGPRBlocks: 8
; NumSGPRsForWavesPerEU: 46
; NumVGPRsForWavesPerEU: 134
; NamedBarCnt: 0
; Occupancy: 7
; WaveLimiterHint : 1
; COMPUTE_PGM_RSRC2:SCRATCH_EN: 0
; COMPUTE_PGM_RSRC2:USER_SGPR: 2
; COMPUTE_PGM_RSRC2:TRAP_HANDLER: 0
; COMPUTE_PGM_RSRC2:TGID_X_EN: 1
; COMPUTE_PGM_RSRC2:TGID_Y_EN: 1
; COMPUTE_PGM_RSRC2:TGID_Z_EN: 1
; COMPUTE_PGM_RSRC2:TIDIG_COMP_CNT: 1
	.section	.text._ZL29rocblas_internal_gemmt_kernelIlLi16ELi32ELi8ELc67ELc78ELc76ELb1ELb0E19rocblas_complex_numIdES1_PKPKS1_PKPS1_EviT_T9_T10_S9_lSB_S9_lSA_T11_S9_li,"axG",@progbits,_ZL29rocblas_internal_gemmt_kernelIlLi16ELi32ELi8ELc67ELc78ELc76ELb1ELb0E19rocblas_complex_numIdES1_PKPKS1_PKPS1_EviT_T9_T10_S9_lSB_S9_lSA_T11_S9_li,comdat
	.globl	_ZL29rocblas_internal_gemmt_kernelIlLi16ELi32ELi8ELc67ELc78ELc76ELb1ELb0E19rocblas_complex_numIdES1_PKPKS1_PKPS1_EviT_T9_T10_S9_lSB_S9_lSA_T11_S9_li ; -- Begin function _ZL29rocblas_internal_gemmt_kernelIlLi16ELi32ELi8ELc67ELc78ELc76ELb1ELb0E19rocblas_complex_numIdES1_PKPKS1_PKPS1_EviT_T9_T10_S9_lSB_S9_lSA_T11_S9_li
	.p2align	8
	.type	_ZL29rocblas_internal_gemmt_kernelIlLi16ELi32ELi8ELc67ELc78ELc76ELb1ELb0E19rocblas_complex_numIdES1_PKPKS1_PKPS1_EviT_T9_T10_S9_lSB_S9_lSA_T11_S9_li,@function
_ZL29rocblas_internal_gemmt_kernelIlLi16ELi32ELi8ELc67ELc78ELc76ELb1ELb0E19rocblas_complex_numIdES1_PKPKS1_PKPS1_EviT_T9_T10_S9_lSB_S9_lSA_T11_S9_li: ; @_ZL29rocblas_internal_gemmt_kernelIlLi16ELi32ELi8ELc67ELc78ELc76ELb1ELb0E19rocblas_complex_numIdES1_PKPKS1_PKPS1_EviT_T9_T10_S9_lSB_S9_lSA_T11_S9_li
; %bb.0:
	s_clause 0x1
	s_load_b256 s[24:31], s[0:1], 0x48
	s_load_b512 s[8:23], s[0:1], 0x8
	s_wait_kmcnt 0x0
	v_cmp_eq_f64_e64 s3, s[26:27], 1.0
	v_cmp_eq_f64_e64 s2, s[28:29], 0
	s_and_b32 s3, s3, s2
	s_delay_alu instid0(SALU_CYCLE_1)
	s_and_not1_b32 vcc_lo, exec_lo, s3
	s_mov_b32 s3, -1
	s_cbranch_vccnz .LBB573_3
; %bb.1:
	s_cmp_lg_u64 s[8:9], 0
	s_cbranch_scc0 .LBB573_38
; %bb.2:
	v_cmp_neq_f64_e64 s3, s[10:11], 0
	v_cmp_neq_f64_e64 s4, s[12:13], 0
	s_or_b32 s3, s3, s4
.LBB573_3:
	s_delay_alu instid0(SALU_CYCLE_1)
	s_and_b32 vcc_lo, exec_lo, s3
	s_cbranch_vccz .LBB573_39
; %bb.4:
	s_load_b32 s33, s[0:1], 0x78
	s_bfe_u32 s3, ttmp6, 0x40014
	s_lshr_b32 s4, ttmp7, 16
	s_add_co_i32 s3, s3, 1
	s_bfe_u32 s6, ttmp6, 0x40008
	s_mul_i32 s5, s4, s3
	s_getreg_b32 s3, hwreg(HW_REG_IB_STS2, 6, 4)
	s_add_co_i32 s6, s6, s5
	s_cmp_eq_u32 s3, 0
	s_mov_b32 s35, 0
	s_cselect_b32 s34, s4, s6
	s_wait_kmcnt 0x0
	s_cmp_ge_u32 s34, s33
	s_cbranch_scc1 .LBB573_39
; %bb.5:
	s_clause 0x1
	s_load_b128 s[4:7], s[0:1], 0x68
	s_load_b32 s38, s[0:1], 0x0
	s_wait_xcnt 0x0
	s_bfe_u32 s1, ttmp6, 0x4000c
	s_bfe_u32 s40, ttmp6, 0x40010
	s_and_b32 s39, ttmp7, 0xffff
	s_add_co_i32 s1, s1, 1
	s_add_co_i32 s40, s40, 1
	v_and_b32_e32 v19, 0x3ff, v0
	v_bfe_u32 v21, v0, 10, 10
	s_and_b32 s0, ttmp6, 15
	s_bfe_u32 s41, ttmp6, 0x40004
	s_mul_i32 s1, ttmp9, s1
	s_mul_i32 s40, s39, s40
	s_add_co_i32 s0, s0, s1
	s_add_co_i32 s41, s41, s40
	s_cmp_eq_u32 s3, 0
	v_lshl_add_u32 v1, v21, 4, v19
	s_cselect_b32 s1, s39, s41
	s_cselect_b32 s0, ttmp9, s0
	s_lshl_b32 s1, s1, 5
	s_delay_alu instid0(VALU_DEP_1) | instskip(SKIP_4) | instid1(VALU_DEP_3)
	v_dual_lshrrev_b32 v7, 3, v1 :: v_dual_bitop2_b32 v6, 7, v0 bitop3:0x40
	v_dual_lshrrev_b32 v8, 5, v1 :: v_dual_bitop2_b32 v3, 31, v1 bitop3:0x40
	s_lshl_b32 s39, s0, 5
	v_add_nc_u32_e32 v0, s1, v21
	v_cmp_neq_f64_e64 s3, s[26:27], 0
	v_or_b32_e32 v2, s39, v3
	v_add_nc_u32_e32 v4, s1, v7
	s_delay_alu instid0(VALU_DEP_4) | instskip(SKIP_1) | instid1(VALU_DEP_3)
	v_dual_lshlrev_b32 v9, 4, v3 :: v_dual_add_nc_u32 v22, 16, v0
	v_dual_ashrrev_i32 v1, 31, v0 :: v_dual_lshlrev_b32 v18, 4, v6
	v_dual_ashrrev_i32 v3, 31, v2 :: v_dual_ashrrev_i32 v5, 31, v4
	s_delay_alu instid0(VALU_DEP_3) | instskip(SKIP_2) | instid1(VALU_DEP_4)
	v_ashrrev_i32_e32 v23, 31, v22
	v_cmp_neq_f64_e64 s36, s[10:11], 0
	v_cmp_neq_f64_e64 s37, s[12:13], 0
	v_mul_u64_e32 v[10:11], s[16:17], v[2:3]
	v_mul_u64_e32 v[12:13], s[22:23], v[4:5]
	s_wait_kmcnt 0x0
	v_mul_u64_e32 v[14:15], s[4:5], v[0:1]
	v_mul_u64_e32 v[16:17], s[4:5], v[22:23]
	v_lshl_or_b32 v1, v7, 7, v18
	v_dual_add_nc_u32 v18, s39, v19 :: v_dual_lshlrev_b32 v44, 4, v19
	s_xor_b32 s4, s2, -1
	v_cmp_gt_i64_e64 s42, s[8:9], 0
	v_cmp_gt_i32_e32 vcc_lo, s38, v4
	s_delay_alu instid0(VALU_DEP_3) | instskip(SKIP_3) | instid1(VALU_DEP_4)
	v_dual_add_nc_u32 v20, 16, v18 :: v_dual_ashrrev_i32 v19, 31, v18
	v_cmp_le_i32_e64 s1, v0, v18
	v_cmp_gt_i32_e64 s2, s38, v18
	v_cmp_gt_i32_e64 s0, s38, v2
	v_cmp_le_i32_e64 s5, v22, v20
	v_lshl_or_b32 v7, v8, 9, v9
	v_add_nc_u32_e32 v9, 0x1000, v1
	s_and_b32 s23, s1, s2
	v_cmp_le_i32_e64 s1, v22, v18
	s_or_b32 s22, s3, s4
	v_cmp_le_i32_e64 s3, v0, v20
	v_cmp_gt_i32_e64 s4, s38, v20
	v_lshl_add_u32 v45, v21, 7, 0x1000
	v_dual_ashrrev_i32 v21, 31, v20 :: v_dual_mov_b32 v1, 0
	s_and_b32 s1, s1, s2
	s_lshl_b64 s[6:7], s[6:7], 4
	s_or_b32 s40, s36, s37
	s_and_b32 s36, s3, s4
	s_and_b32 s37, s5, s4
	;; [unrolled: 1-line block ×3, first 2 shown]
	s_lshl_b64 s[2:3], s[24:25], 4
	s_lshl_b64 s[4:5], s[18:19], 4
	s_xor_b32 s18, vcc_lo, -1
	s_branch .LBB573_7
.LBB573_6:                              ;   in Loop: Header=BB573_7 Depth=1
	s_wait_xcnt 0x0
	s_or_b32 exec_lo, exec_lo, s16
	s_add_co_i32 s34, s34, 0x10000
	s_delay_alu instid0(SALU_CYCLE_1)
	s_cmp_lt_u32 s34, s33
	s_cbranch_scc0 .LBB573_39
.LBB573_7:                              ; =>This Loop Header: Depth=1
                                        ;     Child Loop BB573_10 Depth 2
	v_mov_b32_e32 v0, s34
	v_mov_b64_e32 v[40:41], 0
	v_mov_b64_e32 v[42:43], 0
	;; [unrolled: 1-line block ×4, first 2 shown]
	global_load_b64 v[22:23], v0, s[30:31] scale_offset
	v_mov_b64_e32 v[32:33], 0
	v_mov_b64_e32 v[34:35], 0
	;; [unrolled: 1-line block ×4, first 2 shown]
	s_and_not1_b32 vcc_lo, exec_lo, s38
	s_cbranch_vccnz .LBB573_18
; %bb.8:                                ;   in Loop: Header=BB573_7 Depth=1
	s_lshl_b64 s[16:17], s[34:35], 3
	v_mov_b64_e32 v[26:27], 0
	s_add_nc_u64 s[24:25], s[14:15], s[16:17]
	s_add_nc_u64 s[16:17], s[20:21], s[16:17]
	s_clause 0x1
	global_load_b64 v[2:3], v1, s[24:25]
	global_load_b64 v[4:5], v1, s[16:17]
	v_mov_b64_e32 v[24:25], 0
	v_mov_b64_e32 v[34:35], 0
	;; [unrolled: 1-line block ×7, first 2 shown]
	s_wait_xcnt 0x0
	s_mov_b64 s[16:17], 0
	s_wait_loadcnt 0x1
	v_add_nc_u64_e32 v[2:3], s[4:5], v[2:3]
	s_wait_loadcnt 0x0
	v_add_nc_u64_e32 v[4:5], s[2:3], v[4:5]
	s_delay_alu instid0(VALU_DEP_2) | instskip(NEXT) | instid1(VALU_DEP_2)
	v_lshl_add_u64 v[28:29], v[10:11], 4, v[2:3]
	v_lshl_add_u64 v[30:31], v[12:13], 4, v[4:5]
	s_branch .LBB573_10
.LBB573_9:                              ;   in Loop: Header=BB573_10 Depth=2
	s_wait_xcnt 0x0
	s_or_b32 exec_lo, exec_lo, s19
	s_wait_dscnt 0x0
	s_barrier_signal -1
	s_barrier_wait -1
	ds_load_b128 v[2:5], v45
	ds_load_b128 v[46:49], v44
	ds_load_b128 v[50:53], v44 offset:256
	ds_load_b128 v[54:57], v45 offset:2048
	;; [unrolled: 1-line block ×10, first 2 shown]
	s_add_nc_u64 s[16:17], s[16:17], 8
	s_delay_alu instid0(SALU_CYCLE_1)
	v_cmp_gt_i64_e64 s19, s[8:9], s[16:17]
	s_and_b32 vcc_lo, exec_lo, s19
	s_wait_dscnt 0xa
	v_mul_f64_e32 v[90:91], v[4:5], v[48:49]
	v_mul_f64_e32 v[92:93], v[2:3], v[48:49]
	s_wait_dscnt 0x9
	v_mul_f64_e32 v[94:95], v[4:5], v[52:53]
	v_mul_f64_e32 v[96:97], v[2:3], v[52:53]
	s_wait_dscnt 0x8
	v_mul_f64_e32 v[98:99], v[56:57], v[48:49]
	v_mul_f64_e32 v[100:101], v[54:55], v[48:49]
	v_mul_f64_e32 v[48:49], v[56:57], v[52:53]
	v_mul_f64_e32 v[102:103], v[54:55], v[52:53]
	s_wait_dscnt 0x6
	v_mul_f64_e32 v[104:105], v[60:61], v[64:65]
	v_mul_f64_e32 v[106:107], v[58:59], v[64:65]
	s_wait_dscnt 0x5
	v_mul_f64_e32 v[108:109], v[60:61], v[68:69]
	v_mul_f64_e32 v[110:111], v[58:59], v[68:69]
	s_wait_dscnt 0x4
	v_mul_f64_e32 v[112:113], v[72:73], v[64:65]
	v_mul_f64_e32 v[64:65], v[70:71], v[64:65]
	v_mul_f64_e32 v[114:115], v[72:73], v[68:69]
	v_mul_f64_e32 v[68:69], v[70:71], v[68:69]
	;; [unrolled: 11-line block ×3, first 2 shown]
	v_fma_f64 v[90:91], v[2:3], v[46:47], -v[90:91]
	v_fmac_f64_e32 v[92:93], v[4:5], v[46:47]
	v_fma_f64 v[94:95], v[2:3], v[50:51], -v[94:95]
	v_fmac_f64_e32 v[96:97], v[4:5], v[50:51]
	;; [unrolled: 2-line block ×8, first 2 shown]
	ds_load_b128 v[2:5], v45 offset:48
	ds_load_b128 v[46:49], v45 offset:2096
	ds_load_b128 v[50:53], v44 offset:1536
	ds_load_b128 v[54:57], v44 offset:1792
	v_fma_f64 v[118:119], v[74:75], v[78:79], -v[118:119]
	v_fmac_f64_e32 v[120:121], v[76:77], v[78:79]
	v_fma_f64 v[74:75], v[74:75], v[82:83], -v[122:123]
	v_fmac_f64_e32 v[124:125], v[76:77], v[82:83]
	;; [unrolled: 2-line block ×4, first 2 shown]
	v_add_f64_e32 v[66:67], v[40:41], v[90:91]
	v_add_f64_e32 v[70:71], v[92:93], v[42:43]
	;; [unrolled: 1-line block ×8, first 2 shown]
	s_wait_dscnt 0x1
	v_mul_f64_e32 v[100:101], v[4:5], v[52:53]
	v_mul_f64_e32 v[102:103], v[2:3], v[52:53]
	s_wait_dscnt 0x0
	v_mul_f64_e32 v[108:109], v[4:5], v[56:57]
	v_mul_f64_e32 v[112:113], v[2:3], v[56:57]
	;; [unrolled: 1-line block ×6, first 2 shown]
	ds_load_b128 v[24:27], v45 offset:64
	ds_load_b128 v[32:35], v44 offset:2048
	;; [unrolled: 1-line block ×4, first 2 shown]
	v_add_f64_e32 v[82:83], v[66:67], v[104:105]
	v_add_f64_e32 v[86:87], v[106:107], v[70:71]
	;; [unrolled: 1-line block ×8, first 2 shown]
	s_wait_dscnt 0x2
	v_mul_f64_e32 v[98:99], v[26:27], v[34:35]
	v_mul_f64_e32 v[104:105], v[24:25], v[34:35]
	s_wait_dscnt 0x1
	v_mul_f64_e32 v[106:107], v[26:27], v[38:39]
	v_mul_f64_e32 v[110:111], v[24:25], v[38:39]
	;; [unrolled: 3-line block ×3, first 2 shown]
	v_mul_f64_e32 v[34:35], v[42:43], v[38:39]
	v_mul_f64_e32 v[128:129], v[40:41], v[38:39]
	v_fma_f64 v[38:39], v[2:3], v[50:51], -v[100:101]
	v_fmac_f64_e32 v[102:103], v[4:5], v[50:51]
	v_fma_f64 v[100:101], v[2:3], v[54:55], -v[108:109]
	v_fmac_f64_e32 v[112:113], v[4:5], v[54:55]
	;; [unrolled: 2-line block ×4, first 2 shown]
	ds_load_b128 v[56:59], v45 offset:80
	ds_load_b128 v[60:63], v45 offset:2128
	;; [unrolled: 1-line block ×4, first 2 shown]
	v_add_f64_e32 v[54:55], v[82:83], v[118:119]
	v_add_f64_e32 v[82:83], v[120:121], v[86:87]
	;; [unrolled: 1-line block ×8, first 2 shown]
	v_fma_f64 v[98:99], v[24:25], v[32:33], -v[98:99]
	v_fmac_f64_e32 v[104:105], v[26:27], v[32:33]
	v_fma_f64 v[106:107], v[24:25], v[36:37], -v[106:107]
	s_wait_dscnt 0x1
	v_mul_f64_e32 v[90:91], v[58:59], v[66:67]
	v_mul_f64_e32 v[92:93], v[56:57], v[66:67]
	s_wait_dscnt 0x0
	v_mul_f64_e32 v[94:95], v[58:59], v[70:71]
	v_mul_f64_e32 v[96:97], v[56:57], v[70:71]
	;; [unrolled: 1-line block ×6, first 2 shown]
	v_fmac_f64_e32 v[110:111], v[26:27], v[36:37]
	v_fma_f64 v[122:123], v[40:41], v[32:33], -v[122:123]
	v_fmac_f64_e32 v[126:127], v[42:43], v[32:33]
	v_fma_f64 v[124:125], v[40:41], v[36:37], -v[34:35]
	v_fmac_f64_e32 v[128:129], v[42:43], v[36:37]
	ds_load_b128 v[2:5], v45 offset:96
	ds_load_b128 v[46:49], v44 offset:3072
	;; [unrolled: 1-line block ×4, first 2 shown]
	v_add_f64_e32 v[54:55], v[54:55], v[38:39]
	v_add_f64_e32 v[82:83], v[102:103], v[82:83]
	;; [unrolled: 1-line block ×8, first 2 shown]
	ds_load_b128 v[24:27], v45 offset:112
	ds_load_b128 v[32:35], v45 offset:2160
	;; [unrolled: 1-line block ×4, first 2 shown]
	s_wait_dscnt 0x0
	v_mul_f64_e32 v[100:101], v[4:5], v[48:49]
	v_mul_f64_e32 v[102:103], v[2:3], v[48:49]
	;; [unrolled: 1-line block ×8, first 2 shown]
	v_fma_f64 v[90:91], v[56:57], v[64:65], -v[90:91]
	v_fmac_f64_e32 v[92:93], v[58:59], v[64:65]
	v_fma_f64 v[56:57], v[56:57], v[68:69], -v[94:95]
	v_fmac_f64_e32 v[96:97], v[58:59], v[68:69]
	;; [unrolled: 2-line block ×4, first 2 shown]
	s_barrier_signal -1
	s_barrier_wait -1
	v_mul_f64_e32 v[94:95], v[24:25], v[42:43]
	v_add_f64_e32 v[54:55], v[54:55], v[98:99]
	v_add_f64_e32 v[62:63], v[104:105], v[82:83]
	;; [unrolled: 1-line block ×8, first 2 shown]
	v_mul_f64_e32 v[84:85], v[26:27], v[38:39]
	v_mul_f64_e32 v[86:87], v[24:25], v[38:39]
	;; [unrolled: 1-line block ×7, first 2 shown]
	v_fma_f64 v[42:43], v[2:3], v[46:47], -v[100:101]
	v_fmac_f64_e32 v[102:103], v[4:5], v[46:47]
	v_fma_f64 v[2:3], v[2:3], v[50:51], -v[108:109]
	v_fmac_f64_e32 v[112:113], v[4:5], v[50:51]
	;; [unrolled: 2-line block ×4, first 2 shown]
	v_fmac_f64_e32 v[94:95], v[26:27], v[40:41]
	v_add_f64_e32 v[50:51], v[54:55], v[90:91]
	v_add_f64_e32 v[54:55], v[92:93], v[62:63]
	;; [unrolled: 1-line block ×8, first 2 shown]
	v_fma_f64 v[68:69], v[24:25], v[36:37], -v[84:85]
	v_fmac_f64_e32 v[86:87], v[26:27], v[36:37]
	v_fma_f64 v[24:25], v[24:25], v[40:41], -v[88:89]
	v_fma_f64 v[26:27], v[32:33], v[36:37], -v[98:99]
	v_fmac_f64_e32 v[104:105], v[34:35], v[36:37]
	v_fma_f64 v[70:71], v[32:33], v[40:41], -v[38:39]
	v_fmac_f64_e32 v[106:107], v[34:35], v[40:41]
	v_add_f64_e32 v[32:33], v[50:51], v[42:43]
	v_add_f64_e32 v[34:35], v[102:103], v[54:55]
	;; [unrolled: 1-line block ×16, first 2 shown]
	s_cbranch_vccz .LBB573_18
.LBB573_10:                             ;   Parent Loop BB573_7 Depth=1
                                        ; =>  This Inner Loop Header: Depth=2
	v_mov_b64_e32 v[2:3], 0
	v_mov_b64_e32 v[4:5], 0
	s_and_saveexec_b32 s19, s0
	s_cbranch_execz .LBB573_14
; %bb.11:                               ;   in Loop: Header=BB573_10 Depth=2
	v_mov_b64_e32 v[4:5], 0
	v_mov_b64_e32 v[2:3], 0
	v_add_nc_u32_e32 v0, s16, v8
	s_mov_b32 s24, exec_lo
	s_delay_alu instid0(VALU_DEP_1)
	v_cmpx_gt_u64_e64 s[8:9], v[0:1]
	s_cbranch_execz .LBB573_13
; %bb.12:                               ;   in Loop: Header=BB573_10 Depth=2
	v_lshl_add_u64 v[2:3], v[0:1], 4, v[28:29]
	flat_load_b128 v[2:5], v[2:3]
	s_wait_loadcnt_dscnt 0x0
	v_xor_b32_e32 v5, 0x80000000, v5
.LBB573_13:                             ;   in Loop: Header=BB573_10 Depth=2
	s_wait_xcnt 0x0
	s_or_b32 exec_lo, exec_lo, s24
.LBB573_14:                             ;   in Loop: Header=BB573_10 Depth=2
	s_delay_alu instid0(SALU_CYCLE_1) | instskip(SKIP_4) | instid1(SALU_CYCLE_1)
	s_or_b32 exec_lo, exec_lo, s19
	v_add_nc_u32_e32 v0, s16, v6
	ds_store_b128 v7, v[2:5]
	v_cmp_le_u64_e32 vcc_lo, s[8:9], v[0:1]
	s_or_b32 s19, vcc_lo, s18
	s_and_saveexec_b32 s24, s19
	s_delay_alu instid0(SALU_CYCLE_1)
	s_xor_b32 s19, exec_lo, s24
; %bb.15:                               ;   in Loop: Header=BB573_10 Depth=2
	v_dual_mov_b32 v0, v1 :: v_dual_mov_b32 v2, v1
	v_mov_b32_e32 v3, v1
	ds_store_b128 v9, v[0:3]
; %bb.16:                               ;   in Loop: Header=BB573_10 Depth=2
	s_and_not1_saveexec_b32 s19, s19
	s_cbranch_execz .LBB573_9
; %bb.17:                               ;   in Loop: Header=BB573_10 Depth=2
	v_lshl_add_u64 v[2:3], v[0:1], 4, v[30:31]
	flat_load_b128 v[2:5], v[2:3]
	s_wait_loadcnt_dscnt 0x0
	ds_store_2addr_b64 v9, v[2:3], v[4:5] offset1:1
	s_branch .LBB573_9
.LBB573_18:                             ;   in Loop: Header=BB573_7 Depth=1
	s_wait_loadcnt 0x0
	v_add_nc_u64_e32 v[22:23], s[6:7], v[22:23]
	s_delay_alu instid0(VALU_DEP_1)
	v_lshl_add_u64 v[28:29], v[14:15], 4, v[22:23]
	s_wait_xcnt 0x0
	s_and_saveexec_b32 s16, s23
	s_cbranch_execz .LBB573_23
; %bb.19:                               ;   in Loop: Header=BB573_7 Depth=1
	v_mul_f64_e32 v[2:3], s[12:13], v[42:43]
	v_mul_f64_e32 v[4:5], s[10:11], v[42:43]
	v_lshl_add_u64 v[30:31], v[18:19], 4, v[28:29]
	s_and_b32 vcc_lo, exec_lo, s22
	s_mov_b32 s17, -1
	s_delay_alu instid0(VALU_DEP_3) | instskip(NEXT) | instid1(VALU_DEP_3)
	v_fma_f64 v[2:3], s[10:11], v[40:41], -v[2:3]
	v_fmac_f64_e32 v[4:5], s[12:13], v[40:41]
	s_cbranch_vccz .LBB573_21
; %bb.20:                               ;   in Loop: Header=BB573_7 Depth=1
	flat_load_b128 v[40:43], v[30:31]
	s_mov_b32 s17, 0
	s_wait_loadcnt_dscnt 0x0
	v_mul_f64_e32 v[46:47], s[28:29], v[42:43]
	v_mul_f64_e32 v[42:43], s[26:27], v[42:43]
	s_delay_alu instid0(VALU_DEP_2) | instskip(NEXT) | instid1(VALU_DEP_2)
	v_fma_f64 v[46:47], s[26:27], v[40:41], -v[46:47]
	v_fmac_f64_e32 v[42:43], s[28:29], v[40:41]
	s_delay_alu instid0(VALU_DEP_2) | instskip(NEXT) | instid1(VALU_DEP_2)
	v_add_f64_e32 v[40:41], v[2:3], v[46:47]
	v_add_f64_e32 v[42:43], v[4:5], v[42:43]
	flat_store_b128 v[30:31], v[40:43]
.LBB573_21:                             ;   in Loop: Header=BB573_7 Depth=1
	s_and_not1_b32 vcc_lo, exec_lo, s17
	s_cbranch_vccnz .LBB573_23
; %bb.22:                               ;   in Loop: Header=BB573_7 Depth=1
	flat_store_b128 v[30:31], v[2:5]
.LBB573_23:                             ;   in Loop: Header=BB573_7 Depth=1
	s_wait_xcnt 0x0
	s_or_b32 exec_lo, exec_lo, s16
	s_and_saveexec_b32 s16, s36
	s_cbranch_execz .LBB573_28
; %bb.24:                               ;   in Loop: Header=BB573_7 Depth=1
	v_mul_f64_e32 v[2:3], s[12:13], v[38:39]
	v_mul_f64_e32 v[4:5], s[10:11], v[38:39]
	v_lshl_add_u64 v[28:29], v[20:21], 4, v[28:29]
	s_and_not1_b32 vcc_lo, exec_lo, s22
	s_mov_b32 s17, -1
	s_delay_alu instid0(VALU_DEP_3) | instskip(NEXT) | instid1(VALU_DEP_3)
	v_fma_f64 v[2:3], s[10:11], v[36:37], -v[2:3]
	v_fmac_f64_e32 v[4:5], s[12:13], v[36:37]
	s_cbranch_vccnz .LBB573_26
; %bb.25:                               ;   in Loop: Header=BB573_7 Depth=1
	flat_load_b128 v[36:39], v[28:29]
	s_mov_b32 s17, 0
	s_wait_loadcnt_dscnt 0x0
	v_mul_f64_e32 v[30:31], s[28:29], v[38:39]
	v_mul_f64_e32 v[38:39], s[26:27], v[38:39]
	s_delay_alu instid0(VALU_DEP_2) | instskip(NEXT) | instid1(VALU_DEP_2)
	v_fma_f64 v[30:31], s[26:27], v[36:37], -v[30:31]
	v_fmac_f64_e32 v[38:39], s[28:29], v[36:37]
	s_delay_alu instid0(VALU_DEP_2) | instskip(NEXT) | instid1(VALU_DEP_2)
	v_add_f64_e32 v[36:37], v[2:3], v[30:31]
	v_add_f64_e32 v[38:39], v[4:5], v[38:39]
	flat_store_b128 v[28:29], v[36:39]
.LBB573_26:                             ;   in Loop: Header=BB573_7 Depth=1
	s_and_not1_b32 vcc_lo, exec_lo, s17
	s_cbranch_vccnz .LBB573_28
; %bb.27:                               ;   in Loop: Header=BB573_7 Depth=1
	flat_store_b128 v[28:29], v[2:5]
.LBB573_28:                             ;   in Loop: Header=BB573_7 Depth=1
	s_wait_xcnt 0x0
	s_or_b32 exec_lo, exec_lo, s16
	v_lshl_add_u64 v[22:23], v[16:17], 4, v[22:23]
	s_and_saveexec_b32 s16, s1
	s_cbranch_execz .LBB573_33
; %bb.29:                               ;   in Loop: Header=BB573_7 Depth=1
	v_mul_f64_e32 v[2:3], s[12:13], v[34:35]
	v_mul_f64_e32 v[4:5], s[10:11], v[34:35]
	v_lshl_add_u64 v[28:29], v[18:19], 4, v[22:23]
	s_and_not1_b32 vcc_lo, exec_lo, s22
	s_mov_b32 s17, -1
	s_delay_alu instid0(VALU_DEP_3) | instskip(NEXT) | instid1(VALU_DEP_3)
	v_fma_f64 v[2:3], s[10:11], v[32:33], -v[2:3]
	v_fmac_f64_e32 v[4:5], s[12:13], v[32:33]
	s_cbranch_vccnz .LBB573_31
; %bb.30:                               ;   in Loop: Header=BB573_7 Depth=1
	flat_load_b128 v[30:33], v[28:29]
	s_mov_b32 s17, 0
	s_wait_loadcnt_dscnt 0x0
	v_mul_f64_e32 v[34:35], s[28:29], v[32:33]
	v_mul_f64_e32 v[32:33], s[26:27], v[32:33]
	s_delay_alu instid0(VALU_DEP_2) | instskip(NEXT) | instid1(VALU_DEP_2)
	v_fma_f64 v[34:35], s[26:27], v[30:31], -v[34:35]
	v_fmac_f64_e32 v[32:33], s[28:29], v[30:31]
	s_delay_alu instid0(VALU_DEP_2) | instskip(NEXT) | instid1(VALU_DEP_2)
	v_add_f64_e32 v[30:31], v[2:3], v[34:35]
	v_add_f64_e32 v[32:33], v[4:5], v[32:33]
	flat_store_b128 v[28:29], v[30:33]
.LBB573_31:                             ;   in Loop: Header=BB573_7 Depth=1
	s_and_not1_b32 vcc_lo, exec_lo, s17
	s_cbranch_vccnz .LBB573_33
; %bb.32:                               ;   in Loop: Header=BB573_7 Depth=1
	flat_store_b128 v[28:29], v[2:5]
.LBB573_33:                             ;   in Loop: Header=BB573_7 Depth=1
	s_wait_xcnt 0x0
	s_or_b32 exec_lo, exec_lo, s16
	s_and_saveexec_b32 s16, s37
	s_cbranch_execz .LBB573_6
; %bb.34:                               ;   in Loop: Header=BB573_7 Depth=1
	s_delay_alu instid0(VALU_DEP_4) | instskip(SKIP_4) | instid1(VALU_DEP_3)
	v_mul_f64_e32 v[2:3], s[12:13], v[26:27]
	v_mul_f64_e32 v[4:5], s[10:11], v[26:27]
	v_lshl_add_u64 v[22:23], v[20:21], 4, v[22:23]
	s_and_not1_b32 vcc_lo, exec_lo, s22
	s_mov_b32 s17, -1
	v_fma_f64 v[2:3], s[10:11], v[24:25], -v[2:3]
	s_delay_alu instid0(VALU_DEP_3)
	v_fmac_f64_e32 v[4:5], s[12:13], v[24:25]
	s_cbranch_vccnz .LBB573_36
; %bb.35:                               ;   in Loop: Header=BB573_7 Depth=1
	flat_load_b128 v[24:27], v[22:23]
	s_mov_b32 s17, 0
	s_wait_loadcnt_dscnt 0x0
	v_mul_f64_e32 v[28:29], s[28:29], v[26:27]
	v_mul_f64_e32 v[26:27], s[26:27], v[26:27]
	s_delay_alu instid0(VALU_DEP_2) | instskip(NEXT) | instid1(VALU_DEP_2)
	v_fma_f64 v[28:29], s[26:27], v[24:25], -v[28:29]
	v_fmac_f64_e32 v[26:27], s[28:29], v[24:25]
	s_delay_alu instid0(VALU_DEP_2) | instskip(NEXT) | instid1(VALU_DEP_2)
	v_add_f64_e32 v[24:25], v[2:3], v[28:29]
	v_add_f64_e32 v[26:27], v[4:5], v[26:27]
	flat_store_b128 v[22:23], v[24:27]
.LBB573_36:                             ;   in Loop: Header=BB573_7 Depth=1
	s_and_not1_b32 vcc_lo, exec_lo, s17
	s_cbranch_vccnz .LBB573_6
; %bb.37:                               ;   in Loop: Header=BB573_7 Depth=1
	flat_store_b128 v[22:23], v[2:5]
	s_branch .LBB573_6
.LBB573_38:
.LBB573_39:
	s_sendmsg sendmsg(MSG_DEALLOC_VGPRS)
	s_endpgm
	.section	.rodata,"a",@progbits
	.p2align	6, 0x0
	.amdhsa_kernel _ZL29rocblas_internal_gemmt_kernelIlLi16ELi32ELi8ELc67ELc78ELc76ELb1ELb0E19rocblas_complex_numIdES1_PKPKS1_PKPS1_EviT_T9_T10_S9_lSB_S9_lSA_T11_S9_li
		.amdhsa_group_segment_fixed_size 8192
		.amdhsa_private_segment_fixed_size 0
		.amdhsa_kernarg_size 124
		.amdhsa_user_sgpr_count 2
		.amdhsa_user_sgpr_dispatch_ptr 0
		.amdhsa_user_sgpr_queue_ptr 0
		.amdhsa_user_sgpr_kernarg_segment_ptr 1
		.amdhsa_user_sgpr_dispatch_id 0
		.amdhsa_user_sgpr_kernarg_preload_length 0
		.amdhsa_user_sgpr_kernarg_preload_offset 0
		.amdhsa_user_sgpr_private_segment_size 0
		.amdhsa_wavefront_size32 1
		.amdhsa_uses_dynamic_stack 0
		.amdhsa_enable_private_segment 0
		.amdhsa_system_sgpr_workgroup_id_x 1
		.amdhsa_system_sgpr_workgroup_id_y 1
		.amdhsa_system_sgpr_workgroup_id_z 1
		.amdhsa_system_sgpr_workgroup_info 0
		.amdhsa_system_vgpr_workitem_id 1
		.amdhsa_next_free_vgpr 132
		.amdhsa_next_free_sgpr 43
		.amdhsa_named_barrier_count 0
		.amdhsa_reserve_vcc 1
		.amdhsa_float_round_mode_32 0
		.amdhsa_float_round_mode_16_64 0
		.amdhsa_float_denorm_mode_32 3
		.amdhsa_float_denorm_mode_16_64 3
		.amdhsa_fp16_overflow 0
		.amdhsa_memory_ordered 1
		.amdhsa_forward_progress 1
		.amdhsa_inst_pref_size 23
		.amdhsa_round_robin_scheduling 0
		.amdhsa_exception_fp_ieee_invalid_op 0
		.amdhsa_exception_fp_denorm_src 0
		.amdhsa_exception_fp_ieee_div_zero 0
		.amdhsa_exception_fp_ieee_overflow 0
		.amdhsa_exception_fp_ieee_underflow 0
		.amdhsa_exception_fp_ieee_inexact 0
		.amdhsa_exception_int_div_zero 0
	.end_amdhsa_kernel
	.section	.text._ZL29rocblas_internal_gemmt_kernelIlLi16ELi32ELi8ELc67ELc78ELc76ELb1ELb0E19rocblas_complex_numIdES1_PKPKS1_PKPS1_EviT_T9_T10_S9_lSB_S9_lSA_T11_S9_li,"axG",@progbits,_ZL29rocblas_internal_gemmt_kernelIlLi16ELi32ELi8ELc67ELc78ELc76ELb1ELb0E19rocblas_complex_numIdES1_PKPKS1_PKPS1_EviT_T9_T10_S9_lSB_S9_lSA_T11_S9_li,comdat
.Lfunc_end573:
	.size	_ZL29rocblas_internal_gemmt_kernelIlLi16ELi32ELi8ELc67ELc78ELc76ELb1ELb0E19rocblas_complex_numIdES1_PKPKS1_PKPS1_EviT_T9_T10_S9_lSB_S9_lSA_T11_S9_li, .Lfunc_end573-_ZL29rocblas_internal_gemmt_kernelIlLi16ELi32ELi8ELc67ELc78ELc76ELb1ELb0E19rocblas_complex_numIdES1_PKPKS1_PKPS1_EviT_T9_T10_S9_lSB_S9_lSA_T11_S9_li
                                        ; -- End function
	.set _ZL29rocblas_internal_gemmt_kernelIlLi16ELi32ELi8ELc67ELc78ELc76ELb1ELb0E19rocblas_complex_numIdES1_PKPKS1_PKPS1_EviT_T9_T10_S9_lSB_S9_lSA_T11_S9_li.num_vgpr, 132
	.set _ZL29rocblas_internal_gemmt_kernelIlLi16ELi32ELi8ELc67ELc78ELc76ELb1ELb0E19rocblas_complex_numIdES1_PKPKS1_PKPS1_EviT_T9_T10_S9_lSB_S9_lSA_T11_S9_li.num_agpr, 0
	.set _ZL29rocblas_internal_gemmt_kernelIlLi16ELi32ELi8ELc67ELc78ELc76ELb1ELb0E19rocblas_complex_numIdES1_PKPKS1_PKPS1_EviT_T9_T10_S9_lSB_S9_lSA_T11_S9_li.numbered_sgpr, 43
	.set _ZL29rocblas_internal_gemmt_kernelIlLi16ELi32ELi8ELc67ELc78ELc76ELb1ELb0E19rocblas_complex_numIdES1_PKPKS1_PKPS1_EviT_T9_T10_S9_lSB_S9_lSA_T11_S9_li.num_named_barrier, 0
	.set _ZL29rocblas_internal_gemmt_kernelIlLi16ELi32ELi8ELc67ELc78ELc76ELb1ELb0E19rocblas_complex_numIdES1_PKPKS1_PKPS1_EviT_T9_T10_S9_lSB_S9_lSA_T11_S9_li.private_seg_size, 0
	.set _ZL29rocblas_internal_gemmt_kernelIlLi16ELi32ELi8ELc67ELc78ELc76ELb1ELb0E19rocblas_complex_numIdES1_PKPKS1_PKPS1_EviT_T9_T10_S9_lSB_S9_lSA_T11_S9_li.uses_vcc, 1
	.set _ZL29rocblas_internal_gemmt_kernelIlLi16ELi32ELi8ELc67ELc78ELc76ELb1ELb0E19rocblas_complex_numIdES1_PKPKS1_PKPS1_EviT_T9_T10_S9_lSB_S9_lSA_T11_S9_li.uses_flat_scratch, 0
	.set _ZL29rocblas_internal_gemmt_kernelIlLi16ELi32ELi8ELc67ELc78ELc76ELb1ELb0E19rocblas_complex_numIdES1_PKPKS1_PKPS1_EviT_T9_T10_S9_lSB_S9_lSA_T11_S9_li.has_dyn_sized_stack, 0
	.set _ZL29rocblas_internal_gemmt_kernelIlLi16ELi32ELi8ELc67ELc78ELc76ELb1ELb0E19rocblas_complex_numIdES1_PKPKS1_PKPS1_EviT_T9_T10_S9_lSB_S9_lSA_T11_S9_li.has_recursion, 0
	.set _ZL29rocblas_internal_gemmt_kernelIlLi16ELi32ELi8ELc67ELc78ELc76ELb1ELb0E19rocblas_complex_numIdES1_PKPKS1_PKPS1_EviT_T9_T10_S9_lSB_S9_lSA_T11_S9_li.has_indirect_call, 0
	.section	.AMDGPU.csdata,"",@progbits
; Kernel info:
; codeLenInByte = 2928
; TotalNumSgprs: 45
; NumVgprs: 132
; ScratchSize: 0
; MemoryBound: 1
; FloatMode: 240
; IeeeMode: 1
; LDSByteSize: 8192 bytes/workgroup (compile time only)
; SGPRBlocks: 0
; VGPRBlocks: 8
; NumSGPRsForWavesPerEU: 45
; NumVGPRsForWavesPerEU: 132
; NamedBarCnt: 0
; Occupancy: 7
; WaveLimiterHint : 1
; COMPUTE_PGM_RSRC2:SCRATCH_EN: 0
; COMPUTE_PGM_RSRC2:USER_SGPR: 2
; COMPUTE_PGM_RSRC2:TRAP_HANDLER: 0
; COMPUTE_PGM_RSRC2:TGID_X_EN: 1
; COMPUTE_PGM_RSRC2:TGID_Y_EN: 1
; COMPUTE_PGM_RSRC2:TGID_Z_EN: 1
; COMPUTE_PGM_RSRC2:TIDIG_COMP_CNT: 1
	.section	.text._ZL29rocblas_internal_gemmt_kernelIlLi16ELi32ELi8ELc67ELc84ELc76ELb1ELb0E19rocblas_complex_numIdES1_PKPKS1_PKPS1_EviT_T9_T10_S9_lSB_S9_lSA_T11_S9_li,"axG",@progbits,_ZL29rocblas_internal_gemmt_kernelIlLi16ELi32ELi8ELc67ELc84ELc76ELb1ELb0E19rocblas_complex_numIdES1_PKPKS1_PKPS1_EviT_T9_T10_S9_lSB_S9_lSA_T11_S9_li,comdat
	.globl	_ZL29rocblas_internal_gemmt_kernelIlLi16ELi32ELi8ELc67ELc84ELc76ELb1ELb0E19rocblas_complex_numIdES1_PKPKS1_PKPS1_EviT_T9_T10_S9_lSB_S9_lSA_T11_S9_li ; -- Begin function _ZL29rocblas_internal_gemmt_kernelIlLi16ELi32ELi8ELc67ELc84ELc76ELb1ELb0E19rocblas_complex_numIdES1_PKPKS1_PKPS1_EviT_T9_T10_S9_lSB_S9_lSA_T11_S9_li
	.p2align	8
	.type	_ZL29rocblas_internal_gemmt_kernelIlLi16ELi32ELi8ELc67ELc84ELc76ELb1ELb0E19rocblas_complex_numIdES1_PKPKS1_PKPS1_EviT_T9_T10_S9_lSB_S9_lSA_T11_S9_li,@function
_ZL29rocblas_internal_gemmt_kernelIlLi16ELi32ELi8ELc67ELc84ELc76ELb1ELb0E19rocblas_complex_numIdES1_PKPKS1_PKPS1_EviT_T9_T10_S9_lSB_S9_lSA_T11_S9_li: ; @_ZL29rocblas_internal_gemmt_kernelIlLi16ELi32ELi8ELc67ELc84ELc76ELb1ELb0E19rocblas_complex_numIdES1_PKPKS1_PKPS1_EviT_T9_T10_S9_lSB_S9_lSA_T11_S9_li
; %bb.0:
	s_clause 0x1
	s_load_b256 s[24:31], s[0:1], 0x48
	s_load_b512 s[8:23], s[0:1], 0x8
	s_wait_kmcnt 0x0
	v_cmp_eq_f64_e64 s3, s[26:27], 1.0
	v_cmp_eq_f64_e64 s2, s[28:29], 0
	s_and_b32 s3, s3, s2
	s_delay_alu instid0(SALU_CYCLE_1)
	s_and_not1_b32 vcc_lo, exec_lo, s3
	s_mov_b32 s3, -1
	s_cbranch_vccnz .LBB574_3
; %bb.1:
	s_cmp_lg_u64 s[8:9], 0
	s_cbranch_scc0 .LBB574_38
; %bb.2:
	v_cmp_neq_f64_e64 s3, s[10:11], 0
	v_cmp_neq_f64_e64 s4, s[12:13], 0
	s_or_b32 s3, s3, s4
.LBB574_3:
	s_delay_alu instid0(SALU_CYCLE_1)
	s_and_b32 vcc_lo, exec_lo, s3
	s_cbranch_vccz .LBB574_39
; %bb.4:
	s_load_b32 s33, s[0:1], 0x78
	s_bfe_u32 s3, ttmp6, 0x40014
	s_lshr_b32 s4, ttmp7, 16
	s_add_co_i32 s3, s3, 1
	s_bfe_u32 s6, ttmp6, 0x40008
	s_mul_i32 s5, s4, s3
	s_getreg_b32 s3, hwreg(HW_REG_IB_STS2, 6, 4)
	s_add_co_i32 s6, s6, s5
	s_cmp_eq_u32 s3, 0
	s_mov_b32 s35, 0
	s_cselect_b32 s34, s4, s6
	s_wait_kmcnt 0x0
	s_cmp_ge_u32 s34, s33
	s_cbranch_scc1 .LBB574_39
; %bb.5:
	s_clause 0x1
	s_load_b128 s[4:7], s[0:1], 0x68
	s_load_b32 s38, s[0:1], 0x0
	s_wait_xcnt 0x0
	s_bfe_u32 s1, ttmp6, 0x4000c
	s_bfe_u32 s40, ttmp6, 0x40010
	s_and_b32 s39, ttmp7, 0xffff
	s_add_co_i32 s1, s1, 1
	s_add_co_i32 s40, s40, 1
	v_and_b32_e32 v19, 0x3ff, v0
	v_bfe_u32 v21, v0, 10, 10
	s_and_b32 s0, ttmp6, 15
	s_bfe_u32 s41, ttmp6, 0x40004
	s_mul_i32 s1, ttmp9, s1
	s_mul_i32 s40, s39, s40
	s_add_co_i32 s0, s0, s1
	s_add_co_i32 s41, s41, s40
	s_cmp_eq_u32 s3, 0
	v_lshl_add_u32 v1, v21, 4, v19
	s_cselect_b32 s1, s39, s41
	s_cselect_b32 s0, ttmp9, s0
	s_lshl_b32 s1, s1, 5
	s_delay_alu instid0(VALU_DEP_1) | instskip(SKIP_4) | instid1(VALU_DEP_3)
	v_dual_lshrrev_b32 v9, 3, v1 :: v_dual_bitop2_b32 v6, 7, v0 bitop3:0x40
	v_dual_lshrrev_b32 v8, 5, v1 :: v_dual_bitop2_b32 v7, 31, v1 bitop3:0x40
	s_lshl_b32 s39, s0, 5
	v_add_nc_u32_e32 v0, s1, v21
	v_cmp_neq_f64_e64 s36, s[10:11], 0
	v_dual_add_nc_u32 v10, s1, v9 :: v_dual_bitop2_b32 v2, s39, v7 bitop3:0x54
	v_cmp_neq_f64_e64 s37, s[12:13], 0
	s_delay_alu instid0(VALU_DEP_4) | instskip(SKIP_1) | instid1(VALU_DEP_4)
	v_add_nc_u32_e32 v4, 16, v0
	v_cmp_neq_f64_e64 s3, s[26:27], 0
	v_dual_ashrrev_i32 v3, 31, v2 :: v_dual_ashrrev_i32 v1, 31, v0
	s_delay_alu instid0(VALU_DEP_3) | instskip(SKIP_1) | instid1(VALU_DEP_3)
	v_dual_lshlrev_b32 v11, 4, v6 :: v_dual_ashrrev_i32 v5, 31, v4
	v_dual_add_nc_u32 v18, s39, v19 :: v_dual_lshlrev_b32 v44, 4, v19
	v_mul_u64_e32 v[12:13], s[16:17], v[2:3]
	s_wait_kmcnt 0x0
	v_mul_u64_e32 v[14:15], s[4:5], v[0:1]
	v_mul_u64_e32 v[16:17], s[4:5], v[4:5]
	s_xor_b32 s4, s2, -1
	v_dual_add_nc_u32 v20, 16, v18 :: v_dual_ashrrev_i32 v19, 31, v18
	v_cmp_le_i32_e64 s1, v0, v18
	v_cmp_gt_i32_e64 s2, s38, v18
	v_lshlrev_b32_e32 v7, 4, v7
	v_lshl_or_b32 v3, v9, 7, v11
	v_cmp_gt_i64_e64 s41, s[8:9], 0
	v_cmp_gt_i32_e32 vcc_lo, s38, v10
	v_cmp_le_i32_e64 s5, v4, v20
	v_cmp_gt_i32_e64 s0, s38, v2
	v_add_nc_u32_e32 v9, 0x1000, v3
	v_ashrrev_i32_e32 v11, 31, v10
	v_lshl_or_b32 v7, v8, 9, v7
	v_lshl_add_u32 v45, v21, 7, 0x1000
	v_dual_ashrrev_i32 v21, 31, v20 :: v_dual_mov_b32 v1, 0
	s_lshl_b64 s[6:7], s[6:7], 4
	s_or_b32 s40, s36, s37
	s_and_b32 s37, s1, s2
	s_or_b32 s36, s3, s4
	v_cmp_le_i32_e64 s3, v0, v20
	v_cmp_gt_i32_e64 s4, s38, v20
	v_cmp_le_i32_e64 s1, v4, v18
	s_and_b32 s40, s40, s41
	s_and_b32 s38, s3, s4
	;; [unrolled: 1-line block ×4, first 2 shown]
	s_lshl_b64 s[2:3], s[24:25], 4
	s_lshl_b64 s[4:5], s[18:19], 4
	s_xor_b32 s18, vcc_lo, -1
	s_branch .LBB574_7
.LBB574_6:                              ;   in Loop: Header=BB574_7 Depth=1
	s_wait_xcnt 0x0
	s_or_b32 exec_lo, exec_lo, s16
	s_add_co_i32 s34, s34, 0x10000
	s_delay_alu instid0(SALU_CYCLE_1)
	s_cmp_lt_u32 s34, s33
	s_cbranch_scc0 .LBB574_39
.LBB574_7:                              ; =>This Loop Header: Depth=1
                                        ;     Child Loop BB574_10 Depth 2
	v_mov_b32_e32 v0, s34
	v_mov_b64_e32 v[40:41], 0
	v_mov_b64_e32 v[42:43], 0
	;; [unrolled: 1-line block ×4, first 2 shown]
	global_load_b64 v[22:23], v0, s[30:31] scale_offset
	v_mov_b64_e32 v[32:33], 0
	v_mov_b64_e32 v[34:35], 0
	;; [unrolled: 1-line block ×4, first 2 shown]
	s_and_not1_b32 vcc_lo, exec_lo, s40
	s_cbranch_vccnz .LBB574_18
; %bb.8:                                ;   in Loop: Header=BB574_7 Depth=1
	s_lshl_b64 s[16:17], s[34:35], 3
	v_mov_b64_e32 v[26:27], 0
	s_add_nc_u64 s[24:25], s[14:15], s[16:17]
	s_add_nc_u64 s[16:17], s[20:21], s[16:17]
	s_clause 0x1
	global_load_b64 v[2:3], v1, s[24:25]
	global_load_b64 v[4:5], v1, s[16:17]
	v_mov_b64_e32 v[24:25], 0
	v_mov_b64_e32 v[34:35], 0
	;; [unrolled: 1-line block ×7, first 2 shown]
	s_wait_xcnt 0x0
	s_mov_b64 s[16:17], 0
	s_wait_loadcnt 0x1
	v_add_nc_u64_e32 v[2:3], s[4:5], v[2:3]
	s_wait_loadcnt 0x0
	v_add_nc_u64_e32 v[4:5], s[2:3], v[4:5]
	s_delay_alu instid0(VALU_DEP_2) | instskip(NEXT) | instid1(VALU_DEP_2)
	v_lshl_add_u64 v[28:29], v[12:13], 4, v[2:3]
	v_lshl_add_u64 v[30:31], v[10:11], 4, v[4:5]
	s_branch .LBB574_10
.LBB574_9:                              ;   in Loop: Header=BB574_10 Depth=2
	s_wait_xcnt 0x0
	s_or_b32 exec_lo, exec_lo, s19
	s_wait_dscnt 0x0
	s_barrier_signal -1
	s_barrier_wait -1
	ds_load_b128 v[2:5], v45
	ds_load_b128 v[46:49], v44
	ds_load_b128 v[50:53], v44 offset:256
	ds_load_b128 v[54:57], v45 offset:2048
	;; [unrolled: 1-line block ×10, first 2 shown]
	s_add_nc_u64 s[16:17], s[16:17], 8
	s_delay_alu instid0(SALU_CYCLE_1)
	v_cmp_gt_i64_e64 s19, s[8:9], s[16:17]
	s_and_b32 vcc_lo, exec_lo, s19
	s_wait_dscnt 0xa
	v_mul_f64_e32 v[90:91], v[4:5], v[48:49]
	v_mul_f64_e32 v[92:93], v[2:3], v[48:49]
	s_wait_dscnt 0x9
	v_mul_f64_e32 v[94:95], v[4:5], v[52:53]
	v_mul_f64_e32 v[96:97], v[2:3], v[52:53]
	s_wait_dscnt 0x8
	v_mul_f64_e32 v[98:99], v[56:57], v[48:49]
	v_mul_f64_e32 v[100:101], v[54:55], v[48:49]
	v_mul_f64_e32 v[48:49], v[56:57], v[52:53]
	v_mul_f64_e32 v[102:103], v[54:55], v[52:53]
	s_wait_dscnt 0x6
	v_mul_f64_e32 v[104:105], v[60:61], v[64:65]
	v_mul_f64_e32 v[106:107], v[58:59], v[64:65]
	s_wait_dscnt 0x5
	v_mul_f64_e32 v[108:109], v[60:61], v[68:69]
	v_mul_f64_e32 v[110:111], v[58:59], v[68:69]
	s_wait_dscnt 0x4
	v_mul_f64_e32 v[112:113], v[72:73], v[64:65]
	v_mul_f64_e32 v[64:65], v[70:71], v[64:65]
	v_mul_f64_e32 v[114:115], v[72:73], v[68:69]
	v_mul_f64_e32 v[68:69], v[70:71], v[68:69]
	;; [unrolled: 11-line block ×3, first 2 shown]
	v_fma_f64 v[90:91], v[2:3], v[46:47], -v[90:91]
	v_fmac_f64_e32 v[92:93], v[4:5], v[46:47]
	v_fma_f64 v[94:95], v[2:3], v[50:51], -v[94:95]
	v_fmac_f64_e32 v[96:97], v[4:5], v[50:51]
	;; [unrolled: 2-line block ×8, first 2 shown]
	ds_load_b128 v[2:5], v45 offset:48
	ds_load_b128 v[46:49], v45 offset:2096
	;; [unrolled: 1-line block ×4, first 2 shown]
	v_fma_f64 v[118:119], v[74:75], v[78:79], -v[118:119]
	v_fmac_f64_e32 v[120:121], v[76:77], v[78:79]
	v_fma_f64 v[74:75], v[74:75], v[82:83], -v[122:123]
	v_fmac_f64_e32 v[124:125], v[76:77], v[82:83]
	;; [unrolled: 2-line block ×4, first 2 shown]
	v_add_f64_e32 v[66:67], v[40:41], v[90:91]
	v_add_f64_e32 v[70:71], v[92:93], v[42:43]
	;; [unrolled: 1-line block ×8, first 2 shown]
	s_wait_dscnt 0x1
	v_mul_f64_e32 v[100:101], v[4:5], v[52:53]
	v_mul_f64_e32 v[102:103], v[2:3], v[52:53]
	s_wait_dscnt 0x0
	v_mul_f64_e32 v[108:109], v[4:5], v[56:57]
	v_mul_f64_e32 v[112:113], v[2:3], v[56:57]
	;; [unrolled: 1-line block ×6, first 2 shown]
	ds_load_b128 v[24:27], v45 offset:64
	ds_load_b128 v[32:35], v44 offset:2048
	;; [unrolled: 1-line block ×4, first 2 shown]
	v_add_f64_e32 v[82:83], v[66:67], v[104:105]
	v_add_f64_e32 v[86:87], v[106:107], v[70:71]
	;; [unrolled: 1-line block ×8, first 2 shown]
	s_wait_dscnt 0x2
	v_mul_f64_e32 v[98:99], v[26:27], v[34:35]
	v_mul_f64_e32 v[104:105], v[24:25], v[34:35]
	s_wait_dscnt 0x1
	v_mul_f64_e32 v[106:107], v[26:27], v[38:39]
	v_mul_f64_e32 v[110:111], v[24:25], v[38:39]
	;; [unrolled: 3-line block ×3, first 2 shown]
	v_mul_f64_e32 v[34:35], v[42:43], v[38:39]
	v_mul_f64_e32 v[128:129], v[40:41], v[38:39]
	v_fma_f64 v[38:39], v[2:3], v[50:51], -v[100:101]
	v_fmac_f64_e32 v[102:103], v[4:5], v[50:51]
	v_fma_f64 v[100:101], v[2:3], v[54:55], -v[108:109]
	v_fmac_f64_e32 v[112:113], v[4:5], v[54:55]
	;; [unrolled: 2-line block ×4, first 2 shown]
	ds_load_b128 v[56:59], v45 offset:80
	ds_load_b128 v[60:63], v45 offset:2128
	;; [unrolled: 1-line block ×4, first 2 shown]
	v_add_f64_e32 v[54:55], v[82:83], v[118:119]
	v_add_f64_e32 v[82:83], v[120:121], v[86:87]
	;; [unrolled: 1-line block ×8, first 2 shown]
	v_fma_f64 v[98:99], v[24:25], v[32:33], -v[98:99]
	v_fmac_f64_e32 v[104:105], v[26:27], v[32:33]
	v_fma_f64 v[106:107], v[24:25], v[36:37], -v[106:107]
	s_wait_dscnt 0x1
	v_mul_f64_e32 v[90:91], v[58:59], v[66:67]
	v_mul_f64_e32 v[92:93], v[56:57], v[66:67]
	s_wait_dscnt 0x0
	v_mul_f64_e32 v[94:95], v[58:59], v[70:71]
	v_mul_f64_e32 v[96:97], v[56:57], v[70:71]
	v_mul_f64_e32 v[118:119], v[62:63], v[66:67]
	v_mul_f64_e32 v[66:67], v[60:61], v[66:67]
	v_mul_f64_e32 v[120:121], v[62:63], v[70:71]
	v_mul_f64_e32 v[70:71], v[60:61], v[70:71]
	v_fmac_f64_e32 v[110:111], v[26:27], v[36:37]
	v_fma_f64 v[122:123], v[40:41], v[32:33], -v[122:123]
	v_fmac_f64_e32 v[126:127], v[42:43], v[32:33]
	v_fma_f64 v[124:125], v[40:41], v[36:37], -v[34:35]
	v_fmac_f64_e32 v[128:129], v[42:43], v[36:37]
	ds_load_b128 v[2:5], v45 offset:96
	ds_load_b128 v[46:49], v44 offset:3072
	;; [unrolled: 1-line block ×4, first 2 shown]
	v_add_f64_e32 v[54:55], v[54:55], v[38:39]
	v_add_f64_e32 v[82:83], v[102:103], v[82:83]
	;; [unrolled: 1-line block ×8, first 2 shown]
	ds_load_b128 v[24:27], v45 offset:112
	ds_load_b128 v[32:35], v45 offset:2160
	;; [unrolled: 1-line block ×4, first 2 shown]
	s_wait_dscnt 0x0
	v_mul_f64_e32 v[100:101], v[4:5], v[48:49]
	v_mul_f64_e32 v[102:103], v[2:3], v[48:49]
	;; [unrolled: 1-line block ×8, first 2 shown]
	v_fma_f64 v[90:91], v[56:57], v[64:65], -v[90:91]
	v_fmac_f64_e32 v[92:93], v[58:59], v[64:65]
	v_fma_f64 v[56:57], v[56:57], v[68:69], -v[94:95]
	v_fmac_f64_e32 v[96:97], v[58:59], v[68:69]
	;; [unrolled: 2-line block ×4, first 2 shown]
	s_barrier_signal -1
	s_barrier_wait -1
	v_mul_f64_e32 v[94:95], v[24:25], v[42:43]
	v_add_f64_e32 v[54:55], v[54:55], v[98:99]
	v_add_f64_e32 v[62:63], v[104:105], v[82:83]
	;; [unrolled: 1-line block ×8, first 2 shown]
	v_mul_f64_e32 v[84:85], v[26:27], v[38:39]
	v_mul_f64_e32 v[86:87], v[24:25], v[38:39]
	;; [unrolled: 1-line block ×7, first 2 shown]
	v_fma_f64 v[42:43], v[2:3], v[46:47], -v[100:101]
	v_fmac_f64_e32 v[102:103], v[4:5], v[46:47]
	v_fma_f64 v[2:3], v[2:3], v[50:51], -v[108:109]
	v_fmac_f64_e32 v[112:113], v[4:5], v[50:51]
	v_fma_f64 v[4:5], v[72:73], v[46:47], -v[114:115]
	v_fmac_f64_e32 v[48:49], v[74:75], v[46:47]
	v_fma_f64 v[46:47], v[72:73], v[50:51], -v[116:117]
	v_fmac_f64_e32 v[52:53], v[74:75], v[50:51]
	v_fmac_f64_e32 v[94:95], v[26:27], v[40:41]
	v_add_f64_e32 v[50:51], v[54:55], v[90:91]
	v_add_f64_e32 v[54:55], v[92:93], v[62:63]
	;; [unrolled: 1-line block ×8, first 2 shown]
	v_fma_f64 v[68:69], v[24:25], v[36:37], -v[84:85]
	v_fmac_f64_e32 v[86:87], v[26:27], v[36:37]
	v_fma_f64 v[24:25], v[24:25], v[40:41], -v[88:89]
	v_fma_f64 v[26:27], v[32:33], v[36:37], -v[98:99]
	v_fmac_f64_e32 v[104:105], v[34:35], v[36:37]
	v_fma_f64 v[70:71], v[32:33], v[40:41], -v[38:39]
	v_fmac_f64_e32 v[106:107], v[34:35], v[40:41]
	v_add_f64_e32 v[32:33], v[50:51], v[42:43]
	v_add_f64_e32 v[34:35], v[102:103], v[54:55]
	;; [unrolled: 1-line block ×16, first 2 shown]
	s_cbranch_vccz .LBB574_18
.LBB574_10:                             ;   Parent Loop BB574_7 Depth=1
                                        ; =>  This Inner Loop Header: Depth=2
	v_mov_b64_e32 v[2:3], 0
	v_mov_b64_e32 v[4:5], 0
	s_and_saveexec_b32 s19, s0
	s_cbranch_execz .LBB574_14
; %bb.11:                               ;   in Loop: Header=BB574_10 Depth=2
	v_mov_b64_e32 v[4:5], 0
	v_mov_b64_e32 v[2:3], 0
	v_add_nc_u32_e32 v0, s16, v8
	s_mov_b32 s24, exec_lo
	s_delay_alu instid0(VALU_DEP_1)
	v_cmpx_gt_u64_e64 s[8:9], v[0:1]
	s_cbranch_execz .LBB574_13
; %bb.12:                               ;   in Loop: Header=BB574_10 Depth=2
	v_lshl_add_u64 v[2:3], v[0:1], 4, v[28:29]
	flat_load_b128 v[2:5], v[2:3]
	s_wait_loadcnt_dscnt 0x0
	v_xor_b32_e32 v5, 0x80000000, v5
.LBB574_13:                             ;   in Loop: Header=BB574_10 Depth=2
	s_wait_xcnt 0x0
	s_or_b32 exec_lo, exec_lo, s24
.LBB574_14:                             ;   in Loop: Header=BB574_10 Depth=2
	s_delay_alu instid0(SALU_CYCLE_1) | instskip(SKIP_4) | instid1(SALU_CYCLE_1)
	s_or_b32 exec_lo, exec_lo, s19
	v_add_nc_u32_e32 v0, s16, v6
	ds_store_b128 v7, v[2:5]
	v_cmp_le_u64_e32 vcc_lo, s[8:9], v[0:1]
	s_or_b32 s19, vcc_lo, s18
	s_and_saveexec_b32 s24, s19
	s_delay_alu instid0(SALU_CYCLE_1)
	s_xor_b32 s19, exec_lo, s24
; %bb.15:                               ;   in Loop: Header=BB574_10 Depth=2
	v_dual_mov_b32 v0, v1 :: v_dual_mov_b32 v2, v1
	v_mov_b32_e32 v3, v1
	ds_store_b128 v9, v[0:3]
; %bb.16:                               ;   in Loop: Header=BB574_10 Depth=2
	s_and_not1_saveexec_b32 s19, s19
	s_cbranch_execz .LBB574_9
; %bb.17:                               ;   in Loop: Header=BB574_10 Depth=2
	v_mul_u64_e32 v[2:3], s[22:23], v[0:1]
	s_delay_alu instid0(VALU_DEP_1)
	v_lshl_add_u64 v[2:3], v[2:3], 4, v[30:31]
	flat_load_b128 v[2:5], v[2:3]
	s_wait_loadcnt_dscnt 0x0
	ds_store_2addr_b64 v9, v[2:3], v[4:5] offset1:1
	s_branch .LBB574_9
.LBB574_18:                             ;   in Loop: Header=BB574_7 Depth=1
	s_wait_loadcnt 0x0
	v_add_nc_u64_e32 v[22:23], s[6:7], v[22:23]
	s_delay_alu instid0(VALU_DEP_1)
	v_lshl_add_u64 v[28:29], v[14:15], 4, v[22:23]
	s_wait_xcnt 0x0
	s_and_saveexec_b32 s16, s37
	s_cbranch_execz .LBB574_23
; %bb.19:                               ;   in Loop: Header=BB574_7 Depth=1
	v_mul_f64_e32 v[2:3], s[12:13], v[42:43]
	v_mul_f64_e32 v[4:5], s[10:11], v[42:43]
	v_lshl_add_u64 v[30:31], v[18:19], 4, v[28:29]
	s_and_b32 vcc_lo, exec_lo, s36
	s_mov_b32 s17, -1
	s_delay_alu instid0(VALU_DEP_3) | instskip(NEXT) | instid1(VALU_DEP_3)
	v_fma_f64 v[2:3], s[10:11], v[40:41], -v[2:3]
	v_fmac_f64_e32 v[4:5], s[12:13], v[40:41]
	s_cbranch_vccz .LBB574_21
; %bb.20:                               ;   in Loop: Header=BB574_7 Depth=1
	flat_load_b128 v[40:43], v[30:31]
	s_mov_b32 s17, 0
	s_wait_loadcnt_dscnt 0x0
	v_mul_f64_e32 v[46:47], s[28:29], v[42:43]
	v_mul_f64_e32 v[42:43], s[26:27], v[42:43]
	s_delay_alu instid0(VALU_DEP_2) | instskip(NEXT) | instid1(VALU_DEP_2)
	v_fma_f64 v[46:47], s[26:27], v[40:41], -v[46:47]
	v_fmac_f64_e32 v[42:43], s[28:29], v[40:41]
	s_delay_alu instid0(VALU_DEP_2) | instskip(NEXT) | instid1(VALU_DEP_2)
	v_add_f64_e32 v[40:41], v[2:3], v[46:47]
	v_add_f64_e32 v[42:43], v[4:5], v[42:43]
	flat_store_b128 v[30:31], v[40:43]
.LBB574_21:                             ;   in Loop: Header=BB574_7 Depth=1
	s_and_not1_b32 vcc_lo, exec_lo, s17
	s_cbranch_vccnz .LBB574_23
; %bb.22:                               ;   in Loop: Header=BB574_7 Depth=1
	flat_store_b128 v[30:31], v[2:5]
.LBB574_23:                             ;   in Loop: Header=BB574_7 Depth=1
	s_wait_xcnt 0x0
	s_or_b32 exec_lo, exec_lo, s16
	s_and_saveexec_b32 s16, s38
	s_cbranch_execz .LBB574_28
; %bb.24:                               ;   in Loop: Header=BB574_7 Depth=1
	v_mul_f64_e32 v[2:3], s[12:13], v[38:39]
	v_mul_f64_e32 v[4:5], s[10:11], v[38:39]
	v_lshl_add_u64 v[28:29], v[20:21], 4, v[28:29]
	s_and_not1_b32 vcc_lo, exec_lo, s36
	s_mov_b32 s17, -1
	s_delay_alu instid0(VALU_DEP_3) | instskip(NEXT) | instid1(VALU_DEP_3)
	v_fma_f64 v[2:3], s[10:11], v[36:37], -v[2:3]
	v_fmac_f64_e32 v[4:5], s[12:13], v[36:37]
	s_cbranch_vccnz .LBB574_26
; %bb.25:                               ;   in Loop: Header=BB574_7 Depth=1
	flat_load_b128 v[36:39], v[28:29]
	s_mov_b32 s17, 0
	s_wait_loadcnt_dscnt 0x0
	v_mul_f64_e32 v[30:31], s[28:29], v[38:39]
	v_mul_f64_e32 v[38:39], s[26:27], v[38:39]
	s_delay_alu instid0(VALU_DEP_2) | instskip(NEXT) | instid1(VALU_DEP_2)
	v_fma_f64 v[30:31], s[26:27], v[36:37], -v[30:31]
	v_fmac_f64_e32 v[38:39], s[28:29], v[36:37]
	s_delay_alu instid0(VALU_DEP_2) | instskip(NEXT) | instid1(VALU_DEP_2)
	v_add_f64_e32 v[36:37], v[2:3], v[30:31]
	v_add_f64_e32 v[38:39], v[4:5], v[38:39]
	flat_store_b128 v[28:29], v[36:39]
.LBB574_26:                             ;   in Loop: Header=BB574_7 Depth=1
	s_and_not1_b32 vcc_lo, exec_lo, s17
	s_cbranch_vccnz .LBB574_28
; %bb.27:                               ;   in Loop: Header=BB574_7 Depth=1
	flat_store_b128 v[28:29], v[2:5]
.LBB574_28:                             ;   in Loop: Header=BB574_7 Depth=1
	s_wait_xcnt 0x0
	s_or_b32 exec_lo, exec_lo, s16
	v_lshl_add_u64 v[22:23], v[16:17], 4, v[22:23]
	s_and_saveexec_b32 s16, s1
	s_cbranch_execz .LBB574_33
; %bb.29:                               ;   in Loop: Header=BB574_7 Depth=1
	v_mul_f64_e32 v[2:3], s[12:13], v[34:35]
	v_mul_f64_e32 v[4:5], s[10:11], v[34:35]
	v_lshl_add_u64 v[28:29], v[18:19], 4, v[22:23]
	s_and_not1_b32 vcc_lo, exec_lo, s36
	s_mov_b32 s17, -1
	s_delay_alu instid0(VALU_DEP_3) | instskip(NEXT) | instid1(VALU_DEP_3)
	v_fma_f64 v[2:3], s[10:11], v[32:33], -v[2:3]
	v_fmac_f64_e32 v[4:5], s[12:13], v[32:33]
	s_cbranch_vccnz .LBB574_31
; %bb.30:                               ;   in Loop: Header=BB574_7 Depth=1
	flat_load_b128 v[30:33], v[28:29]
	s_mov_b32 s17, 0
	s_wait_loadcnt_dscnt 0x0
	v_mul_f64_e32 v[34:35], s[28:29], v[32:33]
	v_mul_f64_e32 v[32:33], s[26:27], v[32:33]
	s_delay_alu instid0(VALU_DEP_2) | instskip(NEXT) | instid1(VALU_DEP_2)
	v_fma_f64 v[34:35], s[26:27], v[30:31], -v[34:35]
	v_fmac_f64_e32 v[32:33], s[28:29], v[30:31]
	s_delay_alu instid0(VALU_DEP_2) | instskip(NEXT) | instid1(VALU_DEP_2)
	v_add_f64_e32 v[30:31], v[2:3], v[34:35]
	v_add_f64_e32 v[32:33], v[4:5], v[32:33]
	flat_store_b128 v[28:29], v[30:33]
.LBB574_31:                             ;   in Loop: Header=BB574_7 Depth=1
	s_and_not1_b32 vcc_lo, exec_lo, s17
	s_cbranch_vccnz .LBB574_33
; %bb.32:                               ;   in Loop: Header=BB574_7 Depth=1
	flat_store_b128 v[28:29], v[2:5]
.LBB574_33:                             ;   in Loop: Header=BB574_7 Depth=1
	s_wait_xcnt 0x0
	s_or_b32 exec_lo, exec_lo, s16
	s_and_saveexec_b32 s16, s39
	s_cbranch_execz .LBB574_6
; %bb.34:                               ;   in Loop: Header=BB574_7 Depth=1
	s_delay_alu instid0(VALU_DEP_4) | instskip(SKIP_4) | instid1(VALU_DEP_3)
	v_mul_f64_e32 v[2:3], s[12:13], v[26:27]
	v_mul_f64_e32 v[4:5], s[10:11], v[26:27]
	v_lshl_add_u64 v[22:23], v[20:21], 4, v[22:23]
	s_and_not1_b32 vcc_lo, exec_lo, s36
	s_mov_b32 s17, -1
	v_fma_f64 v[2:3], s[10:11], v[24:25], -v[2:3]
	s_delay_alu instid0(VALU_DEP_3)
	v_fmac_f64_e32 v[4:5], s[12:13], v[24:25]
	s_cbranch_vccnz .LBB574_36
; %bb.35:                               ;   in Loop: Header=BB574_7 Depth=1
	flat_load_b128 v[24:27], v[22:23]
	s_mov_b32 s17, 0
	s_wait_loadcnt_dscnt 0x0
	v_mul_f64_e32 v[28:29], s[28:29], v[26:27]
	v_mul_f64_e32 v[26:27], s[26:27], v[26:27]
	s_delay_alu instid0(VALU_DEP_2) | instskip(NEXT) | instid1(VALU_DEP_2)
	v_fma_f64 v[28:29], s[26:27], v[24:25], -v[28:29]
	v_fmac_f64_e32 v[26:27], s[28:29], v[24:25]
	s_delay_alu instid0(VALU_DEP_2) | instskip(NEXT) | instid1(VALU_DEP_2)
	v_add_f64_e32 v[24:25], v[2:3], v[28:29]
	v_add_f64_e32 v[26:27], v[4:5], v[26:27]
	flat_store_b128 v[22:23], v[24:27]
.LBB574_36:                             ;   in Loop: Header=BB574_7 Depth=1
	s_and_not1_b32 vcc_lo, exec_lo, s17
	s_cbranch_vccnz .LBB574_6
; %bb.37:                               ;   in Loop: Header=BB574_7 Depth=1
	flat_store_b128 v[22:23], v[2:5]
	s_branch .LBB574_6
.LBB574_38:
.LBB574_39:
	s_sendmsg sendmsg(MSG_DEALLOC_VGPRS)
	s_endpgm
	.section	.rodata,"a",@progbits
	.p2align	6, 0x0
	.amdhsa_kernel _ZL29rocblas_internal_gemmt_kernelIlLi16ELi32ELi8ELc67ELc84ELc76ELb1ELb0E19rocblas_complex_numIdES1_PKPKS1_PKPS1_EviT_T9_T10_S9_lSB_S9_lSA_T11_S9_li
		.amdhsa_group_segment_fixed_size 8192
		.amdhsa_private_segment_fixed_size 0
		.amdhsa_kernarg_size 124
		.amdhsa_user_sgpr_count 2
		.amdhsa_user_sgpr_dispatch_ptr 0
		.amdhsa_user_sgpr_queue_ptr 0
		.amdhsa_user_sgpr_kernarg_segment_ptr 1
		.amdhsa_user_sgpr_dispatch_id 0
		.amdhsa_user_sgpr_kernarg_preload_length 0
		.amdhsa_user_sgpr_kernarg_preload_offset 0
		.amdhsa_user_sgpr_private_segment_size 0
		.amdhsa_wavefront_size32 1
		.amdhsa_uses_dynamic_stack 0
		.amdhsa_enable_private_segment 0
		.amdhsa_system_sgpr_workgroup_id_x 1
		.amdhsa_system_sgpr_workgroup_id_y 1
		.amdhsa_system_sgpr_workgroup_id_z 1
		.amdhsa_system_sgpr_workgroup_info 0
		.amdhsa_system_vgpr_workitem_id 1
		.amdhsa_next_free_vgpr 132
		.amdhsa_next_free_sgpr 42
		.amdhsa_named_barrier_count 0
		.amdhsa_reserve_vcc 1
		.amdhsa_float_round_mode_32 0
		.amdhsa_float_round_mode_16_64 0
		.amdhsa_float_denorm_mode_32 3
		.amdhsa_float_denorm_mode_16_64 3
		.amdhsa_fp16_overflow 0
		.amdhsa_memory_ordered 1
		.amdhsa_forward_progress 1
		.amdhsa_inst_pref_size 23
		.amdhsa_round_robin_scheduling 0
		.amdhsa_exception_fp_ieee_invalid_op 0
		.amdhsa_exception_fp_denorm_src 0
		.amdhsa_exception_fp_ieee_div_zero 0
		.amdhsa_exception_fp_ieee_overflow 0
		.amdhsa_exception_fp_ieee_underflow 0
		.amdhsa_exception_fp_ieee_inexact 0
		.amdhsa_exception_int_div_zero 0
	.end_amdhsa_kernel
	.section	.text._ZL29rocblas_internal_gemmt_kernelIlLi16ELi32ELi8ELc67ELc84ELc76ELb1ELb0E19rocblas_complex_numIdES1_PKPKS1_PKPS1_EviT_T9_T10_S9_lSB_S9_lSA_T11_S9_li,"axG",@progbits,_ZL29rocblas_internal_gemmt_kernelIlLi16ELi32ELi8ELc67ELc84ELc76ELb1ELb0E19rocblas_complex_numIdES1_PKPKS1_PKPS1_EviT_T9_T10_S9_lSB_S9_lSA_T11_S9_li,comdat
.Lfunc_end574:
	.size	_ZL29rocblas_internal_gemmt_kernelIlLi16ELi32ELi8ELc67ELc84ELc76ELb1ELb0E19rocblas_complex_numIdES1_PKPKS1_PKPS1_EviT_T9_T10_S9_lSB_S9_lSA_T11_S9_li, .Lfunc_end574-_ZL29rocblas_internal_gemmt_kernelIlLi16ELi32ELi8ELc67ELc84ELc76ELb1ELb0E19rocblas_complex_numIdES1_PKPKS1_PKPS1_EviT_T9_T10_S9_lSB_S9_lSA_T11_S9_li
                                        ; -- End function
	.set _ZL29rocblas_internal_gemmt_kernelIlLi16ELi32ELi8ELc67ELc84ELc76ELb1ELb0E19rocblas_complex_numIdES1_PKPKS1_PKPS1_EviT_T9_T10_S9_lSB_S9_lSA_T11_S9_li.num_vgpr, 132
	.set _ZL29rocblas_internal_gemmt_kernelIlLi16ELi32ELi8ELc67ELc84ELc76ELb1ELb0E19rocblas_complex_numIdES1_PKPKS1_PKPS1_EviT_T9_T10_S9_lSB_S9_lSA_T11_S9_li.num_agpr, 0
	.set _ZL29rocblas_internal_gemmt_kernelIlLi16ELi32ELi8ELc67ELc84ELc76ELb1ELb0E19rocblas_complex_numIdES1_PKPKS1_PKPS1_EviT_T9_T10_S9_lSB_S9_lSA_T11_S9_li.numbered_sgpr, 42
	.set _ZL29rocblas_internal_gemmt_kernelIlLi16ELi32ELi8ELc67ELc84ELc76ELb1ELb0E19rocblas_complex_numIdES1_PKPKS1_PKPS1_EviT_T9_T10_S9_lSB_S9_lSA_T11_S9_li.num_named_barrier, 0
	.set _ZL29rocblas_internal_gemmt_kernelIlLi16ELi32ELi8ELc67ELc84ELc76ELb1ELb0E19rocblas_complex_numIdES1_PKPKS1_PKPS1_EviT_T9_T10_S9_lSB_S9_lSA_T11_S9_li.private_seg_size, 0
	.set _ZL29rocblas_internal_gemmt_kernelIlLi16ELi32ELi8ELc67ELc84ELc76ELb1ELb0E19rocblas_complex_numIdES1_PKPKS1_PKPS1_EviT_T9_T10_S9_lSB_S9_lSA_T11_S9_li.uses_vcc, 1
	.set _ZL29rocblas_internal_gemmt_kernelIlLi16ELi32ELi8ELc67ELc84ELc76ELb1ELb0E19rocblas_complex_numIdES1_PKPKS1_PKPS1_EviT_T9_T10_S9_lSB_S9_lSA_T11_S9_li.uses_flat_scratch, 0
	.set _ZL29rocblas_internal_gemmt_kernelIlLi16ELi32ELi8ELc67ELc84ELc76ELb1ELb0E19rocblas_complex_numIdES1_PKPKS1_PKPS1_EviT_T9_T10_S9_lSB_S9_lSA_T11_S9_li.has_dyn_sized_stack, 0
	.set _ZL29rocblas_internal_gemmt_kernelIlLi16ELi32ELi8ELc67ELc84ELc76ELb1ELb0E19rocblas_complex_numIdES1_PKPKS1_PKPS1_EviT_T9_T10_S9_lSB_S9_lSA_T11_S9_li.has_recursion, 0
	.set _ZL29rocblas_internal_gemmt_kernelIlLi16ELi32ELi8ELc67ELc84ELc76ELb1ELb0E19rocblas_complex_numIdES1_PKPKS1_PKPS1_EviT_T9_T10_S9_lSB_S9_lSA_T11_S9_li.has_indirect_call, 0
	.section	.AMDGPU.csdata,"",@progbits
; Kernel info:
; codeLenInByte = 2928
; TotalNumSgprs: 44
; NumVgprs: 132
; ScratchSize: 0
; MemoryBound: 1
; FloatMode: 240
; IeeeMode: 1
; LDSByteSize: 8192 bytes/workgroup (compile time only)
; SGPRBlocks: 0
; VGPRBlocks: 8
; NumSGPRsForWavesPerEU: 44
; NumVGPRsForWavesPerEU: 132
; NamedBarCnt: 0
; Occupancy: 7
; WaveLimiterHint : 1
; COMPUTE_PGM_RSRC2:SCRATCH_EN: 0
; COMPUTE_PGM_RSRC2:USER_SGPR: 2
; COMPUTE_PGM_RSRC2:TRAP_HANDLER: 0
; COMPUTE_PGM_RSRC2:TGID_X_EN: 1
; COMPUTE_PGM_RSRC2:TGID_Y_EN: 1
; COMPUTE_PGM_RSRC2:TGID_Z_EN: 1
; COMPUTE_PGM_RSRC2:TIDIG_COMP_CNT: 1
	.section	.text._ZL29rocblas_internal_gemmt_kernelIlLi16ELi32ELi8ELc67ELc67ELc76ELb1ELb1E19rocblas_complex_numIdES1_PKPKS1_PKPS1_EviT_T9_T10_S9_lSB_S9_lSA_T11_S9_li,"axG",@progbits,_ZL29rocblas_internal_gemmt_kernelIlLi16ELi32ELi8ELc67ELc67ELc76ELb1ELb1E19rocblas_complex_numIdES1_PKPKS1_PKPS1_EviT_T9_T10_S9_lSB_S9_lSA_T11_S9_li,comdat
	.globl	_ZL29rocblas_internal_gemmt_kernelIlLi16ELi32ELi8ELc67ELc67ELc76ELb1ELb1E19rocblas_complex_numIdES1_PKPKS1_PKPS1_EviT_T9_T10_S9_lSB_S9_lSA_T11_S9_li ; -- Begin function _ZL29rocblas_internal_gemmt_kernelIlLi16ELi32ELi8ELc67ELc67ELc76ELb1ELb1E19rocblas_complex_numIdES1_PKPKS1_PKPS1_EviT_T9_T10_S9_lSB_S9_lSA_T11_S9_li
	.p2align	8
	.type	_ZL29rocblas_internal_gemmt_kernelIlLi16ELi32ELi8ELc67ELc67ELc76ELb1ELb1E19rocblas_complex_numIdES1_PKPKS1_PKPS1_EviT_T9_T10_S9_lSB_S9_lSA_T11_S9_li,@function
_ZL29rocblas_internal_gemmt_kernelIlLi16ELi32ELi8ELc67ELc67ELc76ELb1ELb1E19rocblas_complex_numIdES1_PKPKS1_PKPS1_EviT_T9_T10_S9_lSB_S9_lSA_T11_S9_li: ; @_ZL29rocblas_internal_gemmt_kernelIlLi16ELi32ELi8ELc67ELc67ELc76ELb1ELb1E19rocblas_complex_numIdES1_PKPKS1_PKPS1_EviT_T9_T10_S9_lSB_S9_lSA_T11_S9_li
; %bb.0:
	s_clause 0x1
	s_load_b256 s[24:31], s[0:1], 0x48
	s_load_b512 s[8:23], s[0:1], 0x8
	s_wait_kmcnt 0x0
	v_cmp_eq_f64_e64 s3, s[26:27], 1.0
	v_cmp_eq_f64_e64 s2, s[28:29], 0
	s_and_b32 s3, s3, s2
	s_delay_alu instid0(SALU_CYCLE_1)
	s_and_not1_b32 vcc_lo, exec_lo, s3
	s_mov_b32 s3, -1
	s_cbranch_vccnz .LBB575_3
; %bb.1:
	s_cmp_lg_u64 s[8:9], 0
	s_cbranch_scc0 .LBB575_36
; %bb.2:
	v_cmp_neq_f64_e64 s3, s[10:11], 0
	v_cmp_neq_f64_e64 s4, s[12:13], 0
	s_or_b32 s3, s3, s4
.LBB575_3:
	s_delay_alu instid0(SALU_CYCLE_1)
	s_and_b32 vcc_lo, exec_lo, s3
	s_cbranch_vccz .LBB575_37
; %bb.4:
	s_load_b32 s33, s[0:1], 0x78
	s_bfe_u32 s3, ttmp6, 0x40014
	s_lshr_b32 s4, ttmp7, 16
	s_add_co_i32 s3, s3, 1
	s_bfe_u32 s6, ttmp6, 0x40008
	s_mul_i32 s5, s4, s3
	s_getreg_b32 s3, hwreg(HW_REG_IB_STS2, 6, 4)
	s_add_co_i32 s6, s6, s5
	s_cmp_eq_u32 s3, 0
	s_mov_b32 s35, 0
	s_cselect_b32 s34, s4, s6
	s_wait_kmcnt 0x0
	s_cmp_ge_u32 s34, s33
	s_cbranch_scc1 .LBB575_37
; %bb.5:
	s_clause 0x1
	s_load_b128 s[4:7], s[0:1], 0x68
	s_load_b32 s38, s[0:1], 0x0
	s_wait_xcnt 0x0
	s_bfe_u32 s1, ttmp6, 0x4000c
	s_bfe_u32 s40, ttmp6, 0x40010
	s_and_b32 s39, ttmp7, 0xffff
	s_add_co_i32 s1, s1, 1
	s_add_co_i32 s40, s40, 1
	v_and_b32_e32 v6, 0x3ff, v0
	v_bfe_u32 v7, v0, 10, 10
	s_and_b32 s0, ttmp6, 15
	s_bfe_u32 s41, ttmp6, 0x40004
	s_mul_i32 s1, ttmp9, s1
	s_mul_i32 s40, s39, s40
	s_add_co_i32 s0, s0, s1
	s_add_co_i32 s41, s41, s40
	s_cmp_eq_u32 s3, 0
	v_lshl_add_u32 v1, v7, 4, v6
	s_cselect_b32 s1, s39, s41
	s_cselect_b32 s0, ttmp9, s0
	s_lshl_b32 s1, s1, 5
	s_delay_alu instid0(VALU_DEP_1) | instskip(SKIP_4) | instid1(VALU_DEP_3)
	v_dual_lshrrev_b32 v11, 3, v1 :: v_dual_bitop2_b32 v8, 7, v0 bitop3:0x40
	v_dual_add_nc_u32 v0, s1, v7 :: v_dual_bitop2_b32 v9, 31, v1 bitop3:0x40
	s_lshl_b32 s39, s0, 5
	v_cmp_neq_f64_e64 s36, s[10:11], 0
	v_cmp_neq_f64_e64 s37, s[12:13], 0
	v_dual_add_nc_u32 v4, 16, v0 :: v_dual_bitop2_b32 v2, s39, v9 bitop3:0x54
	v_cmp_neq_f64_e64 s3, s[26:27], 0
	v_dual_lshrrev_b32 v10, 5, v1 :: v_dual_add_nc_u32 v12, s1, v11
	s_delay_alu instid0(VALU_DEP_3) | instskip(NEXT) | instid1(VALU_DEP_4)
	v_dual_ashrrev_i32 v3, 31, v2 :: v_dual_ashrrev_i32 v1, 31, v0
	v_dual_ashrrev_i32 v5, 31, v4 :: v_dual_lshlrev_b32 v9, 4, v9
	v_dual_lshlrev_b32 v13, 4, v8 :: v_dual_add_nc_u32 v20, s39, v6
	s_delay_alu instid0(VALU_DEP_3)
	v_mul_u64_e32 v[14:15], s[16:17], v[2:3]
	s_wait_kmcnt 0x0
	v_mul_u64_e32 v[16:17], s[4:5], v[0:1]
	v_mul_u64_e32 v[18:19], s[4:5], v[4:5]
	s_xor_b32 s4, s2, -1
	v_dual_add_nc_u32 v22, 16, v20 :: v_dual_ashrrev_i32 v21, 31, v20
	v_cmp_le_i32_e32 vcc_lo, v0, v20
	v_cmp_gt_i32_e64 s2, s38, v20
	v_lshl_or_b32 v1, v11, 7, v13
	v_cmp_gt_i64_e64 s42, s[8:9], 0
	v_cmp_le_i32_e64 s5, v4, v22
	v_cmp_gt_i32_e64 s0, s38, v2
	v_lshl_or_b32 v9, v10, 9, v9
	v_cmp_gt_i32_e64 s1, s38, v12
	v_add_nc_u32_e32 v11, 0x1000, v1
	v_dual_ashrrev_i32 v13, 31, v12 :: v_dual_lshlrev_b32 v48, 4, v6
	v_lshl_add_u32 v49, v7, 7, 0x1000
	v_dual_ashrrev_i32 v23, 31, v22 :: v_dual_mov_b32 v25, 0
	s_or_b32 s41, s36, s37
	s_and_b32 s37, vcc_lo, s2
	v_cmp_le_i32_e32 vcc_lo, v4, v20
	s_or_b32 s36, s3, s4
	v_cmp_le_i32_e64 s3, v0, v22
	v_cmp_gt_i32_e64 s4, s38, v22
	s_and_b32 s41, s41, s42
	s_and_b32 s39, vcc_lo, s2
	s_lshl_b64 s[6:7], s[6:7], 4
	s_and_b32 s38, s3, s4
	s_and_b32 s40, s5, s4
	s_lshl_b64 s[2:3], s[24:25], 4
	s_lshl_b64 s[4:5], s[18:19], 4
	s_branch .LBB575_7
.LBB575_6:                              ;   in Loop: Header=BB575_7 Depth=1
	s_wait_xcnt 0x0
	s_or_b32 exec_lo, exec_lo, s16
	s_add_co_i32 s34, s34, 0x10000
	s_delay_alu instid0(SALU_CYCLE_1)
	s_cmp_lt_u32 s34, s33
	s_cbranch_scc0 .LBB575_37
.LBB575_7:                              ; =>This Loop Header: Depth=1
                                        ;     Child Loop BB575_10 Depth 2
	v_mov_b32_e32 v0, s34
	v_mov_b64_e32 v[44:45], 0
	v_mov_b64_e32 v[46:47], 0
	;; [unrolled: 1-line block ×4, first 2 shown]
	global_load_b64 v[26:27], v0, s[30:31] scale_offset
	v_mov_b64_e32 v[36:37], 0
	v_mov_b64_e32 v[38:39], 0
	;; [unrolled: 1-line block ×4, first 2 shown]
	s_and_not1_b32 vcc_lo, exec_lo, s41
	s_cbranch_vccnz .LBB575_16
; %bb.8:                                ;   in Loop: Header=BB575_7 Depth=1
	s_lshl_b64 s[16:17], s[34:35], 3
	v_mov_b64_e32 v[30:31], 0
	s_add_nc_u64 s[18:19], s[14:15], s[16:17]
	s_add_nc_u64 s[16:17], s[20:21], s[16:17]
	s_clause 0x1
	global_load_b64 v[0:1], v25, s[18:19]
	global_load_b64 v[2:3], v25, s[16:17]
	v_mov_b64_e32 v[28:29], 0
	v_mov_b64_e32 v[38:39], 0
	;; [unrolled: 1-line block ×7, first 2 shown]
	s_wait_xcnt 0x0
	s_mov_b64 s[16:17], 0
	s_wait_loadcnt 0x1
	v_add_nc_u64_e32 v[0:1], s[4:5], v[0:1]
	s_wait_loadcnt 0x0
	v_add_nc_u64_e32 v[2:3], s[2:3], v[2:3]
	s_delay_alu instid0(VALU_DEP_2) | instskip(NEXT) | instid1(VALU_DEP_2)
	v_lshl_add_u64 v[32:33], v[14:15], 4, v[0:1]
	v_lshl_add_u64 v[34:35], v[12:13], 4, v[2:3]
	s_branch .LBB575_10
.LBB575_9:                              ;   in Loop: Header=BB575_10 Depth=2
	s_wait_xcnt 0x0
	s_or_b32 exec_lo, exec_lo, s18
	ds_store_b128 v11, v[4:7]
	s_wait_dscnt 0x0
	s_barrier_signal -1
	s_barrier_wait -1
	ds_load_b128 v[0:3], v49
	ds_load_b128 v[4:7], v48
	ds_load_b128 v[50:53], v48 offset:256
	ds_load_b128 v[54:57], v49 offset:2048
	;; [unrolled: 1-line block ×10, first 2 shown]
	s_add_nc_u64 s[16:17], s[16:17], 8
	s_delay_alu instid0(SALU_CYCLE_1)
	v_cmp_gt_i64_e64 s18, s[8:9], s[16:17]
	s_and_b32 vcc_lo, exec_lo, s18
	s_wait_dscnt 0xa
	v_mul_f64_e32 v[90:91], v[2:3], v[6:7]
	v_mul_f64_e32 v[92:93], v[0:1], v[6:7]
	s_wait_dscnt 0x9
	v_mul_f64_e32 v[94:95], v[2:3], v[52:53]
	v_mul_f64_e32 v[96:97], v[0:1], v[52:53]
	s_wait_dscnt 0x8
	v_mul_f64_e32 v[98:99], v[56:57], v[6:7]
	v_mul_f64_e32 v[100:101], v[54:55], v[6:7]
	v_mul_f64_e32 v[6:7], v[56:57], v[52:53]
	v_mul_f64_e32 v[102:103], v[54:55], v[52:53]
	s_wait_dscnt 0x6
	v_mul_f64_e32 v[104:105], v[60:61], v[64:65]
	v_mul_f64_e32 v[106:107], v[58:59], v[64:65]
	s_wait_dscnt 0x5
	v_mul_f64_e32 v[108:109], v[60:61], v[68:69]
	v_mul_f64_e32 v[110:111], v[58:59], v[68:69]
	s_wait_dscnt 0x4
	v_mul_f64_e32 v[112:113], v[72:73], v[64:65]
	v_mul_f64_e32 v[64:65], v[70:71], v[64:65]
	v_mul_f64_e32 v[114:115], v[72:73], v[68:69]
	v_mul_f64_e32 v[68:69], v[70:71], v[68:69]
	;; [unrolled: 11-line block ×3, first 2 shown]
	v_fma_f64 v[90:91], v[0:1], v[4:5], -v[90:91]
	v_fmac_f64_e32 v[92:93], v[2:3], v[4:5]
	v_fma_f64 v[94:95], v[0:1], v[50:51], -v[94:95]
	v_fmac_f64_e32 v[96:97], v[2:3], v[50:51]
	v_fma_f64 v[98:99], v[54:55], v[4:5], -v[98:99]
	v_fmac_f64_e32 v[100:101], v[56:57], v[4:5]
	v_fma_f64 v[116:117], v[54:55], v[50:51], -v[6:7]
	v_fmac_f64_e32 v[102:103], v[56:57], v[50:51]
	v_fma_f64 v[104:105], v[58:59], v[62:63], -v[104:105]
	v_fmac_f64_e32 v[106:107], v[60:61], v[62:63]
	v_fma_f64 v[58:59], v[58:59], v[66:67], -v[108:109]
	v_fmac_f64_e32 v[110:111], v[60:61], v[66:67]
	v_fma_f64 v[60:61], v[70:71], v[62:63], -v[112:113]
	v_fmac_f64_e32 v[64:65], v[72:73], v[62:63]
	v_fma_f64 v[62:63], v[70:71], v[66:67], -v[114:115]
	v_fmac_f64_e32 v[68:69], v[72:73], v[66:67]
	ds_load_b128 v[0:3], v49 offset:48
	ds_load_b128 v[4:7], v49 offset:2096
	;; [unrolled: 1-line block ×4, first 2 shown]
	v_fma_f64 v[118:119], v[74:75], v[78:79], -v[118:119]
	v_fmac_f64_e32 v[120:121], v[76:77], v[78:79]
	v_fma_f64 v[74:75], v[74:75], v[82:83], -v[122:123]
	v_fmac_f64_e32 v[124:125], v[76:77], v[82:83]
	;; [unrolled: 2-line block ×4, first 2 shown]
	v_add_f64_e32 v[66:67], v[44:45], v[90:91]
	v_add_f64_e32 v[70:71], v[92:93], v[46:47]
	;; [unrolled: 1-line block ×8, first 2 shown]
	s_wait_dscnt 0x1
	v_mul_f64_e32 v[100:101], v[2:3], v[52:53]
	v_mul_f64_e32 v[102:103], v[0:1], v[52:53]
	s_wait_dscnt 0x0
	v_mul_f64_e32 v[108:109], v[2:3], v[56:57]
	v_mul_f64_e32 v[112:113], v[0:1], v[56:57]
	;; [unrolled: 1-line block ×6, first 2 shown]
	ds_load_b128 v[28:31], v49 offset:64
	ds_load_b128 v[36:39], v48 offset:2048
	;; [unrolled: 1-line block ×4, first 2 shown]
	v_add_f64_e32 v[82:83], v[66:67], v[104:105]
	v_add_f64_e32 v[86:87], v[106:107], v[70:71]
	;; [unrolled: 1-line block ×8, first 2 shown]
	s_wait_dscnt 0x2
	v_mul_f64_e32 v[98:99], v[30:31], v[38:39]
	v_mul_f64_e32 v[104:105], v[28:29], v[38:39]
	s_wait_dscnt 0x1
	v_mul_f64_e32 v[106:107], v[30:31], v[42:43]
	v_mul_f64_e32 v[110:111], v[28:29], v[42:43]
	;; [unrolled: 3-line block ×3, first 2 shown]
	v_mul_f64_e32 v[38:39], v[46:47], v[42:43]
	v_mul_f64_e32 v[128:129], v[44:45], v[42:43]
	v_fma_f64 v[42:43], v[0:1], v[50:51], -v[100:101]
	v_fmac_f64_e32 v[102:103], v[2:3], v[50:51]
	v_fma_f64 v[100:101], v[0:1], v[54:55], -v[108:109]
	v_fmac_f64_e32 v[112:113], v[2:3], v[54:55]
	;; [unrolled: 2-line block ×4, first 2 shown]
	ds_load_b128 v[56:59], v49 offset:80
	ds_load_b128 v[60:63], v49 offset:2128
	;; [unrolled: 1-line block ×4, first 2 shown]
	v_add_f64_e32 v[54:55], v[82:83], v[118:119]
	v_add_f64_e32 v[82:83], v[120:121], v[86:87]
	;; [unrolled: 1-line block ×8, first 2 shown]
	v_fma_f64 v[98:99], v[28:29], v[36:37], -v[98:99]
	v_fmac_f64_e32 v[104:105], v[30:31], v[36:37]
	v_fma_f64 v[106:107], v[28:29], v[40:41], -v[106:107]
	s_wait_dscnt 0x1
	v_mul_f64_e32 v[90:91], v[58:59], v[66:67]
	v_mul_f64_e32 v[92:93], v[56:57], v[66:67]
	s_wait_dscnt 0x0
	v_mul_f64_e32 v[94:95], v[58:59], v[70:71]
	v_mul_f64_e32 v[96:97], v[56:57], v[70:71]
	;; [unrolled: 1-line block ×6, first 2 shown]
	v_fmac_f64_e32 v[110:111], v[30:31], v[40:41]
	v_fma_f64 v[122:123], v[44:45], v[36:37], -v[122:123]
	v_fmac_f64_e32 v[126:127], v[46:47], v[36:37]
	v_fma_f64 v[124:125], v[44:45], v[40:41], -v[38:39]
	v_fmac_f64_e32 v[128:129], v[46:47], v[40:41]
	ds_load_b128 v[0:3], v49 offset:96
	ds_load_b128 v[4:7], v48 offset:3072
	;; [unrolled: 1-line block ×4, first 2 shown]
	v_add_f64_e32 v[54:55], v[54:55], v[42:43]
	v_add_f64_e32 v[82:83], v[102:103], v[82:83]
	;; [unrolled: 1-line block ×8, first 2 shown]
	ds_load_b128 v[28:31], v49 offset:112
	ds_load_b128 v[36:39], v49 offset:2160
	;; [unrolled: 1-line block ×4, first 2 shown]
	s_wait_dscnt 0x0
	v_mul_f64_e32 v[100:101], v[2:3], v[6:7]
	v_mul_f64_e32 v[102:103], v[0:1], v[6:7]
	;; [unrolled: 1-line block ×8, first 2 shown]
	v_fma_f64 v[90:91], v[56:57], v[64:65], -v[90:91]
	v_fmac_f64_e32 v[92:93], v[58:59], v[64:65]
	v_fma_f64 v[56:57], v[56:57], v[68:69], -v[94:95]
	v_fmac_f64_e32 v[96:97], v[58:59], v[68:69]
	;; [unrolled: 2-line block ×4, first 2 shown]
	s_barrier_signal -1
	s_barrier_wait -1
	v_mul_f64_e32 v[94:95], v[28:29], v[46:47]
	v_add_f64_e32 v[54:55], v[54:55], v[98:99]
	v_add_f64_e32 v[62:63], v[104:105], v[82:83]
	;; [unrolled: 1-line block ×8, first 2 shown]
	v_mul_f64_e32 v[84:85], v[30:31], v[42:43]
	v_mul_f64_e32 v[86:87], v[28:29], v[42:43]
	;; [unrolled: 1-line block ×7, first 2 shown]
	v_fma_f64 v[46:47], v[0:1], v[4:5], -v[100:101]
	v_fmac_f64_e32 v[102:103], v[2:3], v[4:5]
	v_fma_f64 v[0:1], v[0:1], v[50:51], -v[108:109]
	v_fmac_f64_e32 v[112:113], v[2:3], v[50:51]
	;; [unrolled: 2-line block ×4, first 2 shown]
	v_fmac_f64_e32 v[94:95], v[30:31], v[44:45]
	v_add_f64_e32 v[50:51], v[54:55], v[90:91]
	v_add_f64_e32 v[54:55], v[92:93], v[62:63]
	;; [unrolled: 1-line block ×8, first 2 shown]
	v_fma_f64 v[68:69], v[28:29], v[40:41], -v[84:85]
	v_fmac_f64_e32 v[86:87], v[30:31], v[40:41]
	v_fma_f64 v[28:29], v[28:29], v[44:45], -v[88:89]
	v_fma_f64 v[30:31], v[36:37], v[40:41], -v[98:99]
	v_fmac_f64_e32 v[104:105], v[38:39], v[40:41]
	v_fma_f64 v[70:71], v[36:37], v[44:45], -v[42:43]
	v_fmac_f64_e32 v[106:107], v[38:39], v[44:45]
	v_add_f64_e32 v[36:37], v[50:51], v[46:47]
	v_add_f64_e32 v[38:39], v[102:103], v[54:55]
	;; [unrolled: 1-line block ×16, first 2 shown]
	s_cbranch_vccz .LBB575_16
.LBB575_10:                             ;   Parent Loop BB575_7 Depth=1
                                        ; =>  This Inner Loop Header: Depth=2
	v_mov_b64_e32 v[0:1], 0
	v_mov_b64_e32 v[2:3], 0
	s_and_saveexec_b32 s18, s0
	s_cbranch_execz .LBB575_14
; %bb.11:                               ;   in Loop: Header=BB575_10 Depth=2
	v_mov_b64_e32 v[2:3], 0
	v_mov_b64_e32 v[0:1], 0
	v_add_nc_u32_e32 v24, s16, v10
	s_mov_b32 s19, exec_lo
	s_delay_alu instid0(VALU_DEP_1)
	v_cmpx_gt_u64_e64 s[8:9], v[24:25]
	s_cbranch_execz .LBB575_13
; %bb.12:                               ;   in Loop: Header=BB575_10 Depth=2
	v_lshl_add_u64 v[0:1], v[24:25], 4, v[32:33]
	flat_load_b128 v[0:3], v[0:1]
	s_wait_loadcnt_dscnt 0x0
	v_xor_b32_e32 v3, 0x80000000, v3
.LBB575_13:                             ;   in Loop: Header=BB575_10 Depth=2
	s_wait_xcnt 0x0
	s_or_b32 exec_lo, exec_lo, s19
.LBB575_14:                             ;   in Loop: Header=BB575_10 Depth=2
	s_delay_alu instid0(SALU_CYCLE_1)
	s_or_b32 exec_lo, exec_lo, s18
	v_add_nc_u32_e32 v24, s16, v8
	v_mov_b64_e32 v[4:5], 0
	v_mov_b64_e32 v[6:7], 0
	ds_store_b128 v9, v[0:3]
	v_cmp_gt_u64_e32 vcc_lo, s[8:9], v[24:25]
	s_and_b32 s19, vcc_lo, s1
	s_delay_alu instid0(SALU_CYCLE_1)
	s_and_saveexec_b32 s18, s19
	s_cbranch_execz .LBB575_9
; %bb.15:                               ;   in Loop: Header=BB575_10 Depth=2
	v_mul_u64_e32 v[0:1], s[22:23], v[24:25]
	s_delay_alu instid0(VALU_DEP_1)
	v_lshl_add_u64 v[0:1], v[0:1], 4, v[34:35]
	flat_load_b128 v[4:7], v[0:1]
	s_wait_loadcnt_dscnt 0x0
	v_xor_b32_e32 v7, 0x80000000, v7
	s_branch .LBB575_9
.LBB575_16:                             ;   in Loop: Header=BB575_7 Depth=1
	s_wait_loadcnt 0x0
	v_add_nc_u64_e32 v[4:5], s[6:7], v[26:27]
	s_delay_alu instid0(VALU_DEP_1)
	v_lshl_add_u64 v[6:7], v[16:17], 4, v[4:5]
	s_wait_xcnt 0x0
	s_and_saveexec_b32 s16, s37
	s_cbranch_execz .LBB575_21
; %bb.17:                               ;   in Loop: Header=BB575_7 Depth=1
	v_mul_f64_e32 v[0:1], s[12:13], v[46:47]
	v_mul_f64_e32 v[2:3], s[10:11], v[46:47]
	v_lshl_add_u64 v[26:27], v[20:21], 4, v[6:7]
	s_and_b32 vcc_lo, exec_lo, s36
	s_mov_b32 s17, -1
	s_delay_alu instid0(VALU_DEP_3) | instskip(NEXT) | instid1(VALU_DEP_3)
	v_fma_f64 v[0:1], s[10:11], v[44:45], -v[0:1]
	v_fmac_f64_e32 v[2:3], s[12:13], v[44:45]
	s_cbranch_vccz .LBB575_19
; %bb.18:                               ;   in Loop: Header=BB575_7 Depth=1
	flat_load_b128 v[32:35], v[26:27]
	s_mov_b32 s17, 0
	s_wait_loadcnt_dscnt 0x0
	v_mul_f64_e32 v[44:45], s[28:29], v[34:35]
	v_mul_f64_e32 v[34:35], s[26:27], v[34:35]
	s_delay_alu instid0(VALU_DEP_2) | instskip(NEXT) | instid1(VALU_DEP_2)
	v_fma_f64 v[44:45], s[26:27], v[32:33], -v[44:45]
	v_fmac_f64_e32 v[34:35], s[28:29], v[32:33]
	s_delay_alu instid0(VALU_DEP_2) | instskip(NEXT) | instid1(VALU_DEP_2)
	v_add_f64_e32 v[32:33], v[0:1], v[44:45]
	v_add_f64_e32 v[34:35], v[2:3], v[34:35]
	flat_store_b128 v[26:27], v[32:35]
.LBB575_19:                             ;   in Loop: Header=BB575_7 Depth=1
	s_and_not1_b32 vcc_lo, exec_lo, s17
	s_cbranch_vccnz .LBB575_21
; %bb.20:                               ;   in Loop: Header=BB575_7 Depth=1
	flat_store_b128 v[26:27], v[0:3]
.LBB575_21:                             ;   in Loop: Header=BB575_7 Depth=1
	s_wait_xcnt 0x0
	s_or_b32 exec_lo, exec_lo, s16
	s_and_saveexec_b32 s16, s38
	s_cbranch_execz .LBB575_26
; %bb.22:                               ;   in Loop: Header=BB575_7 Depth=1
	v_mul_f64_e32 v[0:1], s[12:13], v[42:43]
	v_mul_f64_e32 v[2:3], s[10:11], v[42:43]
	v_lshl_add_u64 v[6:7], v[22:23], 4, v[6:7]
	s_and_not1_b32 vcc_lo, exec_lo, s36
	s_mov_b32 s17, -1
	s_delay_alu instid0(VALU_DEP_3) | instskip(NEXT) | instid1(VALU_DEP_3)
	v_fma_f64 v[0:1], s[10:11], v[40:41], -v[0:1]
	v_fmac_f64_e32 v[2:3], s[12:13], v[40:41]
	s_cbranch_vccnz .LBB575_24
; %bb.23:                               ;   in Loop: Header=BB575_7 Depth=1
	flat_load_b128 v[32:35], v[6:7]
	s_mov_b32 s17, 0
	s_wait_loadcnt_dscnt 0x0
	v_mul_f64_e32 v[26:27], s[28:29], v[34:35]
	v_mul_f64_e32 v[34:35], s[26:27], v[34:35]
	s_delay_alu instid0(VALU_DEP_2) | instskip(NEXT) | instid1(VALU_DEP_2)
	v_fma_f64 v[26:27], s[26:27], v[32:33], -v[26:27]
	v_fmac_f64_e32 v[34:35], s[28:29], v[32:33]
	s_delay_alu instid0(VALU_DEP_2) | instskip(NEXT) | instid1(VALU_DEP_2)
	v_add_f64_e32 v[32:33], v[0:1], v[26:27]
	v_add_f64_e32 v[34:35], v[2:3], v[34:35]
	flat_store_b128 v[6:7], v[32:35]
.LBB575_24:                             ;   in Loop: Header=BB575_7 Depth=1
	s_and_not1_b32 vcc_lo, exec_lo, s17
	s_cbranch_vccnz .LBB575_26
; %bb.25:                               ;   in Loop: Header=BB575_7 Depth=1
	flat_store_b128 v[6:7], v[0:3]
.LBB575_26:                             ;   in Loop: Header=BB575_7 Depth=1
	s_wait_xcnt 0x0
	s_or_b32 exec_lo, exec_lo, s16
	v_lshl_add_u64 v[4:5], v[18:19], 4, v[4:5]
	s_and_saveexec_b32 s16, s39
	s_cbranch_execz .LBB575_31
; %bb.27:                               ;   in Loop: Header=BB575_7 Depth=1
	v_mul_f64_e32 v[0:1], s[12:13], v[38:39]
	v_mul_f64_e32 v[2:3], s[10:11], v[38:39]
	v_lshl_add_u64 v[6:7], v[20:21], 4, v[4:5]
	s_and_not1_b32 vcc_lo, exec_lo, s36
	s_mov_b32 s17, -1
	s_delay_alu instid0(VALU_DEP_3) | instskip(NEXT) | instid1(VALU_DEP_3)
	v_fma_f64 v[0:1], s[10:11], v[36:37], -v[0:1]
	v_fmac_f64_e32 v[2:3], s[12:13], v[36:37]
	s_cbranch_vccnz .LBB575_29
; %bb.28:                               ;   in Loop: Header=BB575_7 Depth=1
	flat_load_b128 v[32:35], v[6:7]
	s_mov_b32 s17, 0
	s_wait_loadcnt_dscnt 0x0
	v_mul_f64_e32 v[26:27], s[28:29], v[34:35]
	v_mul_f64_e32 v[34:35], s[26:27], v[34:35]
	s_delay_alu instid0(VALU_DEP_2) | instskip(NEXT) | instid1(VALU_DEP_2)
	v_fma_f64 v[26:27], s[26:27], v[32:33], -v[26:27]
	v_fmac_f64_e32 v[34:35], s[28:29], v[32:33]
	s_delay_alu instid0(VALU_DEP_2) | instskip(NEXT) | instid1(VALU_DEP_2)
	v_add_f64_e32 v[32:33], v[0:1], v[26:27]
	v_add_f64_e32 v[34:35], v[2:3], v[34:35]
	flat_store_b128 v[6:7], v[32:35]
.LBB575_29:                             ;   in Loop: Header=BB575_7 Depth=1
	s_and_not1_b32 vcc_lo, exec_lo, s17
	s_cbranch_vccnz .LBB575_31
; %bb.30:                               ;   in Loop: Header=BB575_7 Depth=1
	flat_store_b128 v[6:7], v[0:3]
.LBB575_31:                             ;   in Loop: Header=BB575_7 Depth=1
	s_wait_xcnt 0x0
	s_or_b32 exec_lo, exec_lo, s16
	s_and_saveexec_b32 s16, s40
	s_cbranch_execz .LBB575_6
; %bb.32:                               ;   in Loop: Header=BB575_7 Depth=1
	s_delay_alu instid0(VALU_DEP_4) | instskip(SKIP_4) | instid1(VALU_DEP_3)
	v_mul_f64_e32 v[0:1], s[12:13], v[30:31]
	v_mul_f64_e32 v[2:3], s[10:11], v[30:31]
	v_lshl_add_u64 v[4:5], v[22:23], 4, v[4:5]
	s_and_not1_b32 vcc_lo, exec_lo, s36
	s_mov_b32 s17, -1
	v_fma_f64 v[0:1], s[10:11], v[28:29], -v[0:1]
	s_delay_alu instid0(VALU_DEP_3)
	v_fmac_f64_e32 v[2:3], s[12:13], v[28:29]
	s_cbranch_vccnz .LBB575_34
; %bb.33:                               ;   in Loop: Header=BB575_7 Depth=1
	flat_load_b128 v[26:29], v[4:5]
	s_mov_b32 s17, 0
	s_wait_loadcnt_dscnt 0x0
	v_mul_f64_e32 v[6:7], s[28:29], v[28:29]
	v_mul_f64_e32 v[28:29], s[26:27], v[28:29]
	s_delay_alu instid0(VALU_DEP_2) | instskip(NEXT) | instid1(VALU_DEP_2)
	v_fma_f64 v[6:7], s[26:27], v[26:27], -v[6:7]
	v_fmac_f64_e32 v[28:29], s[28:29], v[26:27]
	s_delay_alu instid0(VALU_DEP_2) | instskip(NEXT) | instid1(VALU_DEP_2)
	v_add_f64_e32 v[26:27], v[0:1], v[6:7]
	v_add_f64_e32 v[28:29], v[2:3], v[28:29]
	flat_store_b128 v[4:5], v[26:29]
.LBB575_34:                             ;   in Loop: Header=BB575_7 Depth=1
	s_and_not1_b32 vcc_lo, exec_lo, s17
	s_cbranch_vccnz .LBB575_6
; %bb.35:                               ;   in Loop: Header=BB575_7 Depth=1
	flat_store_b128 v[4:5], v[0:3]
	s_branch .LBB575_6
.LBB575_36:
.LBB575_37:
	s_sendmsg sendmsg(MSG_DEALLOC_VGPRS)
	s_endpgm
	.section	.rodata,"a",@progbits
	.p2align	6, 0x0
	.amdhsa_kernel _ZL29rocblas_internal_gemmt_kernelIlLi16ELi32ELi8ELc67ELc67ELc76ELb1ELb1E19rocblas_complex_numIdES1_PKPKS1_PKPS1_EviT_T9_T10_S9_lSB_S9_lSA_T11_S9_li
		.amdhsa_group_segment_fixed_size 8192
		.amdhsa_private_segment_fixed_size 0
		.amdhsa_kernarg_size 124
		.amdhsa_user_sgpr_count 2
		.amdhsa_user_sgpr_dispatch_ptr 0
		.amdhsa_user_sgpr_queue_ptr 0
		.amdhsa_user_sgpr_kernarg_segment_ptr 1
		.amdhsa_user_sgpr_dispatch_id 0
		.amdhsa_user_sgpr_kernarg_preload_length 0
		.amdhsa_user_sgpr_kernarg_preload_offset 0
		.amdhsa_user_sgpr_private_segment_size 0
		.amdhsa_wavefront_size32 1
		.amdhsa_uses_dynamic_stack 0
		.amdhsa_enable_private_segment 0
		.amdhsa_system_sgpr_workgroup_id_x 1
		.amdhsa_system_sgpr_workgroup_id_y 1
		.amdhsa_system_sgpr_workgroup_id_z 1
		.amdhsa_system_sgpr_workgroup_info 0
		.amdhsa_system_vgpr_workitem_id 1
		.amdhsa_next_free_vgpr 132
		.amdhsa_next_free_sgpr 43
		.amdhsa_named_barrier_count 0
		.amdhsa_reserve_vcc 1
		.amdhsa_float_round_mode_32 0
		.amdhsa_float_round_mode_16_64 0
		.amdhsa_float_denorm_mode_32 3
		.amdhsa_float_denorm_mode_16_64 3
		.amdhsa_fp16_overflow 0
		.amdhsa_memory_ordered 1
		.amdhsa_forward_progress 1
		.amdhsa_inst_pref_size 23
		.amdhsa_round_robin_scheduling 0
		.amdhsa_exception_fp_ieee_invalid_op 0
		.amdhsa_exception_fp_denorm_src 0
		.amdhsa_exception_fp_ieee_div_zero 0
		.amdhsa_exception_fp_ieee_overflow 0
		.amdhsa_exception_fp_ieee_underflow 0
		.amdhsa_exception_fp_ieee_inexact 0
		.amdhsa_exception_int_div_zero 0
	.end_amdhsa_kernel
	.section	.text._ZL29rocblas_internal_gemmt_kernelIlLi16ELi32ELi8ELc67ELc67ELc76ELb1ELb1E19rocblas_complex_numIdES1_PKPKS1_PKPS1_EviT_T9_T10_S9_lSB_S9_lSA_T11_S9_li,"axG",@progbits,_ZL29rocblas_internal_gemmt_kernelIlLi16ELi32ELi8ELc67ELc67ELc76ELb1ELb1E19rocblas_complex_numIdES1_PKPKS1_PKPS1_EviT_T9_T10_S9_lSB_S9_lSA_T11_S9_li,comdat
.Lfunc_end575:
	.size	_ZL29rocblas_internal_gemmt_kernelIlLi16ELi32ELi8ELc67ELc67ELc76ELb1ELb1E19rocblas_complex_numIdES1_PKPKS1_PKPS1_EviT_T9_T10_S9_lSB_S9_lSA_T11_S9_li, .Lfunc_end575-_ZL29rocblas_internal_gemmt_kernelIlLi16ELi32ELi8ELc67ELc67ELc76ELb1ELb1E19rocblas_complex_numIdES1_PKPKS1_PKPS1_EviT_T9_T10_S9_lSB_S9_lSA_T11_S9_li
                                        ; -- End function
	.set _ZL29rocblas_internal_gemmt_kernelIlLi16ELi32ELi8ELc67ELc67ELc76ELb1ELb1E19rocblas_complex_numIdES1_PKPKS1_PKPS1_EviT_T9_T10_S9_lSB_S9_lSA_T11_S9_li.num_vgpr, 132
	.set _ZL29rocblas_internal_gemmt_kernelIlLi16ELi32ELi8ELc67ELc67ELc76ELb1ELb1E19rocblas_complex_numIdES1_PKPKS1_PKPS1_EviT_T9_T10_S9_lSB_S9_lSA_T11_S9_li.num_agpr, 0
	.set _ZL29rocblas_internal_gemmt_kernelIlLi16ELi32ELi8ELc67ELc67ELc76ELb1ELb1E19rocblas_complex_numIdES1_PKPKS1_PKPS1_EviT_T9_T10_S9_lSB_S9_lSA_T11_S9_li.numbered_sgpr, 43
	.set _ZL29rocblas_internal_gemmt_kernelIlLi16ELi32ELi8ELc67ELc67ELc76ELb1ELb1E19rocblas_complex_numIdES1_PKPKS1_PKPS1_EviT_T9_T10_S9_lSB_S9_lSA_T11_S9_li.num_named_barrier, 0
	.set _ZL29rocblas_internal_gemmt_kernelIlLi16ELi32ELi8ELc67ELc67ELc76ELb1ELb1E19rocblas_complex_numIdES1_PKPKS1_PKPS1_EviT_T9_T10_S9_lSB_S9_lSA_T11_S9_li.private_seg_size, 0
	.set _ZL29rocblas_internal_gemmt_kernelIlLi16ELi32ELi8ELc67ELc67ELc76ELb1ELb1E19rocblas_complex_numIdES1_PKPKS1_PKPS1_EviT_T9_T10_S9_lSB_S9_lSA_T11_S9_li.uses_vcc, 1
	.set _ZL29rocblas_internal_gemmt_kernelIlLi16ELi32ELi8ELc67ELc67ELc76ELb1ELb1E19rocblas_complex_numIdES1_PKPKS1_PKPS1_EviT_T9_T10_S9_lSB_S9_lSA_T11_S9_li.uses_flat_scratch, 0
	.set _ZL29rocblas_internal_gemmt_kernelIlLi16ELi32ELi8ELc67ELc67ELc76ELb1ELb1E19rocblas_complex_numIdES1_PKPKS1_PKPS1_EviT_T9_T10_S9_lSB_S9_lSA_T11_S9_li.has_dyn_sized_stack, 0
	.set _ZL29rocblas_internal_gemmt_kernelIlLi16ELi32ELi8ELc67ELc67ELc76ELb1ELb1E19rocblas_complex_numIdES1_PKPKS1_PKPS1_EviT_T9_T10_S9_lSB_S9_lSA_T11_S9_li.has_recursion, 0
	.set _ZL29rocblas_internal_gemmt_kernelIlLi16ELi32ELi8ELc67ELc67ELc76ELb1ELb1E19rocblas_complex_numIdES1_PKPKS1_PKPS1_EviT_T9_T10_S9_lSB_S9_lSA_T11_S9_li.has_indirect_call, 0
	.section	.AMDGPU.csdata,"",@progbits
; Kernel info:
; codeLenInByte = 2912
; TotalNumSgprs: 45
; NumVgprs: 132
; ScratchSize: 0
; MemoryBound: 1
; FloatMode: 240
; IeeeMode: 1
; LDSByteSize: 8192 bytes/workgroup (compile time only)
; SGPRBlocks: 0
; VGPRBlocks: 8
; NumSGPRsForWavesPerEU: 45
; NumVGPRsForWavesPerEU: 132
; NamedBarCnt: 0
; Occupancy: 7
; WaveLimiterHint : 1
; COMPUTE_PGM_RSRC2:SCRATCH_EN: 0
; COMPUTE_PGM_RSRC2:USER_SGPR: 2
; COMPUTE_PGM_RSRC2:TRAP_HANDLER: 0
; COMPUTE_PGM_RSRC2:TGID_X_EN: 1
; COMPUTE_PGM_RSRC2:TGID_Y_EN: 1
; COMPUTE_PGM_RSRC2:TGID_Z_EN: 1
; COMPUTE_PGM_RSRC2:TIDIG_COMP_CNT: 1
	.section	.AMDGPU.gpr_maximums,"",@progbits
	.set amdgpu.max_num_vgpr, 0
	.set amdgpu.max_num_agpr, 0
	.set amdgpu.max_num_sgpr, 0
	.section	.AMDGPU.csdata,"",@progbits
	.type	__hip_cuid_b9d6f8c60c2424e9,@object ; @__hip_cuid_b9d6f8c60c2424e9
	.section	.bss,"aw",@nobits
	.globl	__hip_cuid_b9d6f8c60c2424e9
__hip_cuid_b9d6f8c60c2424e9:
	.byte	0                               ; 0x0
	.size	__hip_cuid_b9d6f8c60c2424e9, 1

	.ident	"AMD clang version 22.0.0git (https://github.com/RadeonOpenCompute/llvm-project roc-7.2.4 26084 f58b06dce1f9c15707c5f808fd002e18c2accf7e)"
	.section	".note.GNU-stack","",@progbits
	.addrsig
	.addrsig_sym __hip_cuid_b9d6f8c60c2424e9
	.amdgpu_metadata
---
amdhsa.kernels:
  - .args:
      - .offset:         0
        .size:           4
        .value_kind:     by_value
      - .offset:         4
        .size:           4
        .value_kind:     by_value
      - .address_space:  global
        .offset:         8
        .size:           8
        .value_kind:     global_buffer
      - .address_space:  global
        .offset:         16
        .size:           8
        .value_kind:     global_buffer
      - .offset:         24
        .size:           4
        .value_kind:     by_value
      - .offset:         32
        .size:           8
        .value_kind:     by_value
      - .address_space:  global
        .offset:         40
        .size:           8
        .value_kind:     global_buffer
      - .offset:         48
        .size:           4
        .value_kind:     by_value
      - .offset:         56
        .size:           8
        .value_kind:     by_value
      - .address_space:  global
        .offset:         64
        .size:           8
        .value_kind:     global_buffer
      - .address_space:  global
        .offset:         72
        .size:           8
        .value_kind:     global_buffer
      - .offset:         80
        .size:           4
        .value_kind:     by_value
      - .offset:         88
        .size:           8
        .value_kind:     by_value
      - .offset:         96
        .size:           4
        .value_kind:     by_value
    .group_segment_fixed_size: 2048
    .kernarg_segment_align: 8
    .kernarg_segment_size: 100
    .language:       OpenCL C
    .language_version:
      - 2
      - 0
    .max_flat_workgroup_size: 256
    .name:           _ZL29rocblas_internal_gemmt_kernelIiLi16ELi32ELi8ELc78ELc78ELc85ELb0ELb0EfPKfS1_PfEviT_T9_T10_S3_lS5_S3_lS4_T11_S3_li
    .private_segment_fixed_size: 0
    .sgpr_count:     33
    .sgpr_spill_count: 0
    .symbol:         _ZL29rocblas_internal_gemmt_kernelIiLi16ELi32ELi8ELc78ELc78ELc85ELb0ELb0EfPKfS1_PfEviT_T9_T10_S3_lS5_S3_lS4_T11_S3_li.kd
    .uniform_work_group_size: 1
    .uses_dynamic_stack: false
    .vgpr_count:     54
    .vgpr_spill_count: 0
    .wavefront_size: 32
  - .args:
      - .offset:         0
        .size:           4
        .value_kind:     by_value
      - .offset:         4
        .size:           4
        .value_kind:     by_value
      - .address_space:  global
        .offset:         8
        .size:           8
        .value_kind:     global_buffer
      - .address_space:  global
        .offset:         16
        .size:           8
        .value_kind:     global_buffer
      - .offset:         24
        .size:           4
        .value_kind:     by_value
      - .offset:         32
        .size:           8
        .value_kind:     by_value
      - .address_space:  global
        .offset:         40
        .size:           8
        .value_kind:     global_buffer
      - .offset:         48
        .size:           4
        .value_kind:     by_value
      - .offset:         56
        .size:           8
        .value_kind:     by_value
      - .address_space:  global
        .offset:         64
        .size:           8
        .value_kind:     global_buffer
      - .address_space:  global
        .offset:         72
        .size:           8
        .value_kind:     global_buffer
      - .offset:         80
        .size:           4
        .value_kind:     by_value
      - .offset:         88
        .size:           8
        .value_kind:     by_value
      - .offset:         96
        .size:           4
        .value_kind:     by_value
    .group_segment_fixed_size: 2048
    .kernarg_segment_align: 8
    .kernarg_segment_size: 100
    .language:       OpenCL C
    .language_version:
      - 2
      - 0
    .max_flat_workgroup_size: 256
    .name:           _ZL29rocblas_internal_gemmt_kernelIiLi16ELi32ELi8ELc78ELc84ELc85ELb0ELb0EfPKfS1_PfEviT_T9_T10_S3_lS5_S3_lS4_T11_S3_li
    .private_segment_fixed_size: 0
    .sgpr_count:     36
    .sgpr_spill_count: 0
    .symbol:         _ZL29rocblas_internal_gemmt_kernelIiLi16ELi32ELi8ELc78ELc84ELc85ELb0ELb0EfPKfS1_PfEviT_T9_T10_S3_lS5_S3_lS4_T11_S3_li.kd
    .uniform_work_group_size: 1
    .uses_dynamic_stack: false
    .vgpr_count:     52
    .vgpr_spill_count: 0
    .wavefront_size: 32
  - .args:
      - .offset:         0
        .size:           4
        .value_kind:     by_value
      - .offset:         4
        .size:           4
        .value_kind:     by_value
      - .address_space:  global
        .offset:         8
        .size:           8
        .value_kind:     global_buffer
      - .address_space:  global
        .offset:         16
        .size:           8
        .value_kind:     global_buffer
      - .offset:         24
        .size:           4
        .value_kind:     by_value
      - .offset:         32
        .size:           8
        .value_kind:     by_value
      - .address_space:  global
        .offset:         40
        .size:           8
        .value_kind:     global_buffer
      - .offset:         48
        .size:           4
        .value_kind:     by_value
      - .offset:         56
        .size:           8
        .value_kind:     by_value
      - .address_space:  global
        .offset:         64
        .size:           8
        .value_kind:     global_buffer
      - .address_space:  global
        .offset:         72
        .size:           8
        .value_kind:     global_buffer
      - .offset:         80
        .size:           4
        .value_kind:     by_value
      - .offset:         88
        .size:           8
        .value_kind:     by_value
      - .offset:         96
        .size:           4
        .value_kind:     by_value
    .group_segment_fixed_size: 2048
    .kernarg_segment_align: 8
    .kernarg_segment_size: 100
    .language:       OpenCL C
    .language_version:
      - 2
      - 0
    .max_flat_workgroup_size: 256
    .name:           _ZL29rocblas_internal_gemmt_kernelIiLi16ELi32ELi8ELc78ELc67ELc85ELb0ELb0EfPKfS1_PfEviT_T9_T10_S3_lS5_S3_lS4_T11_S3_li
    .private_segment_fixed_size: 0
    .sgpr_count:     36
    .sgpr_spill_count: 0
    .symbol:         _ZL29rocblas_internal_gemmt_kernelIiLi16ELi32ELi8ELc78ELc67ELc85ELb0ELb0EfPKfS1_PfEviT_T9_T10_S3_lS5_S3_lS4_T11_S3_li.kd
    .uniform_work_group_size: 1
    .uses_dynamic_stack: false
    .vgpr_count:     52
    .vgpr_spill_count: 0
    .wavefront_size: 32
  - .args:
      - .offset:         0
        .size:           4
        .value_kind:     by_value
      - .offset:         4
        .size:           4
        .value_kind:     by_value
      - .address_space:  global
        .offset:         8
        .size:           8
        .value_kind:     global_buffer
      - .address_space:  global
        .offset:         16
        .size:           8
        .value_kind:     global_buffer
      - .offset:         24
        .size:           4
        .value_kind:     by_value
      - .offset:         32
        .size:           8
        .value_kind:     by_value
      - .address_space:  global
        .offset:         40
        .size:           8
        .value_kind:     global_buffer
      - .offset:         48
        .size:           4
        .value_kind:     by_value
      - .offset:         56
        .size:           8
        .value_kind:     by_value
      - .address_space:  global
        .offset:         64
        .size:           8
        .value_kind:     global_buffer
      - .address_space:  global
        .offset:         72
        .size:           8
        .value_kind:     global_buffer
      - .offset:         80
        .size:           4
        .value_kind:     by_value
      - .offset:         88
        .size:           8
        .value_kind:     by_value
      - .offset:         96
        .size:           4
        .value_kind:     by_value
    .group_segment_fixed_size: 2048
    .kernarg_segment_align: 8
    .kernarg_segment_size: 100
    .language:       OpenCL C
    .language_version:
      - 2
      - 0
    .max_flat_workgroup_size: 256
    .name:           _ZL29rocblas_internal_gemmt_kernelIiLi16ELi32ELi8ELc84ELc78ELc85ELb0ELb0EfPKfS1_PfEviT_T9_T10_S3_lS5_S3_lS4_T11_S3_li
    .private_segment_fixed_size: 0
    .sgpr_count:     33
    .sgpr_spill_count: 0
    .symbol:         _ZL29rocblas_internal_gemmt_kernelIiLi16ELi32ELi8ELc84ELc78ELc85ELb0ELb0EfPKfS1_PfEviT_T9_T10_S3_lS5_S3_lS4_T11_S3_li.kd
    .uniform_work_group_size: 1
    .uses_dynamic_stack: false
    .vgpr_count:     52
    .vgpr_spill_count: 0
    .wavefront_size: 32
  - .args:
      - .offset:         0
        .size:           4
        .value_kind:     by_value
      - .offset:         4
        .size:           4
        .value_kind:     by_value
      - .address_space:  global
        .offset:         8
        .size:           8
        .value_kind:     global_buffer
      - .address_space:  global
        .offset:         16
        .size:           8
        .value_kind:     global_buffer
      - .offset:         24
        .size:           4
        .value_kind:     by_value
      - .offset:         32
        .size:           8
        .value_kind:     by_value
      - .address_space:  global
        .offset:         40
        .size:           8
        .value_kind:     global_buffer
      - .offset:         48
        .size:           4
        .value_kind:     by_value
      - .offset:         56
        .size:           8
        .value_kind:     by_value
      - .address_space:  global
        .offset:         64
        .size:           8
        .value_kind:     global_buffer
      - .address_space:  global
        .offset:         72
        .size:           8
        .value_kind:     global_buffer
      - .offset:         80
        .size:           4
        .value_kind:     by_value
      - .offset:         88
        .size:           8
        .value_kind:     by_value
      - .offset:         96
        .size:           4
        .value_kind:     by_value
    .group_segment_fixed_size: 2048
    .kernarg_segment_align: 8
    .kernarg_segment_size: 100
    .language:       OpenCL C
    .language_version:
      - 2
      - 0
    .max_flat_workgroup_size: 256
    .name:           _ZL29rocblas_internal_gemmt_kernelIiLi16ELi32ELi8ELc84ELc84ELc85ELb0ELb0EfPKfS1_PfEviT_T9_T10_S3_lS5_S3_lS4_T11_S3_li
    .private_segment_fixed_size: 0
    .sgpr_count:     33
    .sgpr_spill_count: 0
    .symbol:         _ZL29rocblas_internal_gemmt_kernelIiLi16ELi32ELi8ELc84ELc84ELc85ELb0ELb0EfPKfS1_PfEviT_T9_T10_S3_lS5_S3_lS4_T11_S3_li.kd
    .uniform_work_group_size: 1
    .uses_dynamic_stack: false
    .vgpr_count:     52
    .vgpr_spill_count: 0
    .wavefront_size: 32
  - .args:
      - .offset:         0
        .size:           4
        .value_kind:     by_value
      - .offset:         4
        .size:           4
        .value_kind:     by_value
      - .address_space:  global
        .offset:         8
        .size:           8
        .value_kind:     global_buffer
      - .address_space:  global
        .offset:         16
        .size:           8
        .value_kind:     global_buffer
      - .offset:         24
        .size:           4
        .value_kind:     by_value
      - .offset:         32
        .size:           8
        .value_kind:     by_value
      - .address_space:  global
        .offset:         40
        .size:           8
        .value_kind:     global_buffer
      - .offset:         48
        .size:           4
        .value_kind:     by_value
      - .offset:         56
        .size:           8
        .value_kind:     by_value
      - .address_space:  global
        .offset:         64
        .size:           8
        .value_kind:     global_buffer
      - .address_space:  global
        .offset:         72
        .size:           8
        .value_kind:     global_buffer
      - .offset:         80
        .size:           4
        .value_kind:     by_value
      - .offset:         88
        .size:           8
        .value_kind:     by_value
      - .offset:         96
        .size:           4
        .value_kind:     by_value
    .group_segment_fixed_size: 2048
    .kernarg_segment_align: 8
    .kernarg_segment_size: 100
    .language:       OpenCL C
    .language_version:
      - 2
      - 0
    .max_flat_workgroup_size: 256
    .name:           _ZL29rocblas_internal_gemmt_kernelIiLi16ELi32ELi8ELc84ELc67ELc85ELb0ELb0EfPKfS1_PfEviT_T9_T10_S3_lS5_S3_lS4_T11_S3_li
    .private_segment_fixed_size: 0
    .sgpr_count:     33
    .sgpr_spill_count: 0
    .symbol:         _ZL29rocblas_internal_gemmt_kernelIiLi16ELi32ELi8ELc84ELc67ELc85ELb0ELb0EfPKfS1_PfEviT_T9_T10_S3_lS5_S3_lS4_T11_S3_li.kd
    .uniform_work_group_size: 1
    .uses_dynamic_stack: false
    .vgpr_count:     52
    .vgpr_spill_count: 0
    .wavefront_size: 32
  - .args:
      - .offset:         0
        .size:           4
        .value_kind:     by_value
      - .offset:         4
        .size:           4
        .value_kind:     by_value
      - .address_space:  global
        .offset:         8
        .size:           8
        .value_kind:     global_buffer
      - .address_space:  global
        .offset:         16
        .size:           8
        .value_kind:     global_buffer
      - .offset:         24
        .size:           4
        .value_kind:     by_value
      - .offset:         32
        .size:           8
        .value_kind:     by_value
      - .address_space:  global
        .offset:         40
        .size:           8
        .value_kind:     global_buffer
      - .offset:         48
        .size:           4
        .value_kind:     by_value
      - .offset:         56
        .size:           8
        .value_kind:     by_value
      - .address_space:  global
        .offset:         64
        .size:           8
        .value_kind:     global_buffer
      - .address_space:  global
        .offset:         72
        .size:           8
        .value_kind:     global_buffer
      - .offset:         80
        .size:           4
        .value_kind:     by_value
      - .offset:         88
        .size:           8
        .value_kind:     by_value
      - .offset:         96
        .size:           4
        .value_kind:     by_value
    .group_segment_fixed_size: 2048
    .kernarg_segment_align: 8
    .kernarg_segment_size: 100
    .language:       OpenCL C
    .language_version:
      - 2
      - 0
    .max_flat_workgroup_size: 256
    .name:           _ZL29rocblas_internal_gemmt_kernelIiLi16ELi32ELi8ELc67ELc78ELc85ELb0ELb0EfPKfS1_PfEviT_T9_T10_S3_lS5_S3_lS4_T11_S3_li
    .private_segment_fixed_size: 0
    .sgpr_count:     33
    .sgpr_spill_count: 0
    .symbol:         _ZL29rocblas_internal_gemmt_kernelIiLi16ELi32ELi8ELc67ELc78ELc85ELb0ELb0EfPKfS1_PfEviT_T9_T10_S3_lS5_S3_lS4_T11_S3_li.kd
    .uniform_work_group_size: 1
    .uses_dynamic_stack: false
    .vgpr_count:     52
    .vgpr_spill_count: 0
    .wavefront_size: 32
  - .args:
      - .offset:         0
        .size:           4
        .value_kind:     by_value
      - .offset:         4
        .size:           4
        .value_kind:     by_value
      - .address_space:  global
        .offset:         8
        .size:           8
        .value_kind:     global_buffer
      - .address_space:  global
        .offset:         16
        .size:           8
        .value_kind:     global_buffer
      - .offset:         24
        .size:           4
        .value_kind:     by_value
      - .offset:         32
        .size:           8
        .value_kind:     by_value
      - .address_space:  global
        .offset:         40
        .size:           8
        .value_kind:     global_buffer
      - .offset:         48
        .size:           4
        .value_kind:     by_value
      - .offset:         56
        .size:           8
        .value_kind:     by_value
      - .address_space:  global
        .offset:         64
        .size:           8
        .value_kind:     global_buffer
      - .address_space:  global
        .offset:         72
        .size:           8
        .value_kind:     global_buffer
      - .offset:         80
        .size:           4
        .value_kind:     by_value
      - .offset:         88
        .size:           8
        .value_kind:     by_value
      - .offset:         96
        .size:           4
        .value_kind:     by_value
    .group_segment_fixed_size: 2048
    .kernarg_segment_align: 8
    .kernarg_segment_size: 100
    .language:       OpenCL C
    .language_version:
      - 2
      - 0
    .max_flat_workgroup_size: 256
    .name:           _ZL29rocblas_internal_gemmt_kernelIiLi16ELi32ELi8ELc67ELc84ELc85ELb0ELb0EfPKfS1_PfEviT_T9_T10_S3_lS5_S3_lS4_T11_S3_li
    .private_segment_fixed_size: 0
    .sgpr_count:     33
    .sgpr_spill_count: 0
    .symbol:         _ZL29rocblas_internal_gemmt_kernelIiLi16ELi32ELi8ELc67ELc84ELc85ELb0ELb0EfPKfS1_PfEviT_T9_T10_S3_lS5_S3_lS4_T11_S3_li.kd
    .uniform_work_group_size: 1
    .uses_dynamic_stack: false
    .vgpr_count:     52
    .vgpr_spill_count: 0
    .wavefront_size: 32
  - .args:
      - .offset:         0
        .size:           4
        .value_kind:     by_value
      - .offset:         4
        .size:           4
        .value_kind:     by_value
      - .address_space:  global
        .offset:         8
        .size:           8
        .value_kind:     global_buffer
      - .address_space:  global
        .offset:         16
        .size:           8
        .value_kind:     global_buffer
      - .offset:         24
        .size:           4
        .value_kind:     by_value
      - .offset:         32
        .size:           8
        .value_kind:     by_value
      - .address_space:  global
        .offset:         40
        .size:           8
        .value_kind:     global_buffer
      - .offset:         48
        .size:           4
        .value_kind:     by_value
      - .offset:         56
        .size:           8
        .value_kind:     by_value
      - .address_space:  global
        .offset:         64
        .size:           8
        .value_kind:     global_buffer
      - .address_space:  global
        .offset:         72
        .size:           8
        .value_kind:     global_buffer
      - .offset:         80
        .size:           4
        .value_kind:     by_value
      - .offset:         88
        .size:           8
        .value_kind:     by_value
      - .offset:         96
        .size:           4
        .value_kind:     by_value
    .group_segment_fixed_size: 2048
    .kernarg_segment_align: 8
    .kernarg_segment_size: 100
    .language:       OpenCL C
    .language_version:
      - 2
      - 0
    .max_flat_workgroup_size: 256
    .name:           _ZL29rocblas_internal_gemmt_kernelIiLi16ELi32ELi8ELc67ELc67ELc85ELb0ELb0EfPKfS1_PfEviT_T9_T10_S3_lS5_S3_lS4_T11_S3_li
    .private_segment_fixed_size: 0
    .sgpr_count:     33
    .sgpr_spill_count: 0
    .symbol:         _ZL29rocblas_internal_gemmt_kernelIiLi16ELi32ELi8ELc67ELc67ELc85ELb0ELb0EfPKfS1_PfEviT_T9_T10_S3_lS5_S3_lS4_T11_S3_li.kd
    .uniform_work_group_size: 1
    .uses_dynamic_stack: false
    .vgpr_count:     52
    .vgpr_spill_count: 0
    .wavefront_size: 32
  - .args:
      - .offset:         0
        .size:           4
        .value_kind:     by_value
      - .offset:         4
        .size:           4
        .value_kind:     by_value
      - .address_space:  global
        .offset:         8
        .size:           8
        .value_kind:     global_buffer
      - .address_space:  global
        .offset:         16
        .size:           8
        .value_kind:     global_buffer
      - .offset:         24
        .size:           4
        .value_kind:     by_value
      - .offset:         32
        .size:           8
        .value_kind:     by_value
      - .address_space:  global
        .offset:         40
        .size:           8
        .value_kind:     global_buffer
      - .offset:         48
        .size:           4
        .value_kind:     by_value
      - .offset:         56
        .size:           8
        .value_kind:     by_value
      - .address_space:  global
        .offset:         64
        .size:           8
        .value_kind:     global_buffer
      - .address_space:  global
        .offset:         72
        .size:           8
        .value_kind:     global_buffer
      - .offset:         80
        .size:           4
        .value_kind:     by_value
      - .offset:         88
        .size:           8
        .value_kind:     by_value
      - .offset:         96
        .size:           4
        .value_kind:     by_value
    .group_segment_fixed_size: 2048
    .kernarg_segment_align: 8
    .kernarg_segment_size: 100
    .language:       OpenCL C
    .language_version:
      - 2
      - 0
    .max_flat_workgroup_size: 256
    .name:           _ZL29rocblas_internal_gemmt_kernelIiLi16ELi32ELi8ELc78ELc78ELc76ELb0ELb0EfPKfS1_PfEviT_T9_T10_S3_lS5_S3_lS4_T11_S3_li
    .private_segment_fixed_size: 0
    .sgpr_count:     36
    .sgpr_spill_count: 0
    .symbol:         _ZL29rocblas_internal_gemmt_kernelIiLi16ELi32ELi8ELc78ELc78ELc76ELb0ELb0EfPKfS1_PfEviT_T9_T10_S3_lS5_S3_lS4_T11_S3_li.kd
    .uniform_work_group_size: 1
    .uses_dynamic_stack: false
    .vgpr_count:     54
    .vgpr_spill_count: 0
    .wavefront_size: 32
  - .args:
      - .offset:         0
        .size:           4
        .value_kind:     by_value
      - .offset:         4
        .size:           4
        .value_kind:     by_value
      - .address_space:  global
        .offset:         8
        .size:           8
        .value_kind:     global_buffer
      - .address_space:  global
        .offset:         16
        .size:           8
        .value_kind:     global_buffer
      - .offset:         24
        .size:           4
        .value_kind:     by_value
      - .offset:         32
        .size:           8
        .value_kind:     by_value
      - .address_space:  global
        .offset:         40
        .size:           8
        .value_kind:     global_buffer
      - .offset:         48
        .size:           4
        .value_kind:     by_value
      - .offset:         56
        .size:           8
        .value_kind:     by_value
      - .address_space:  global
        .offset:         64
        .size:           8
        .value_kind:     global_buffer
      - .address_space:  global
        .offset:         72
        .size:           8
        .value_kind:     global_buffer
      - .offset:         80
        .size:           4
        .value_kind:     by_value
      - .offset:         88
        .size:           8
        .value_kind:     by_value
      - .offset:         96
        .size:           4
        .value_kind:     by_value
    .group_segment_fixed_size: 2048
    .kernarg_segment_align: 8
    .kernarg_segment_size: 100
    .language:       OpenCL C
    .language_version:
      - 2
      - 0
    .max_flat_workgroup_size: 256
    .name:           _ZL29rocblas_internal_gemmt_kernelIiLi16ELi32ELi8ELc78ELc84ELc76ELb0ELb0EfPKfS1_PfEviT_T9_T10_S3_lS5_S3_lS4_T11_S3_li
    .private_segment_fixed_size: 0
    .sgpr_count:     38
    .sgpr_spill_count: 0
    .symbol:         _ZL29rocblas_internal_gemmt_kernelIiLi16ELi32ELi8ELc78ELc84ELc76ELb0ELb0EfPKfS1_PfEviT_T9_T10_S3_lS5_S3_lS4_T11_S3_li.kd
    .uniform_work_group_size: 1
    .uses_dynamic_stack: false
    .vgpr_count:     52
    .vgpr_spill_count: 0
    .wavefront_size: 32
  - .args:
      - .offset:         0
        .size:           4
        .value_kind:     by_value
      - .offset:         4
        .size:           4
        .value_kind:     by_value
      - .address_space:  global
        .offset:         8
        .size:           8
        .value_kind:     global_buffer
      - .address_space:  global
        .offset:         16
        .size:           8
        .value_kind:     global_buffer
      - .offset:         24
        .size:           4
        .value_kind:     by_value
      - .offset:         32
        .size:           8
        .value_kind:     by_value
      - .address_space:  global
        .offset:         40
        .size:           8
        .value_kind:     global_buffer
      - .offset:         48
        .size:           4
        .value_kind:     by_value
      - .offset:         56
        .size:           8
        .value_kind:     by_value
      - .address_space:  global
        .offset:         64
        .size:           8
        .value_kind:     global_buffer
      - .address_space:  global
        .offset:         72
        .size:           8
        .value_kind:     global_buffer
      - .offset:         80
        .size:           4
        .value_kind:     by_value
      - .offset:         88
        .size:           8
        .value_kind:     by_value
      - .offset:         96
        .size:           4
        .value_kind:     by_value
    .group_segment_fixed_size: 2048
    .kernarg_segment_align: 8
    .kernarg_segment_size: 100
    .language:       OpenCL C
    .language_version:
      - 2
      - 0
    .max_flat_workgroup_size: 256
    .name:           _ZL29rocblas_internal_gemmt_kernelIiLi16ELi32ELi8ELc78ELc67ELc76ELb0ELb0EfPKfS1_PfEviT_T9_T10_S3_lS5_S3_lS4_T11_S3_li
    .private_segment_fixed_size: 0
    .sgpr_count:     38
    .sgpr_spill_count: 0
    .symbol:         _ZL29rocblas_internal_gemmt_kernelIiLi16ELi32ELi8ELc78ELc67ELc76ELb0ELb0EfPKfS1_PfEviT_T9_T10_S3_lS5_S3_lS4_T11_S3_li.kd
    .uniform_work_group_size: 1
    .uses_dynamic_stack: false
    .vgpr_count:     52
    .vgpr_spill_count: 0
    .wavefront_size: 32
  - .args:
      - .offset:         0
        .size:           4
        .value_kind:     by_value
      - .offset:         4
        .size:           4
        .value_kind:     by_value
      - .address_space:  global
        .offset:         8
        .size:           8
        .value_kind:     global_buffer
      - .address_space:  global
        .offset:         16
        .size:           8
        .value_kind:     global_buffer
      - .offset:         24
        .size:           4
        .value_kind:     by_value
      - .offset:         32
        .size:           8
        .value_kind:     by_value
      - .address_space:  global
        .offset:         40
        .size:           8
        .value_kind:     global_buffer
      - .offset:         48
        .size:           4
        .value_kind:     by_value
      - .offset:         56
        .size:           8
        .value_kind:     by_value
      - .address_space:  global
        .offset:         64
        .size:           8
        .value_kind:     global_buffer
      - .address_space:  global
        .offset:         72
        .size:           8
        .value_kind:     global_buffer
      - .offset:         80
        .size:           4
        .value_kind:     by_value
      - .offset:         88
        .size:           8
        .value_kind:     by_value
      - .offset:         96
        .size:           4
        .value_kind:     by_value
    .group_segment_fixed_size: 2048
    .kernarg_segment_align: 8
    .kernarg_segment_size: 100
    .language:       OpenCL C
    .language_version:
      - 2
      - 0
    .max_flat_workgroup_size: 256
    .name:           _ZL29rocblas_internal_gemmt_kernelIiLi16ELi32ELi8ELc84ELc78ELc76ELb0ELb0EfPKfS1_PfEviT_T9_T10_S3_lS5_S3_lS4_T11_S3_li
    .private_segment_fixed_size: 0
    .sgpr_count:     33
    .sgpr_spill_count: 0
    .symbol:         _ZL29rocblas_internal_gemmt_kernelIiLi16ELi32ELi8ELc84ELc78ELc76ELb0ELb0EfPKfS1_PfEviT_T9_T10_S3_lS5_S3_lS4_T11_S3_li.kd
    .uniform_work_group_size: 1
    .uses_dynamic_stack: false
    .vgpr_count:     52
    .vgpr_spill_count: 0
    .wavefront_size: 32
  - .args:
      - .offset:         0
        .size:           4
        .value_kind:     by_value
      - .offset:         4
        .size:           4
        .value_kind:     by_value
      - .address_space:  global
        .offset:         8
        .size:           8
        .value_kind:     global_buffer
      - .address_space:  global
        .offset:         16
        .size:           8
        .value_kind:     global_buffer
      - .offset:         24
        .size:           4
        .value_kind:     by_value
      - .offset:         32
        .size:           8
        .value_kind:     by_value
      - .address_space:  global
        .offset:         40
        .size:           8
        .value_kind:     global_buffer
      - .offset:         48
        .size:           4
        .value_kind:     by_value
      - .offset:         56
        .size:           8
        .value_kind:     by_value
      - .address_space:  global
        .offset:         64
        .size:           8
        .value_kind:     global_buffer
      - .address_space:  global
        .offset:         72
        .size:           8
        .value_kind:     global_buffer
      - .offset:         80
        .size:           4
        .value_kind:     by_value
      - .offset:         88
        .size:           8
        .value_kind:     by_value
      - .offset:         96
        .size:           4
        .value_kind:     by_value
    .group_segment_fixed_size: 2048
    .kernarg_segment_align: 8
    .kernarg_segment_size: 100
    .language:       OpenCL C
    .language_version:
      - 2
      - 0
    .max_flat_workgroup_size: 256
    .name:           _ZL29rocblas_internal_gemmt_kernelIiLi16ELi32ELi8ELc84ELc84ELc76ELb0ELb0EfPKfS1_PfEviT_T9_T10_S3_lS5_S3_lS4_T11_S3_li
    .private_segment_fixed_size: 0
    .sgpr_count:     36
    .sgpr_spill_count: 0
    .symbol:         _ZL29rocblas_internal_gemmt_kernelIiLi16ELi32ELi8ELc84ELc84ELc76ELb0ELb0EfPKfS1_PfEviT_T9_T10_S3_lS5_S3_lS4_T11_S3_li.kd
    .uniform_work_group_size: 1
    .uses_dynamic_stack: false
    .vgpr_count:     52
    .vgpr_spill_count: 0
    .wavefront_size: 32
  - .args:
      - .offset:         0
        .size:           4
        .value_kind:     by_value
      - .offset:         4
        .size:           4
        .value_kind:     by_value
      - .address_space:  global
        .offset:         8
        .size:           8
        .value_kind:     global_buffer
      - .address_space:  global
        .offset:         16
        .size:           8
        .value_kind:     global_buffer
      - .offset:         24
        .size:           4
        .value_kind:     by_value
      - .offset:         32
        .size:           8
        .value_kind:     by_value
      - .address_space:  global
        .offset:         40
        .size:           8
        .value_kind:     global_buffer
      - .offset:         48
        .size:           4
        .value_kind:     by_value
      - .offset:         56
        .size:           8
        .value_kind:     by_value
      - .address_space:  global
        .offset:         64
        .size:           8
        .value_kind:     global_buffer
      - .address_space:  global
        .offset:         72
        .size:           8
        .value_kind:     global_buffer
      - .offset:         80
        .size:           4
        .value_kind:     by_value
      - .offset:         88
        .size:           8
        .value_kind:     by_value
      - .offset:         96
        .size:           4
        .value_kind:     by_value
    .group_segment_fixed_size: 2048
    .kernarg_segment_align: 8
    .kernarg_segment_size: 100
    .language:       OpenCL C
    .language_version:
      - 2
      - 0
    .max_flat_workgroup_size: 256
    .name:           _ZL29rocblas_internal_gemmt_kernelIiLi16ELi32ELi8ELc84ELc67ELc76ELb0ELb0EfPKfS1_PfEviT_T9_T10_S3_lS5_S3_lS4_T11_S3_li
    .private_segment_fixed_size: 0
    .sgpr_count:     36
    .sgpr_spill_count: 0
    .symbol:         _ZL29rocblas_internal_gemmt_kernelIiLi16ELi32ELi8ELc84ELc67ELc76ELb0ELb0EfPKfS1_PfEviT_T9_T10_S3_lS5_S3_lS4_T11_S3_li.kd
    .uniform_work_group_size: 1
    .uses_dynamic_stack: false
    .vgpr_count:     52
    .vgpr_spill_count: 0
    .wavefront_size: 32
  - .args:
      - .offset:         0
        .size:           4
        .value_kind:     by_value
      - .offset:         4
        .size:           4
        .value_kind:     by_value
      - .address_space:  global
        .offset:         8
        .size:           8
        .value_kind:     global_buffer
      - .address_space:  global
        .offset:         16
        .size:           8
        .value_kind:     global_buffer
      - .offset:         24
        .size:           4
        .value_kind:     by_value
      - .offset:         32
        .size:           8
        .value_kind:     by_value
      - .address_space:  global
        .offset:         40
        .size:           8
        .value_kind:     global_buffer
      - .offset:         48
        .size:           4
        .value_kind:     by_value
      - .offset:         56
        .size:           8
        .value_kind:     by_value
      - .address_space:  global
        .offset:         64
        .size:           8
        .value_kind:     global_buffer
      - .address_space:  global
        .offset:         72
        .size:           8
        .value_kind:     global_buffer
      - .offset:         80
        .size:           4
        .value_kind:     by_value
      - .offset:         88
        .size:           8
        .value_kind:     by_value
      - .offset:         96
        .size:           4
        .value_kind:     by_value
    .group_segment_fixed_size: 2048
    .kernarg_segment_align: 8
    .kernarg_segment_size: 100
    .language:       OpenCL C
    .language_version:
      - 2
      - 0
    .max_flat_workgroup_size: 256
    .name:           _ZL29rocblas_internal_gemmt_kernelIiLi16ELi32ELi8ELc67ELc78ELc76ELb0ELb0EfPKfS1_PfEviT_T9_T10_S3_lS5_S3_lS4_T11_S3_li
    .private_segment_fixed_size: 0
    .sgpr_count:     33
    .sgpr_spill_count: 0
    .symbol:         _ZL29rocblas_internal_gemmt_kernelIiLi16ELi32ELi8ELc67ELc78ELc76ELb0ELb0EfPKfS1_PfEviT_T9_T10_S3_lS5_S3_lS4_T11_S3_li.kd
    .uniform_work_group_size: 1
    .uses_dynamic_stack: false
    .vgpr_count:     52
    .vgpr_spill_count: 0
    .wavefront_size: 32
  - .args:
      - .offset:         0
        .size:           4
        .value_kind:     by_value
      - .offset:         4
        .size:           4
        .value_kind:     by_value
      - .address_space:  global
        .offset:         8
        .size:           8
        .value_kind:     global_buffer
      - .address_space:  global
        .offset:         16
        .size:           8
        .value_kind:     global_buffer
      - .offset:         24
        .size:           4
        .value_kind:     by_value
      - .offset:         32
        .size:           8
        .value_kind:     by_value
      - .address_space:  global
        .offset:         40
        .size:           8
        .value_kind:     global_buffer
      - .offset:         48
        .size:           4
        .value_kind:     by_value
      - .offset:         56
        .size:           8
        .value_kind:     by_value
      - .address_space:  global
        .offset:         64
        .size:           8
        .value_kind:     global_buffer
      - .address_space:  global
        .offset:         72
        .size:           8
        .value_kind:     global_buffer
      - .offset:         80
        .size:           4
        .value_kind:     by_value
      - .offset:         88
        .size:           8
        .value_kind:     by_value
      - .offset:         96
        .size:           4
        .value_kind:     by_value
    .group_segment_fixed_size: 2048
    .kernarg_segment_align: 8
    .kernarg_segment_size: 100
    .language:       OpenCL C
    .language_version:
      - 2
      - 0
    .max_flat_workgroup_size: 256
    .name:           _ZL29rocblas_internal_gemmt_kernelIiLi16ELi32ELi8ELc67ELc84ELc76ELb0ELb0EfPKfS1_PfEviT_T9_T10_S3_lS5_S3_lS4_T11_S3_li
    .private_segment_fixed_size: 0
    .sgpr_count:     36
    .sgpr_spill_count: 0
    .symbol:         _ZL29rocblas_internal_gemmt_kernelIiLi16ELi32ELi8ELc67ELc84ELc76ELb0ELb0EfPKfS1_PfEviT_T9_T10_S3_lS5_S3_lS4_T11_S3_li.kd
    .uniform_work_group_size: 1
    .uses_dynamic_stack: false
    .vgpr_count:     52
    .vgpr_spill_count: 0
    .wavefront_size: 32
  - .args:
      - .offset:         0
        .size:           4
        .value_kind:     by_value
      - .offset:         4
        .size:           4
        .value_kind:     by_value
      - .address_space:  global
        .offset:         8
        .size:           8
        .value_kind:     global_buffer
      - .address_space:  global
        .offset:         16
        .size:           8
        .value_kind:     global_buffer
      - .offset:         24
        .size:           4
        .value_kind:     by_value
      - .offset:         32
        .size:           8
        .value_kind:     by_value
      - .address_space:  global
        .offset:         40
        .size:           8
        .value_kind:     global_buffer
      - .offset:         48
        .size:           4
        .value_kind:     by_value
      - .offset:         56
        .size:           8
        .value_kind:     by_value
      - .address_space:  global
        .offset:         64
        .size:           8
        .value_kind:     global_buffer
      - .address_space:  global
        .offset:         72
        .size:           8
        .value_kind:     global_buffer
      - .offset:         80
        .size:           4
        .value_kind:     by_value
      - .offset:         88
        .size:           8
        .value_kind:     by_value
      - .offset:         96
        .size:           4
        .value_kind:     by_value
    .group_segment_fixed_size: 2048
    .kernarg_segment_align: 8
    .kernarg_segment_size: 100
    .language:       OpenCL C
    .language_version:
      - 2
      - 0
    .max_flat_workgroup_size: 256
    .name:           _ZL29rocblas_internal_gemmt_kernelIiLi16ELi32ELi8ELc67ELc67ELc76ELb0ELb0EfPKfS1_PfEviT_T9_T10_S3_lS5_S3_lS4_T11_S3_li
    .private_segment_fixed_size: 0
    .sgpr_count:     36
    .sgpr_spill_count: 0
    .symbol:         _ZL29rocblas_internal_gemmt_kernelIiLi16ELi32ELi8ELc67ELc67ELc76ELb0ELb0EfPKfS1_PfEviT_T9_T10_S3_lS5_S3_lS4_T11_S3_li.kd
    .uniform_work_group_size: 1
    .uses_dynamic_stack: false
    .vgpr_count:     52
    .vgpr_spill_count: 0
    .wavefront_size: 32
  - .args:
      - .offset:         0
        .size:           4
        .value_kind:     by_value
      - .offset:         4
        .size:           4
        .value_kind:     by_value
      - .offset:         8
        .size:           4
        .value_kind:     by_value
      - .address_space:  global
        .offset:         16
        .size:           8
        .value_kind:     global_buffer
      - .offset:         24
        .size:           4
        .value_kind:     by_value
      - .offset:         32
        .size:           8
        .value_kind:     by_value
      - .address_space:  global
        .offset:         40
        .size:           8
        .value_kind:     global_buffer
      - .offset:         48
        .size:           4
        .value_kind:     by_value
      - .offset:         56
        .size:           8
        .value_kind:     by_value
      - .offset:         64
        .size:           4
        .value_kind:     by_value
      - .address_space:  global
        .offset:         72
        .size:           8
        .value_kind:     global_buffer
      - .offset:         80
        .size:           4
        .value_kind:     by_value
      - .offset:         88
        .size:           8
        .value_kind:     by_value
      - .offset:         96
        .size:           4
        .value_kind:     by_value
    .group_segment_fixed_size: 2048
    .kernarg_segment_align: 8
    .kernarg_segment_size: 100
    .language:       OpenCL C
    .language_version:
      - 2
      - 0
    .max_flat_workgroup_size: 256
    .name:           _ZL29rocblas_internal_gemmt_kernelIiLi16ELi32ELi8ELc78ELc78ELc85ELb0ELb0EffPKfPfEviT_T9_T10_S3_lS5_S3_lS4_T11_S3_li
    .private_segment_fixed_size: 0
    .sgpr_count:     34
    .sgpr_spill_count: 0
    .symbol:         _ZL29rocblas_internal_gemmt_kernelIiLi16ELi32ELi8ELc78ELc78ELc85ELb0ELb0EffPKfPfEviT_T9_T10_S3_lS5_S3_lS4_T11_S3_li.kd
    .uniform_work_group_size: 1
    .uses_dynamic_stack: false
    .vgpr_count:     54
    .vgpr_spill_count: 0
    .wavefront_size: 32
  - .args:
      - .offset:         0
        .size:           4
        .value_kind:     by_value
      - .offset:         4
        .size:           4
        .value_kind:     by_value
      - .offset:         8
        .size:           4
        .value_kind:     by_value
      - .address_space:  global
        .offset:         16
        .size:           8
        .value_kind:     global_buffer
      - .offset:         24
        .size:           4
        .value_kind:     by_value
      - .offset:         32
        .size:           8
        .value_kind:     by_value
      - .address_space:  global
        .offset:         40
        .size:           8
        .value_kind:     global_buffer
      - .offset:         48
        .size:           4
        .value_kind:     by_value
      - .offset:         56
        .size:           8
        .value_kind:     by_value
      - .offset:         64
        .size:           4
        .value_kind:     by_value
      - .address_space:  global
        .offset:         72
        .size:           8
        .value_kind:     global_buffer
      - .offset:         80
        .size:           4
        .value_kind:     by_value
      - .offset:         88
        .size:           8
        .value_kind:     by_value
      - .offset:         96
        .size:           4
        .value_kind:     by_value
    .group_segment_fixed_size: 2048
    .kernarg_segment_align: 8
    .kernarg_segment_size: 100
    .language:       OpenCL C
    .language_version:
      - 2
      - 0
    .max_flat_workgroup_size: 256
    .name:           _ZL29rocblas_internal_gemmt_kernelIiLi16ELi32ELi8ELc78ELc84ELc85ELb0ELb0EffPKfPfEviT_T9_T10_S3_lS5_S3_lS4_T11_S3_li
    .private_segment_fixed_size: 0
    .sgpr_count:     38
    .sgpr_spill_count: 0
    .symbol:         _ZL29rocblas_internal_gemmt_kernelIiLi16ELi32ELi8ELc78ELc84ELc85ELb0ELb0EffPKfPfEviT_T9_T10_S3_lS5_S3_lS4_T11_S3_li.kd
    .uniform_work_group_size: 1
    .uses_dynamic_stack: false
    .vgpr_count:     52
    .vgpr_spill_count: 0
    .wavefront_size: 32
  - .args:
      - .offset:         0
        .size:           4
        .value_kind:     by_value
      - .offset:         4
        .size:           4
        .value_kind:     by_value
      - .offset:         8
        .size:           4
        .value_kind:     by_value
      - .address_space:  global
        .offset:         16
        .size:           8
        .value_kind:     global_buffer
      - .offset:         24
        .size:           4
        .value_kind:     by_value
      - .offset:         32
        .size:           8
        .value_kind:     by_value
      - .address_space:  global
        .offset:         40
        .size:           8
        .value_kind:     global_buffer
      - .offset:         48
        .size:           4
        .value_kind:     by_value
      - .offset:         56
        .size:           8
        .value_kind:     by_value
      - .offset:         64
        .size:           4
        .value_kind:     by_value
      - .address_space:  global
        .offset:         72
        .size:           8
        .value_kind:     global_buffer
      - .offset:         80
        .size:           4
        .value_kind:     by_value
      - .offset:         88
        .size:           8
        .value_kind:     by_value
      - .offset:         96
        .size:           4
        .value_kind:     by_value
    .group_segment_fixed_size: 2048
    .kernarg_segment_align: 8
    .kernarg_segment_size: 100
    .language:       OpenCL C
    .language_version:
      - 2
      - 0
    .max_flat_workgroup_size: 256
    .name:           _ZL29rocblas_internal_gemmt_kernelIiLi16ELi32ELi8ELc78ELc67ELc85ELb0ELb0EffPKfPfEviT_T9_T10_S3_lS5_S3_lS4_T11_S3_li
    .private_segment_fixed_size: 0
    .sgpr_count:     38
    .sgpr_spill_count: 0
    .symbol:         _ZL29rocblas_internal_gemmt_kernelIiLi16ELi32ELi8ELc78ELc67ELc85ELb0ELb0EffPKfPfEviT_T9_T10_S3_lS5_S3_lS4_T11_S3_li.kd
    .uniform_work_group_size: 1
    .uses_dynamic_stack: false
    .vgpr_count:     52
    .vgpr_spill_count: 0
    .wavefront_size: 32
  - .args:
      - .offset:         0
        .size:           4
        .value_kind:     by_value
      - .offset:         4
        .size:           4
        .value_kind:     by_value
      - .offset:         8
        .size:           4
        .value_kind:     by_value
      - .address_space:  global
        .offset:         16
        .size:           8
        .value_kind:     global_buffer
      - .offset:         24
        .size:           4
        .value_kind:     by_value
      - .offset:         32
        .size:           8
        .value_kind:     by_value
      - .address_space:  global
        .offset:         40
        .size:           8
        .value_kind:     global_buffer
      - .offset:         48
        .size:           4
        .value_kind:     by_value
      - .offset:         56
        .size:           8
        .value_kind:     by_value
      - .offset:         64
        .size:           4
        .value_kind:     by_value
      - .address_space:  global
        .offset:         72
        .size:           8
        .value_kind:     global_buffer
      - .offset:         80
        .size:           4
        .value_kind:     by_value
      - .offset:         88
        .size:           8
        .value_kind:     by_value
      - .offset:         96
        .size:           4
        .value_kind:     by_value
    .group_segment_fixed_size: 2048
    .kernarg_segment_align: 8
    .kernarg_segment_size: 100
    .language:       OpenCL C
    .language_version:
      - 2
      - 0
    .max_flat_workgroup_size: 256
    .name:           _ZL29rocblas_internal_gemmt_kernelIiLi16ELi32ELi8ELc84ELc78ELc85ELb0ELb0EffPKfPfEviT_T9_T10_S3_lS5_S3_lS4_T11_S3_li
    .private_segment_fixed_size: 0
    .sgpr_count:     33
    .sgpr_spill_count: 0
    .symbol:         _ZL29rocblas_internal_gemmt_kernelIiLi16ELi32ELi8ELc84ELc78ELc85ELb0ELb0EffPKfPfEviT_T9_T10_S3_lS5_S3_lS4_T11_S3_li.kd
    .uniform_work_group_size: 1
    .uses_dynamic_stack: false
    .vgpr_count:     52
    .vgpr_spill_count: 0
    .wavefront_size: 32
  - .args:
      - .offset:         0
        .size:           4
        .value_kind:     by_value
      - .offset:         4
        .size:           4
        .value_kind:     by_value
      - .offset:         8
        .size:           4
        .value_kind:     by_value
      - .address_space:  global
        .offset:         16
        .size:           8
        .value_kind:     global_buffer
      - .offset:         24
        .size:           4
        .value_kind:     by_value
      - .offset:         32
        .size:           8
        .value_kind:     by_value
      - .address_space:  global
        .offset:         40
        .size:           8
        .value_kind:     global_buffer
      - .offset:         48
        .size:           4
        .value_kind:     by_value
      - .offset:         56
        .size:           8
        .value_kind:     by_value
      - .offset:         64
        .size:           4
        .value_kind:     by_value
      - .address_space:  global
        .offset:         72
        .size:           8
        .value_kind:     global_buffer
      - .offset:         80
        .size:           4
        .value_kind:     by_value
      - .offset:         88
        .size:           8
        .value_kind:     by_value
      - .offset:         96
        .size:           4
        .value_kind:     by_value
    .group_segment_fixed_size: 2048
    .kernarg_segment_align: 8
    .kernarg_segment_size: 100
    .language:       OpenCL C
    .language_version:
      - 2
      - 0
    .max_flat_workgroup_size: 256
    .name:           _ZL29rocblas_internal_gemmt_kernelIiLi16ELi32ELi8ELc84ELc84ELc85ELb0ELb0EffPKfPfEviT_T9_T10_S3_lS5_S3_lS4_T11_S3_li
    .private_segment_fixed_size: 0
    .sgpr_count:     33
    .sgpr_spill_count: 0
    .symbol:         _ZL29rocblas_internal_gemmt_kernelIiLi16ELi32ELi8ELc84ELc84ELc85ELb0ELb0EffPKfPfEviT_T9_T10_S3_lS5_S3_lS4_T11_S3_li.kd
    .uniform_work_group_size: 1
    .uses_dynamic_stack: false
    .vgpr_count:     52
    .vgpr_spill_count: 0
    .wavefront_size: 32
  - .args:
      - .offset:         0
        .size:           4
        .value_kind:     by_value
      - .offset:         4
        .size:           4
        .value_kind:     by_value
      - .offset:         8
        .size:           4
        .value_kind:     by_value
      - .address_space:  global
        .offset:         16
        .size:           8
        .value_kind:     global_buffer
      - .offset:         24
        .size:           4
        .value_kind:     by_value
      - .offset:         32
        .size:           8
        .value_kind:     by_value
      - .address_space:  global
        .offset:         40
        .size:           8
        .value_kind:     global_buffer
      - .offset:         48
        .size:           4
        .value_kind:     by_value
      - .offset:         56
        .size:           8
        .value_kind:     by_value
      - .offset:         64
        .size:           4
        .value_kind:     by_value
      - .address_space:  global
        .offset:         72
        .size:           8
        .value_kind:     global_buffer
      - .offset:         80
        .size:           4
        .value_kind:     by_value
      - .offset:         88
        .size:           8
        .value_kind:     by_value
      - .offset:         96
        .size:           4
        .value_kind:     by_value
    .group_segment_fixed_size: 2048
    .kernarg_segment_align: 8
    .kernarg_segment_size: 100
    .language:       OpenCL C
    .language_version:
      - 2
      - 0
    .max_flat_workgroup_size: 256
    .name:           _ZL29rocblas_internal_gemmt_kernelIiLi16ELi32ELi8ELc84ELc67ELc85ELb0ELb0EffPKfPfEviT_T9_T10_S3_lS5_S3_lS4_T11_S3_li
    .private_segment_fixed_size: 0
    .sgpr_count:     33
    .sgpr_spill_count: 0
    .symbol:         _ZL29rocblas_internal_gemmt_kernelIiLi16ELi32ELi8ELc84ELc67ELc85ELb0ELb0EffPKfPfEviT_T9_T10_S3_lS5_S3_lS4_T11_S3_li.kd
    .uniform_work_group_size: 1
    .uses_dynamic_stack: false
    .vgpr_count:     52
    .vgpr_spill_count: 0
    .wavefront_size: 32
  - .args:
      - .offset:         0
        .size:           4
        .value_kind:     by_value
      - .offset:         4
        .size:           4
        .value_kind:     by_value
      - .offset:         8
        .size:           4
        .value_kind:     by_value
      - .address_space:  global
        .offset:         16
        .size:           8
        .value_kind:     global_buffer
      - .offset:         24
        .size:           4
        .value_kind:     by_value
      - .offset:         32
        .size:           8
        .value_kind:     by_value
      - .address_space:  global
        .offset:         40
        .size:           8
        .value_kind:     global_buffer
      - .offset:         48
        .size:           4
        .value_kind:     by_value
      - .offset:         56
        .size:           8
        .value_kind:     by_value
      - .offset:         64
        .size:           4
        .value_kind:     by_value
      - .address_space:  global
        .offset:         72
        .size:           8
        .value_kind:     global_buffer
      - .offset:         80
        .size:           4
        .value_kind:     by_value
      - .offset:         88
        .size:           8
        .value_kind:     by_value
      - .offset:         96
        .size:           4
        .value_kind:     by_value
    .group_segment_fixed_size: 2048
    .kernarg_segment_align: 8
    .kernarg_segment_size: 100
    .language:       OpenCL C
    .language_version:
      - 2
      - 0
    .max_flat_workgroup_size: 256
    .name:           _ZL29rocblas_internal_gemmt_kernelIiLi16ELi32ELi8ELc67ELc78ELc85ELb0ELb0EffPKfPfEviT_T9_T10_S3_lS5_S3_lS4_T11_S3_li
    .private_segment_fixed_size: 0
    .sgpr_count:     33
    .sgpr_spill_count: 0
    .symbol:         _ZL29rocblas_internal_gemmt_kernelIiLi16ELi32ELi8ELc67ELc78ELc85ELb0ELb0EffPKfPfEviT_T9_T10_S3_lS5_S3_lS4_T11_S3_li.kd
    .uniform_work_group_size: 1
    .uses_dynamic_stack: false
    .vgpr_count:     52
    .vgpr_spill_count: 0
    .wavefront_size: 32
  - .args:
      - .offset:         0
        .size:           4
        .value_kind:     by_value
      - .offset:         4
        .size:           4
        .value_kind:     by_value
      - .offset:         8
        .size:           4
        .value_kind:     by_value
      - .address_space:  global
        .offset:         16
        .size:           8
        .value_kind:     global_buffer
      - .offset:         24
        .size:           4
        .value_kind:     by_value
      - .offset:         32
        .size:           8
        .value_kind:     by_value
      - .address_space:  global
        .offset:         40
        .size:           8
        .value_kind:     global_buffer
      - .offset:         48
        .size:           4
        .value_kind:     by_value
      - .offset:         56
        .size:           8
        .value_kind:     by_value
      - .offset:         64
        .size:           4
        .value_kind:     by_value
      - .address_space:  global
        .offset:         72
        .size:           8
        .value_kind:     global_buffer
      - .offset:         80
        .size:           4
        .value_kind:     by_value
      - .offset:         88
        .size:           8
        .value_kind:     by_value
      - .offset:         96
        .size:           4
        .value_kind:     by_value
    .group_segment_fixed_size: 2048
    .kernarg_segment_align: 8
    .kernarg_segment_size: 100
    .language:       OpenCL C
    .language_version:
      - 2
      - 0
    .max_flat_workgroup_size: 256
    .name:           _ZL29rocblas_internal_gemmt_kernelIiLi16ELi32ELi8ELc67ELc84ELc85ELb0ELb0EffPKfPfEviT_T9_T10_S3_lS5_S3_lS4_T11_S3_li
    .private_segment_fixed_size: 0
    .sgpr_count:     33
    .sgpr_spill_count: 0
    .symbol:         _ZL29rocblas_internal_gemmt_kernelIiLi16ELi32ELi8ELc67ELc84ELc85ELb0ELb0EffPKfPfEviT_T9_T10_S3_lS5_S3_lS4_T11_S3_li.kd
    .uniform_work_group_size: 1
    .uses_dynamic_stack: false
    .vgpr_count:     52
    .vgpr_spill_count: 0
    .wavefront_size: 32
  - .args:
      - .offset:         0
        .size:           4
        .value_kind:     by_value
      - .offset:         4
        .size:           4
        .value_kind:     by_value
      - .offset:         8
        .size:           4
        .value_kind:     by_value
      - .address_space:  global
        .offset:         16
        .size:           8
        .value_kind:     global_buffer
      - .offset:         24
        .size:           4
        .value_kind:     by_value
      - .offset:         32
        .size:           8
        .value_kind:     by_value
      - .address_space:  global
        .offset:         40
        .size:           8
        .value_kind:     global_buffer
      - .offset:         48
        .size:           4
        .value_kind:     by_value
      - .offset:         56
        .size:           8
        .value_kind:     by_value
      - .offset:         64
        .size:           4
        .value_kind:     by_value
      - .address_space:  global
        .offset:         72
        .size:           8
        .value_kind:     global_buffer
      - .offset:         80
        .size:           4
        .value_kind:     by_value
      - .offset:         88
        .size:           8
        .value_kind:     by_value
      - .offset:         96
        .size:           4
        .value_kind:     by_value
    .group_segment_fixed_size: 2048
    .kernarg_segment_align: 8
    .kernarg_segment_size: 100
    .language:       OpenCL C
    .language_version:
      - 2
      - 0
    .max_flat_workgroup_size: 256
    .name:           _ZL29rocblas_internal_gemmt_kernelIiLi16ELi32ELi8ELc67ELc67ELc85ELb0ELb0EffPKfPfEviT_T9_T10_S3_lS5_S3_lS4_T11_S3_li
    .private_segment_fixed_size: 0
    .sgpr_count:     33
    .sgpr_spill_count: 0
    .symbol:         _ZL29rocblas_internal_gemmt_kernelIiLi16ELi32ELi8ELc67ELc67ELc85ELb0ELb0EffPKfPfEviT_T9_T10_S3_lS5_S3_lS4_T11_S3_li.kd
    .uniform_work_group_size: 1
    .uses_dynamic_stack: false
    .vgpr_count:     52
    .vgpr_spill_count: 0
    .wavefront_size: 32
  - .args:
      - .offset:         0
        .size:           4
        .value_kind:     by_value
      - .offset:         4
        .size:           4
        .value_kind:     by_value
      - .offset:         8
        .size:           4
        .value_kind:     by_value
      - .address_space:  global
        .offset:         16
        .size:           8
        .value_kind:     global_buffer
      - .offset:         24
        .size:           4
        .value_kind:     by_value
      - .offset:         32
        .size:           8
        .value_kind:     by_value
      - .address_space:  global
        .offset:         40
        .size:           8
        .value_kind:     global_buffer
      - .offset:         48
        .size:           4
        .value_kind:     by_value
      - .offset:         56
        .size:           8
        .value_kind:     by_value
      - .offset:         64
        .size:           4
        .value_kind:     by_value
      - .address_space:  global
        .offset:         72
        .size:           8
        .value_kind:     global_buffer
      - .offset:         80
        .size:           4
        .value_kind:     by_value
      - .offset:         88
        .size:           8
        .value_kind:     by_value
      - .offset:         96
        .size:           4
        .value_kind:     by_value
    .group_segment_fixed_size: 2048
    .kernarg_segment_align: 8
    .kernarg_segment_size: 100
    .language:       OpenCL C
    .language_version:
      - 2
      - 0
    .max_flat_workgroup_size: 256
    .name:           _ZL29rocblas_internal_gemmt_kernelIiLi16ELi32ELi8ELc78ELc78ELc76ELb0ELb0EffPKfPfEviT_T9_T10_S3_lS5_S3_lS4_T11_S3_li
    .private_segment_fixed_size: 0
    .sgpr_count:     34
    .sgpr_spill_count: 0
    .symbol:         _ZL29rocblas_internal_gemmt_kernelIiLi16ELi32ELi8ELc78ELc78ELc76ELb0ELb0EffPKfPfEviT_T9_T10_S3_lS5_S3_lS4_T11_S3_li.kd
    .uniform_work_group_size: 1
    .uses_dynamic_stack: false
    .vgpr_count:     54
    .vgpr_spill_count: 0
    .wavefront_size: 32
  - .args:
      - .offset:         0
        .size:           4
        .value_kind:     by_value
      - .offset:         4
        .size:           4
        .value_kind:     by_value
      - .offset:         8
        .size:           4
        .value_kind:     by_value
      - .address_space:  global
        .offset:         16
        .size:           8
        .value_kind:     global_buffer
      - .offset:         24
        .size:           4
        .value_kind:     by_value
      - .offset:         32
        .size:           8
        .value_kind:     by_value
      - .address_space:  global
        .offset:         40
        .size:           8
        .value_kind:     global_buffer
      - .offset:         48
        .size:           4
        .value_kind:     by_value
      - .offset:         56
        .size:           8
        .value_kind:     by_value
      - .offset:         64
        .size:           4
        .value_kind:     by_value
      - .address_space:  global
        .offset:         72
        .size:           8
        .value_kind:     global_buffer
      - .offset:         80
        .size:           4
        .value_kind:     by_value
      - .offset:         88
        .size:           8
        .value_kind:     by_value
      - .offset:         96
        .size:           4
        .value_kind:     by_value
    .group_segment_fixed_size: 2048
    .kernarg_segment_align: 8
    .kernarg_segment_size: 100
    .language:       OpenCL C
    .language_version:
      - 2
      - 0
    .max_flat_workgroup_size: 256
    .name:           _ZL29rocblas_internal_gemmt_kernelIiLi16ELi32ELi8ELc78ELc84ELc76ELb0ELb0EffPKfPfEviT_T9_T10_S3_lS5_S3_lS4_T11_S3_li
    .private_segment_fixed_size: 0
    .sgpr_count:     38
    .sgpr_spill_count: 0
    .symbol:         _ZL29rocblas_internal_gemmt_kernelIiLi16ELi32ELi8ELc78ELc84ELc76ELb0ELb0EffPKfPfEviT_T9_T10_S3_lS5_S3_lS4_T11_S3_li.kd
    .uniform_work_group_size: 1
    .uses_dynamic_stack: false
    .vgpr_count:     52
    .vgpr_spill_count: 0
    .wavefront_size: 32
  - .args:
      - .offset:         0
        .size:           4
        .value_kind:     by_value
      - .offset:         4
        .size:           4
        .value_kind:     by_value
      - .offset:         8
        .size:           4
        .value_kind:     by_value
      - .address_space:  global
        .offset:         16
        .size:           8
        .value_kind:     global_buffer
      - .offset:         24
        .size:           4
        .value_kind:     by_value
      - .offset:         32
        .size:           8
        .value_kind:     by_value
      - .address_space:  global
        .offset:         40
        .size:           8
        .value_kind:     global_buffer
      - .offset:         48
        .size:           4
        .value_kind:     by_value
      - .offset:         56
        .size:           8
        .value_kind:     by_value
      - .offset:         64
        .size:           4
        .value_kind:     by_value
      - .address_space:  global
        .offset:         72
        .size:           8
        .value_kind:     global_buffer
      - .offset:         80
        .size:           4
        .value_kind:     by_value
      - .offset:         88
        .size:           8
        .value_kind:     by_value
      - .offset:         96
        .size:           4
        .value_kind:     by_value
    .group_segment_fixed_size: 2048
    .kernarg_segment_align: 8
    .kernarg_segment_size: 100
    .language:       OpenCL C
    .language_version:
      - 2
      - 0
    .max_flat_workgroup_size: 256
    .name:           _ZL29rocblas_internal_gemmt_kernelIiLi16ELi32ELi8ELc78ELc67ELc76ELb0ELb0EffPKfPfEviT_T9_T10_S3_lS5_S3_lS4_T11_S3_li
    .private_segment_fixed_size: 0
    .sgpr_count:     38
    .sgpr_spill_count: 0
    .symbol:         _ZL29rocblas_internal_gemmt_kernelIiLi16ELi32ELi8ELc78ELc67ELc76ELb0ELb0EffPKfPfEviT_T9_T10_S3_lS5_S3_lS4_T11_S3_li.kd
    .uniform_work_group_size: 1
    .uses_dynamic_stack: false
    .vgpr_count:     52
    .vgpr_spill_count: 0
    .wavefront_size: 32
  - .args:
      - .offset:         0
        .size:           4
        .value_kind:     by_value
      - .offset:         4
        .size:           4
        .value_kind:     by_value
      - .offset:         8
        .size:           4
        .value_kind:     by_value
      - .address_space:  global
        .offset:         16
        .size:           8
        .value_kind:     global_buffer
      - .offset:         24
        .size:           4
        .value_kind:     by_value
      - .offset:         32
        .size:           8
        .value_kind:     by_value
      - .address_space:  global
        .offset:         40
        .size:           8
        .value_kind:     global_buffer
      - .offset:         48
        .size:           4
        .value_kind:     by_value
      - .offset:         56
        .size:           8
        .value_kind:     by_value
      - .offset:         64
        .size:           4
        .value_kind:     by_value
      - .address_space:  global
        .offset:         72
        .size:           8
        .value_kind:     global_buffer
      - .offset:         80
        .size:           4
        .value_kind:     by_value
      - .offset:         88
        .size:           8
        .value_kind:     by_value
      - .offset:         96
        .size:           4
        .value_kind:     by_value
    .group_segment_fixed_size: 2048
    .kernarg_segment_align: 8
    .kernarg_segment_size: 100
    .language:       OpenCL C
    .language_version:
      - 2
      - 0
    .max_flat_workgroup_size: 256
    .name:           _ZL29rocblas_internal_gemmt_kernelIiLi16ELi32ELi8ELc84ELc78ELc76ELb0ELb0EffPKfPfEviT_T9_T10_S3_lS5_S3_lS4_T11_S3_li
    .private_segment_fixed_size: 0
    .sgpr_count:     33
    .sgpr_spill_count: 0
    .symbol:         _ZL29rocblas_internal_gemmt_kernelIiLi16ELi32ELi8ELc84ELc78ELc76ELb0ELb0EffPKfPfEviT_T9_T10_S3_lS5_S3_lS4_T11_S3_li.kd
    .uniform_work_group_size: 1
    .uses_dynamic_stack: false
    .vgpr_count:     52
    .vgpr_spill_count: 0
    .wavefront_size: 32
  - .args:
      - .offset:         0
        .size:           4
        .value_kind:     by_value
      - .offset:         4
        .size:           4
        .value_kind:     by_value
      - .offset:         8
        .size:           4
        .value_kind:     by_value
      - .address_space:  global
        .offset:         16
        .size:           8
        .value_kind:     global_buffer
      - .offset:         24
        .size:           4
        .value_kind:     by_value
      - .offset:         32
        .size:           8
        .value_kind:     by_value
      - .address_space:  global
        .offset:         40
        .size:           8
        .value_kind:     global_buffer
      - .offset:         48
        .size:           4
        .value_kind:     by_value
      - .offset:         56
        .size:           8
        .value_kind:     by_value
      - .offset:         64
        .size:           4
        .value_kind:     by_value
      - .address_space:  global
        .offset:         72
        .size:           8
        .value_kind:     global_buffer
      - .offset:         80
        .size:           4
        .value_kind:     by_value
      - .offset:         88
        .size:           8
        .value_kind:     by_value
      - .offset:         96
        .size:           4
        .value_kind:     by_value
    .group_segment_fixed_size: 2048
    .kernarg_segment_align: 8
    .kernarg_segment_size: 100
    .language:       OpenCL C
    .language_version:
      - 2
      - 0
    .max_flat_workgroup_size: 256
    .name:           _ZL29rocblas_internal_gemmt_kernelIiLi16ELi32ELi8ELc84ELc84ELc76ELb0ELb0EffPKfPfEviT_T9_T10_S3_lS5_S3_lS4_T11_S3_li
    .private_segment_fixed_size: 0
    .sgpr_count:     33
    .sgpr_spill_count: 0
    .symbol:         _ZL29rocblas_internal_gemmt_kernelIiLi16ELi32ELi8ELc84ELc84ELc76ELb0ELb0EffPKfPfEviT_T9_T10_S3_lS5_S3_lS4_T11_S3_li.kd
    .uniform_work_group_size: 1
    .uses_dynamic_stack: false
    .vgpr_count:     52
    .vgpr_spill_count: 0
    .wavefront_size: 32
  - .args:
      - .offset:         0
        .size:           4
        .value_kind:     by_value
      - .offset:         4
        .size:           4
        .value_kind:     by_value
      - .offset:         8
        .size:           4
        .value_kind:     by_value
      - .address_space:  global
        .offset:         16
        .size:           8
        .value_kind:     global_buffer
      - .offset:         24
        .size:           4
        .value_kind:     by_value
      - .offset:         32
        .size:           8
        .value_kind:     by_value
      - .address_space:  global
        .offset:         40
        .size:           8
        .value_kind:     global_buffer
      - .offset:         48
        .size:           4
        .value_kind:     by_value
      - .offset:         56
        .size:           8
        .value_kind:     by_value
      - .offset:         64
        .size:           4
        .value_kind:     by_value
      - .address_space:  global
        .offset:         72
        .size:           8
        .value_kind:     global_buffer
      - .offset:         80
        .size:           4
        .value_kind:     by_value
      - .offset:         88
        .size:           8
        .value_kind:     by_value
      - .offset:         96
        .size:           4
        .value_kind:     by_value
    .group_segment_fixed_size: 2048
    .kernarg_segment_align: 8
    .kernarg_segment_size: 100
    .language:       OpenCL C
    .language_version:
      - 2
      - 0
    .max_flat_workgroup_size: 256
    .name:           _ZL29rocblas_internal_gemmt_kernelIiLi16ELi32ELi8ELc84ELc67ELc76ELb0ELb0EffPKfPfEviT_T9_T10_S3_lS5_S3_lS4_T11_S3_li
    .private_segment_fixed_size: 0
    .sgpr_count:     33
    .sgpr_spill_count: 0
    .symbol:         _ZL29rocblas_internal_gemmt_kernelIiLi16ELi32ELi8ELc84ELc67ELc76ELb0ELb0EffPKfPfEviT_T9_T10_S3_lS5_S3_lS4_T11_S3_li.kd
    .uniform_work_group_size: 1
    .uses_dynamic_stack: false
    .vgpr_count:     52
    .vgpr_spill_count: 0
    .wavefront_size: 32
  - .args:
      - .offset:         0
        .size:           4
        .value_kind:     by_value
      - .offset:         4
        .size:           4
        .value_kind:     by_value
      - .offset:         8
        .size:           4
        .value_kind:     by_value
      - .address_space:  global
        .offset:         16
        .size:           8
        .value_kind:     global_buffer
      - .offset:         24
        .size:           4
        .value_kind:     by_value
      - .offset:         32
        .size:           8
        .value_kind:     by_value
      - .address_space:  global
        .offset:         40
        .size:           8
        .value_kind:     global_buffer
      - .offset:         48
        .size:           4
        .value_kind:     by_value
      - .offset:         56
        .size:           8
        .value_kind:     by_value
      - .offset:         64
        .size:           4
        .value_kind:     by_value
      - .address_space:  global
        .offset:         72
        .size:           8
        .value_kind:     global_buffer
      - .offset:         80
        .size:           4
        .value_kind:     by_value
      - .offset:         88
        .size:           8
        .value_kind:     by_value
      - .offset:         96
        .size:           4
        .value_kind:     by_value
    .group_segment_fixed_size: 2048
    .kernarg_segment_align: 8
    .kernarg_segment_size: 100
    .language:       OpenCL C
    .language_version:
      - 2
      - 0
    .max_flat_workgroup_size: 256
    .name:           _ZL29rocblas_internal_gemmt_kernelIiLi16ELi32ELi8ELc67ELc78ELc76ELb0ELb0EffPKfPfEviT_T9_T10_S3_lS5_S3_lS4_T11_S3_li
    .private_segment_fixed_size: 0
    .sgpr_count:     33
    .sgpr_spill_count: 0
    .symbol:         _ZL29rocblas_internal_gemmt_kernelIiLi16ELi32ELi8ELc67ELc78ELc76ELb0ELb0EffPKfPfEviT_T9_T10_S3_lS5_S3_lS4_T11_S3_li.kd
    .uniform_work_group_size: 1
    .uses_dynamic_stack: false
    .vgpr_count:     52
    .vgpr_spill_count: 0
    .wavefront_size: 32
  - .args:
      - .offset:         0
        .size:           4
        .value_kind:     by_value
      - .offset:         4
        .size:           4
        .value_kind:     by_value
      - .offset:         8
        .size:           4
        .value_kind:     by_value
      - .address_space:  global
        .offset:         16
        .size:           8
        .value_kind:     global_buffer
      - .offset:         24
        .size:           4
        .value_kind:     by_value
      - .offset:         32
        .size:           8
        .value_kind:     by_value
      - .address_space:  global
        .offset:         40
        .size:           8
        .value_kind:     global_buffer
      - .offset:         48
        .size:           4
        .value_kind:     by_value
      - .offset:         56
        .size:           8
        .value_kind:     by_value
      - .offset:         64
        .size:           4
        .value_kind:     by_value
      - .address_space:  global
        .offset:         72
        .size:           8
        .value_kind:     global_buffer
      - .offset:         80
        .size:           4
        .value_kind:     by_value
      - .offset:         88
        .size:           8
        .value_kind:     by_value
      - .offset:         96
        .size:           4
        .value_kind:     by_value
    .group_segment_fixed_size: 2048
    .kernarg_segment_align: 8
    .kernarg_segment_size: 100
    .language:       OpenCL C
    .language_version:
      - 2
      - 0
    .max_flat_workgroup_size: 256
    .name:           _ZL29rocblas_internal_gemmt_kernelIiLi16ELi32ELi8ELc67ELc84ELc76ELb0ELb0EffPKfPfEviT_T9_T10_S3_lS5_S3_lS4_T11_S3_li
    .private_segment_fixed_size: 0
    .sgpr_count:     33
    .sgpr_spill_count: 0
    .symbol:         _ZL29rocblas_internal_gemmt_kernelIiLi16ELi32ELi8ELc67ELc84ELc76ELb0ELb0EffPKfPfEviT_T9_T10_S3_lS5_S3_lS4_T11_S3_li.kd
    .uniform_work_group_size: 1
    .uses_dynamic_stack: false
    .vgpr_count:     52
    .vgpr_spill_count: 0
    .wavefront_size: 32
  - .args:
      - .offset:         0
        .size:           4
        .value_kind:     by_value
      - .offset:         4
        .size:           4
        .value_kind:     by_value
      - .offset:         8
        .size:           4
        .value_kind:     by_value
      - .address_space:  global
        .offset:         16
        .size:           8
        .value_kind:     global_buffer
      - .offset:         24
        .size:           4
        .value_kind:     by_value
      - .offset:         32
        .size:           8
        .value_kind:     by_value
      - .address_space:  global
        .offset:         40
        .size:           8
        .value_kind:     global_buffer
      - .offset:         48
        .size:           4
        .value_kind:     by_value
      - .offset:         56
        .size:           8
        .value_kind:     by_value
      - .offset:         64
        .size:           4
        .value_kind:     by_value
      - .address_space:  global
        .offset:         72
        .size:           8
        .value_kind:     global_buffer
      - .offset:         80
        .size:           4
        .value_kind:     by_value
      - .offset:         88
        .size:           8
        .value_kind:     by_value
      - .offset:         96
        .size:           4
        .value_kind:     by_value
    .group_segment_fixed_size: 2048
    .kernarg_segment_align: 8
    .kernarg_segment_size: 100
    .language:       OpenCL C
    .language_version:
      - 2
      - 0
    .max_flat_workgroup_size: 256
    .name:           _ZL29rocblas_internal_gemmt_kernelIiLi16ELi32ELi8ELc67ELc67ELc76ELb0ELb0EffPKfPfEviT_T9_T10_S3_lS5_S3_lS4_T11_S3_li
    .private_segment_fixed_size: 0
    .sgpr_count:     33
    .sgpr_spill_count: 0
    .symbol:         _ZL29rocblas_internal_gemmt_kernelIiLi16ELi32ELi8ELc67ELc67ELc76ELb0ELb0EffPKfPfEviT_T9_T10_S3_lS5_S3_lS4_T11_S3_li.kd
    .uniform_work_group_size: 1
    .uses_dynamic_stack: false
    .vgpr_count:     52
    .vgpr_spill_count: 0
    .wavefront_size: 32
  - .args:
      - .offset:         0
        .size:           4
        .value_kind:     by_value
      - .offset:         4
        .size:           4
        .value_kind:     by_value
      - .address_space:  global
        .offset:         8
        .size:           8
        .value_kind:     global_buffer
      - .address_space:  global
        .offset:         16
        .size:           8
        .value_kind:     global_buffer
      - .offset:         24
        .size:           4
        .value_kind:     by_value
      - .offset:         32
        .size:           8
        .value_kind:     by_value
      - .address_space:  global
        .offset:         40
        .size:           8
        .value_kind:     global_buffer
      - .offset:         48
        .size:           4
        .value_kind:     by_value
      - .offset:         56
        .size:           8
        .value_kind:     by_value
      - .address_space:  global
        .offset:         64
        .size:           8
        .value_kind:     global_buffer
      - .address_space:  global
        .offset:         72
        .size:           8
        .value_kind:     global_buffer
      - .offset:         80
        .size:           4
        .value_kind:     by_value
      - .offset:         88
        .size:           8
        .value_kind:     by_value
      - .offset:         96
        .size:           4
        .value_kind:     by_value
    .group_segment_fixed_size: 4096
    .kernarg_segment_align: 8
    .kernarg_segment_size: 100
    .language:       OpenCL C
    .language_version:
      - 2
      - 0
    .max_flat_workgroup_size: 256
    .name:           _ZL29rocblas_internal_gemmt_kernelIiLi16ELi32ELi8ELc78ELc78ELc85ELb0ELb0EdPKdS1_PdEviT_T9_T10_S3_lS5_S3_lS4_T11_S3_li
    .private_segment_fixed_size: 0
    .sgpr_count:     36
    .sgpr_spill_count: 0
    .symbol:         _ZL29rocblas_internal_gemmt_kernelIiLi16ELi32ELi8ELc78ELc78ELc85ELb0ELb0EdPKdS1_PdEviT_T9_T10_S3_lS5_S3_lS4_T11_S3_li.kd
    .uniform_work_group_size: 1
    .uses_dynamic_stack: false
    .vgpr_count:     52
    .vgpr_spill_count: 0
    .wavefront_size: 32
  - .args:
      - .offset:         0
        .size:           4
        .value_kind:     by_value
      - .offset:         4
        .size:           4
        .value_kind:     by_value
      - .address_space:  global
        .offset:         8
        .size:           8
        .value_kind:     global_buffer
      - .address_space:  global
        .offset:         16
        .size:           8
        .value_kind:     global_buffer
      - .offset:         24
        .size:           4
        .value_kind:     by_value
      - .offset:         32
        .size:           8
        .value_kind:     by_value
      - .address_space:  global
        .offset:         40
        .size:           8
        .value_kind:     global_buffer
      - .offset:         48
        .size:           4
        .value_kind:     by_value
      - .offset:         56
        .size:           8
        .value_kind:     by_value
      - .address_space:  global
        .offset:         64
        .size:           8
        .value_kind:     global_buffer
      - .address_space:  global
        .offset:         72
        .size:           8
        .value_kind:     global_buffer
      - .offset:         80
        .size:           4
        .value_kind:     by_value
      - .offset:         88
        .size:           8
        .value_kind:     by_value
      - .offset:         96
        .size:           4
        .value_kind:     by_value
    .group_segment_fixed_size: 4096
    .kernarg_segment_align: 8
    .kernarg_segment_size: 100
    .language:       OpenCL C
    .language_version:
      - 2
      - 0
    .max_flat_workgroup_size: 256
    .name:           _ZL29rocblas_internal_gemmt_kernelIiLi16ELi32ELi8ELc78ELc84ELc85ELb0ELb0EdPKdS1_PdEviT_T9_T10_S3_lS5_S3_lS4_T11_S3_li
    .private_segment_fixed_size: 0
    .sgpr_count:     38
    .sgpr_spill_count: 0
    .symbol:         _ZL29rocblas_internal_gemmt_kernelIiLi16ELi32ELi8ELc78ELc84ELc85ELb0ELb0EdPKdS1_PdEviT_T9_T10_S3_lS5_S3_lS4_T11_S3_li.kd
    .uniform_work_group_size: 1
    .uses_dynamic_stack: false
    .vgpr_count:     50
    .vgpr_spill_count: 0
    .wavefront_size: 32
  - .args:
      - .offset:         0
        .size:           4
        .value_kind:     by_value
      - .offset:         4
        .size:           4
        .value_kind:     by_value
      - .address_space:  global
        .offset:         8
        .size:           8
        .value_kind:     global_buffer
      - .address_space:  global
        .offset:         16
        .size:           8
        .value_kind:     global_buffer
      - .offset:         24
        .size:           4
        .value_kind:     by_value
      - .offset:         32
        .size:           8
        .value_kind:     by_value
      - .address_space:  global
        .offset:         40
        .size:           8
        .value_kind:     global_buffer
      - .offset:         48
        .size:           4
        .value_kind:     by_value
      - .offset:         56
        .size:           8
        .value_kind:     by_value
      - .address_space:  global
        .offset:         64
        .size:           8
        .value_kind:     global_buffer
      - .address_space:  global
        .offset:         72
        .size:           8
        .value_kind:     global_buffer
      - .offset:         80
        .size:           4
        .value_kind:     by_value
      - .offset:         88
        .size:           8
        .value_kind:     by_value
      - .offset:         96
        .size:           4
        .value_kind:     by_value
    .group_segment_fixed_size: 4096
    .kernarg_segment_align: 8
    .kernarg_segment_size: 100
    .language:       OpenCL C
    .language_version:
      - 2
      - 0
    .max_flat_workgroup_size: 256
    .name:           _ZL29rocblas_internal_gemmt_kernelIiLi16ELi32ELi8ELc78ELc67ELc85ELb0ELb0EdPKdS1_PdEviT_T9_T10_S3_lS5_S3_lS4_T11_S3_li
    .private_segment_fixed_size: 0
    .sgpr_count:     38
    .sgpr_spill_count: 0
    .symbol:         _ZL29rocblas_internal_gemmt_kernelIiLi16ELi32ELi8ELc78ELc67ELc85ELb0ELb0EdPKdS1_PdEviT_T9_T10_S3_lS5_S3_lS4_T11_S3_li.kd
    .uniform_work_group_size: 1
    .uses_dynamic_stack: false
    .vgpr_count:     50
    .vgpr_spill_count: 0
    .wavefront_size: 32
  - .args:
      - .offset:         0
        .size:           4
        .value_kind:     by_value
      - .offset:         4
        .size:           4
        .value_kind:     by_value
      - .address_space:  global
        .offset:         8
        .size:           8
        .value_kind:     global_buffer
      - .address_space:  global
        .offset:         16
        .size:           8
        .value_kind:     global_buffer
      - .offset:         24
        .size:           4
        .value_kind:     by_value
      - .offset:         32
        .size:           8
        .value_kind:     by_value
      - .address_space:  global
        .offset:         40
        .size:           8
        .value_kind:     global_buffer
      - .offset:         48
        .size:           4
        .value_kind:     by_value
      - .offset:         56
        .size:           8
        .value_kind:     by_value
      - .address_space:  global
        .offset:         64
        .size:           8
        .value_kind:     global_buffer
      - .address_space:  global
        .offset:         72
        .size:           8
        .value_kind:     global_buffer
      - .offset:         80
        .size:           4
        .value_kind:     by_value
      - .offset:         88
        .size:           8
        .value_kind:     by_value
      - .offset:         96
        .size:           4
        .value_kind:     by_value
    .group_segment_fixed_size: 4096
    .kernarg_segment_align: 8
    .kernarg_segment_size: 100
    .language:       OpenCL C
    .language_version:
      - 2
      - 0
    .max_flat_workgroup_size: 256
    .name:           _ZL29rocblas_internal_gemmt_kernelIiLi16ELi32ELi8ELc84ELc78ELc85ELb0ELb0EdPKdS1_PdEviT_T9_T10_S3_lS5_S3_lS4_T11_S3_li
    .private_segment_fixed_size: 0
    .sgpr_count:     36
    .sgpr_spill_count: 0
    .symbol:         _ZL29rocblas_internal_gemmt_kernelIiLi16ELi32ELi8ELc84ELc78ELc85ELb0ELb0EdPKdS1_PdEviT_T9_T10_S3_lS5_S3_lS4_T11_S3_li.kd
    .uniform_work_group_size: 1
    .uses_dynamic_stack: false
    .vgpr_count:     50
    .vgpr_spill_count: 0
    .wavefront_size: 32
  - .args:
      - .offset:         0
        .size:           4
        .value_kind:     by_value
      - .offset:         4
        .size:           4
        .value_kind:     by_value
      - .address_space:  global
        .offset:         8
        .size:           8
        .value_kind:     global_buffer
      - .address_space:  global
        .offset:         16
        .size:           8
        .value_kind:     global_buffer
      - .offset:         24
        .size:           4
        .value_kind:     by_value
      - .offset:         32
        .size:           8
        .value_kind:     by_value
      - .address_space:  global
        .offset:         40
        .size:           8
        .value_kind:     global_buffer
      - .offset:         48
        .size:           4
        .value_kind:     by_value
      - .offset:         56
        .size:           8
        .value_kind:     by_value
      - .address_space:  global
        .offset:         64
        .size:           8
        .value_kind:     global_buffer
      - .address_space:  global
        .offset:         72
        .size:           8
        .value_kind:     global_buffer
      - .offset:         80
        .size:           4
        .value_kind:     by_value
      - .offset:         88
        .size:           8
        .value_kind:     by_value
      - .offset:         96
        .size:           4
        .value_kind:     by_value
    .group_segment_fixed_size: 4096
    .kernarg_segment_align: 8
    .kernarg_segment_size: 100
    .language:       OpenCL C
    .language_version:
      - 2
      - 0
    .max_flat_workgroup_size: 256
    .name:           _ZL29rocblas_internal_gemmt_kernelIiLi16ELi32ELi8ELc84ELc84ELc85ELb0ELb0EdPKdS1_PdEviT_T9_T10_S3_lS5_S3_lS4_T11_S3_li
    .private_segment_fixed_size: 0
    .sgpr_count:     36
    .sgpr_spill_count: 0
    .symbol:         _ZL29rocblas_internal_gemmt_kernelIiLi16ELi32ELi8ELc84ELc84ELc85ELb0ELb0EdPKdS1_PdEviT_T9_T10_S3_lS5_S3_lS4_T11_S3_li.kd
    .uniform_work_group_size: 1
    .uses_dynamic_stack: false
    .vgpr_count:     50
    .vgpr_spill_count: 0
    .wavefront_size: 32
  - .args:
      - .offset:         0
        .size:           4
        .value_kind:     by_value
      - .offset:         4
        .size:           4
        .value_kind:     by_value
      - .address_space:  global
        .offset:         8
        .size:           8
        .value_kind:     global_buffer
      - .address_space:  global
        .offset:         16
        .size:           8
        .value_kind:     global_buffer
      - .offset:         24
        .size:           4
        .value_kind:     by_value
      - .offset:         32
        .size:           8
        .value_kind:     by_value
      - .address_space:  global
        .offset:         40
        .size:           8
        .value_kind:     global_buffer
      - .offset:         48
        .size:           4
        .value_kind:     by_value
      - .offset:         56
        .size:           8
        .value_kind:     by_value
      - .address_space:  global
        .offset:         64
        .size:           8
        .value_kind:     global_buffer
      - .address_space:  global
        .offset:         72
        .size:           8
        .value_kind:     global_buffer
      - .offset:         80
        .size:           4
        .value_kind:     by_value
      - .offset:         88
        .size:           8
        .value_kind:     by_value
      - .offset:         96
        .size:           4
        .value_kind:     by_value
    .group_segment_fixed_size: 4096
    .kernarg_segment_align: 8
    .kernarg_segment_size: 100
    .language:       OpenCL C
    .language_version:
      - 2
      - 0
    .max_flat_workgroup_size: 256
    .name:           _ZL29rocblas_internal_gemmt_kernelIiLi16ELi32ELi8ELc84ELc67ELc85ELb0ELb0EdPKdS1_PdEviT_T9_T10_S3_lS5_S3_lS4_T11_S3_li
    .private_segment_fixed_size: 0
    .sgpr_count:     36
    .sgpr_spill_count: 0
    .symbol:         _ZL29rocblas_internal_gemmt_kernelIiLi16ELi32ELi8ELc84ELc67ELc85ELb0ELb0EdPKdS1_PdEviT_T9_T10_S3_lS5_S3_lS4_T11_S3_li.kd
    .uniform_work_group_size: 1
    .uses_dynamic_stack: false
    .vgpr_count:     50
    .vgpr_spill_count: 0
    .wavefront_size: 32
  - .args:
      - .offset:         0
        .size:           4
        .value_kind:     by_value
      - .offset:         4
        .size:           4
        .value_kind:     by_value
      - .address_space:  global
        .offset:         8
        .size:           8
        .value_kind:     global_buffer
      - .address_space:  global
        .offset:         16
        .size:           8
        .value_kind:     global_buffer
      - .offset:         24
        .size:           4
        .value_kind:     by_value
      - .offset:         32
        .size:           8
        .value_kind:     by_value
      - .address_space:  global
        .offset:         40
        .size:           8
        .value_kind:     global_buffer
      - .offset:         48
        .size:           4
        .value_kind:     by_value
      - .offset:         56
        .size:           8
        .value_kind:     by_value
      - .address_space:  global
        .offset:         64
        .size:           8
        .value_kind:     global_buffer
      - .address_space:  global
        .offset:         72
        .size:           8
        .value_kind:     global_buffer
      - .offset:         80
        .size:           4
        .value_kind:     by_value
      - .offset:         88
        .size:           8
        .value_kind:     by_value
      - .offset:         96
        .size:           4
        .value_kind:     by_value
    .group_segment_fixed_size: 4096
    .kernarg_segment_align: 8
    .kernarg_segment_size: 100
    .language:       OpenCL C
    .language_version:
      - 2
      - 0
    .max_flat_workgroup_size: 256
    .name:           _ZL29rocblas_internal_gemmt_kernelIiLi16ELi32ELi8ELc67ELc78ELc85ELb0ELb0EdPKdS1_PdEviT_T9_T10_S3_lS5_S3_lS4_T11_S3_li
    .private_segment_fixed_size: 0
    .sgpr_count:     36
    .sgpr_spill_count: 0
    .symbol:         _ZL29rocblas_internal_gemmt_kernelIiLi16ELi32ELi8ELc67ELc78ELc85ELb0ELb0EdPKdS1_PdEviT_T9_T10_S3_lS5_S3_lS4_T11_S3_li.kd
    .uniform_work_group_size: 1
    .uses_dynamic_stack: false
    .vgpr_count:     50
    .vgpr_spill_count: 0
    .wavefront_size: 32
  - .args:
      - .offset:         0
        .size:           4
        .value_kind:     by_value
      - .offset:         4
        .size:           4
        .value_kind:     by_value
      - .address_space:  global
        .offset:         8
        .size:           8
        .value_kind:     global_buffer
      - .address_space:  global
        .offset:         16
        .size:           8
        .value_kind:     global_buffer
      - .offset:         24
        .size:           4
        .value_kind:     by_value
      - .offset:         32
        .size:           8
        .value_kind:     by_value
      - .address_space:  global
        .offset:         40
        .size:           8
        .value_kind:     global_buffer
      - .offset:         48
        .size:           4
        .value_kind:     by_value
      - .offset:         56
        .size:           8
        .value_kind:     by_value
      - .address_space:  global
        .offset:         64
        .size:           8
        .value_kind:     global_buffer
      - .address_space:  global
        .offset:         72
        .size:           8
        .value_kind:     global_buffer
      - .offset:         80
        .size:           4
        .value_kind:     by_value
      - .offset:         88
        .size:           8
        .value_kind:     by_value
      - .offset:         96
        .size:           4
        .value_kind:     by_value
    .group_segment_fixed_size: 4096
    .kernarg_segment_align: 8
    .kernarg_segment_size: 100
    .language:       OpenCL C
    .language_version:
      - 2
      - 0
    .max_flat_workgroup_size: 256
    .name:           _ZL29rocblas_internal_gemmt_kernelIiLi16ELi32ELi8ELc67ELc84ELc85ELb0ELb0EdPKdS1_PdEviT_T9_T10_S3_lS5_S3_lS4_T11_S3_li
    .private_segment_fixed_size: 0
    .sgpr_count:     36
    .sgpr_spill_count: 0
    .symbol:         _ZL29rocblas_internal_gemmt_kernelIiLi16ELi32ELi8ELc67ELc84ELc85ELb0ELb0EdPKdS1_PdEviT_T9_T10_S3_lS5_S3_lS4_T11_S3_li.kd
    .uniform_work_group_size: 1
    .uses_dynamic_stack: false
    .vgpr_count:     50
    .vgpr_spill_count: 0
    .wavefront_size: 32
  - .args:
      - .offset:         0
        .size:           4
        .value_kind:     by_value
      - .offset:         4
        .size:           4
        .value_kind:     by_value
      - .address_space:  global
        .offset:         8
        .size:           8
        .value_kind:     global_buffer
      - .address_space:  global
        .offset:         16
        .size:           8
        .value_kind:     global_buffer
      - .offset:         24
        .size:           4
        .value_kind:     by_value
      - .offset:         32
        .size:           8
        .value_kind:     by_value
      - .address_space:  global
        .offset:         40
        .size:           8
        .value_kind:     global_buffer
      - .offset:         48
        .size:           4
        .value_kind:     by_value
      - .offset:         56
        .size:           8
        .value_kind:     by_value
      - .address_space:  global
        .offset:         64
        .size:           8
        .value_kind:     global_buffer
      - .address_space:  global
        .offset:         72
        .size:           8
        .value_kind:     global_buffer
      - .offset:         80
        .size:           4
        .value_kind:     by_value
      - .offset:         88
        .size:           8
        .value_kind:     by_value
      - .offset:         96
        .size:           4
        .value_kind:     by_value
    .group_segment_fixed_size: 4096
    .kernarg_segment_align: 8
    .kernarg_segment_size: 100
    .language:       OpenCL C
    .language_version:
      - 2
      - 0
    .max_flat_workgroup_size: 256
    .name:           _ZL29rocblas_internal_gemmt_kernelIiLi16ELi32ELi8ELc67ELc67ELc85ELb0ELb0EdPKdS1_PdEviT_T9_T10_S3_lS5_S3_lS4_T11_S3_li
    .private_segment_fixed_size: 0
    .sgpr_count:     36
    .sgpr_spill_count: 0
    .symbol:         _ZL29rocblas_internal_gemmt_kernelIiLi16ELi32ELi8ELc67ELc67ELc85ELb0ELb0EdPKdS1_PdEviT_T9_T10_S3_lS5_S3_lS4_T11_S3_li.kd
    .uniform_work_group_size: 1
    .uses_dynamic_stack: false
    .vgpr_count:     50
    .vgpr_spill_count: 0
    .wavefront_size: 32
  - .args:
      - .offset:         0
        .size:           4
        .value_kind:     by_value
      - .offset:         4
        .size:           4
        .value_kind:     by_value
      - .address_space:  global
        .offset:         8
        .size:           8
        .value_kind:     global_buffer
      - .address_space:  global
        .offset:         16
        .size:           8
        .value_kind:     global_buffer
      - .offset:         24
        .size:           4
        .value_kind:     by_value
      - .offset:         32
        .size:           8
        .value_kind:     by_value
      - .address_space:  global
        .offset:         40
        .size:           8
        .value_kind:     global_buffer
      - .offset:         48
        .size:           4
        .value_kind:     by_value
      - .offset:         56
        .size:           8
        .value_kind:     by_value
      - .address_space:  global
        .offset:         64
        .size:           8
        .value_kind:     global_buffer
      - .address_space:  global
        .offset:         72
        .size:           8
        .value_kind:     global_buffer
      - .offset:         80
        .size:           4
        .value_kind:     by_value
      - .offset:         88
        .size:           8
        .value_kind:     by_value
      - .offset:         96
        .size:           4
        .value_kind:     by_value
    .group_segment_fixed_size: 4096
    .kernarg_segment_align: 8
    .kernarg_segment_size: 100
    .language:       OpenCL C
    .language_version:
      - 2
      - 0
    .max_flat_workgroup_size: 256
    .name:           _ZL29rocblas_internal_gemmt_kernelIiLi16ELi32ELi8ELc78ELc78ELc76ELb0ELb0EdPKdS1_PdEviT_T9_T10_S3_lS5_S3_lS4_T11_S3_li
    .private_segment_fixed_size: 0
    .sgpr_count:     38
    .sgpr_spill_count: 0
    .symbol:         _ZL29rocblas_internal_gemmt_kernelIiLi16ELi32ELi8ELc78ELc78ELc76ELb0ELb0EdPKdS1_PdEviT_T9_T10_S3_lS5_S3_lS4_T11_S3_li.kd
    .uniform_work_group_size: 1
    .uses_dynamic_stack: false
    .vgpr_count:     52
    .vgpr_spill_count: 0
    .wavefront_size: 32
  - .args:
      - .offset:         0
        .size:           4
        .value_kind:     by_value
      - .offset:         4
        .size:           4
        .value_kind:     by_value
      - .address_space:  global
        .offset:         8
        .size:           8
        .value_kind:     global_buffer
      - .address_space:  global
        .offset:         16
        .size:           8
        .value_kind:     global_buffer
      - .offset:         24
        .size:           4
        .value_kind:     by_value
      - .offset:         32
        .size:           8
        .value_kind:     by_value
      - .address_space:  global
        .offset:         40
        .size:           8
        .value_kind:     global_buffer
      - .offset:         48
        .size:           4
        .value_kind:     by_value
      - .offset:         56
        .size:           8
        .value_kind:     by_value
      - .address_space:  global
        .offset:         64
        .size:           8
        .value_kind:     global_buffer
      - .address_space:  global
        .offset:         72
        .size:           8
        .value_kind:     global_buffer
      - .offset:         80
        .size:           4
        .value_kind:     by_value
      - .offset:         88
        .size:           8
        .value_kind:     by_value
      - .offset:         96
        .size:           4
        .value_kind:     by_value
    .group_segment_fixed_size: 4096
    .kernarg_segment_align: 8
    .kernarg_segment_size: 100
    .language:       OpenCL C
    .language_version:
      - 2
      - 0
    .max_flat_workgroup_size: 256
    .name:           _ZL29rocblas_internal_gemmt_kernelIiLi16ELi32ELi8ELc78ELc84ELc76ELb0ELb0EdPKdS1_PdEviT_T9_T10_S3_lS5_S3_lS4_T11_S3_li
    .private_segment_fixed_size: 0
    .sgpr_count:     40
    .sgpr_spill_count: 0
    .symbol:         _ZL29rocblas_internal_gemmt_kernelIiLi16ELi32ELi8ELc78ELc84ELc76ELb0ELb0EdPKdS1_PdEviT_T9_T10_S3_lS5_S3_lS4_T11_S3_li.kd
    .uniform_work_group_size: 1
    .uses_dynamic_stack: false
    .vgpr_count:     50
    .vgpr_spill_count: 0
    .wavefront_size: 32
  - .args:
      - .offset:         0
        .size:           4
        .value_kind:     by_value
      - .offset:         4
        .size:           4
        .value_kind:     by_value
      - .address_space:  global
        .offset:         8
        .size:           8
        .value_kind:     global_buffer
      - .address_space:  global
        .offset:         16
        .size:           8
        .value_kind:     global_buffer
      - .offset:         24
        .size:           4
        .value_kind:     by_value
      - .offset:         32
        .size:           8
        .value_kind:     by_value
      - .address_space:  global
        .offset:         40
        .size:           8
        .value_kind:     global_buffer
      - .offset:         48
        .size:           4
        .value_kind:     by_value
      - .offset:         56
        .size:           8
        .value_kind:     by_value
      - .address_space:  global
        .offset:         64
        .size:           8
        .value_kind:     global_buffer
      - .address_space:  global
        .offset:         72
        .size:           8
        .value_kind:     global_buffer
      - .offset:         80
        .size:           4
        .value_kind:     by_value
      - .offset:         88
        .size:           8
        .value_kind:     by_value
      - .offset:         96
        .size:           4
        .value_kind:     by_value
    .group_segment_fixed_size: 4096
    .kernarg_segment_align: 8
    .kernarg_segment_size: 100
    .language:       OpenCL C
    .language_version:
      - 2
      - 0
    .max_flat_workgroup_size: 256
    .name:           _ZL29rocblas_internal_gemmt_kernelIiLi16ELi32ELi8ELc78ELc67ELc76ELb0ELb0EdPKdS1_PdEviT_T9_T10_S3_lS5_S3_lS4_T11_S3_li
    .private_segment_fixed_size: 0
    .sgpr_count:     40
    .sgpr_spill_count: 0
    .symbol:         _ZL29rocblas_internal_gemmt_kernelIiLi16ELi32ELi8ELc78ELc67ELc76ELb0ELb0EdPKdS1_PdEviT_T9_T10_S3_lS5_S3_lS4_T11_S3_li.kd
    .uniform_work_group_size: 1
    .uses_dynamic_stack: false
    .vgpr_count:     50
    .vgpr_spill_count: 0
    .wavefront_size: 32
  - .args:
      - .offset:         0
        .size:           4
        .value_kind:     by_value
      - .offset:         4
        .size:           4
        .value_kind:     by_value
      - .address_space:  global
        .offset:         8
        .size:           8
        .value_kind:     global_buffer
      - .address_space:  global
        .offset:         16
        .size:           8
        .value_kind:     global_buffer
      - .offset:         24
        .size:           4
        .value_kind:     by_value
      - .offset:         32
        .size:           8
        .value_kind:     by_value
      - .address_space:  global
        .offset:         40
        .size:           8
        .value_kind:     global_buffer
      - .offset:         48
        .size:           4
        .value_kind:     by_value
      - .offset:         56
        .size:           8
        .value_kind:     by_value
      - .address_space:  global
        .offset:         64
        .size:           8
        .value_kind:     global_buffer
      - .address_space:  global
        .offset:         72
        .size:           8
        .value_kind:     global_buffer
      - .offset:         80
        .size:           4
        .value_kind:     by_value
      - .offset:         88
        .size:           8
        .value_kind:     by_value
      - .offset:         96
        .size:           4
        .value_kind:     by_value
    .group_segment_fixed_size: 4096
    .kernarg_segment_align: 8
    .kernarg_segment_size: 100
    .language:       OpenCL C
    .language_version:
      - 2
      - 0
    .max_flat_workgroup_size: 256
    .name:           _ZL29rocblas_internal_gemmt_kernelIiLi16ELi32ELi8ELc84ELc78ELc76ELb0ELb0EdPKdS1_PdEviT_T9_T10_S3_lS5_S3_lS4_T11_S3_li
    .private_segment_fixed_size: 0
    .sgpr_count:     36
    .sgpr_spill_count: 0
    .symbol:         _ZL29rocblas_internal_gemmt_kernelIiLi16ELi32ELi8ELc84ELc78ELc76ELb0ELb0EdPKdS1_PdEviT_T9_T10_S3_lS5_S3_lS4_T11_S3_li.kd
    .uniform_work_group_size: 1
    .uses_dynamic_stack: false
    .vgpr_count:     50
    .vgpr_spill_count: 0
    .wavefront_size: 32
  - .args:
      - .offset:         0
        .size:           4
        .value_kind:     by_value
      - .offset:         4
        .size:           4
        .value_kind:     by_value
      - .address_space:  global
        .offset:         8
        .size:           8
        .value_kind:     global_buffer
      - .address_space:  global
        .offset:         16
        .size:           8
        .value_kind:     global_buffer
      - .offset:         24
        .size:           4
        .value_kind:     by_value
      - .offset:         32
        .size:           8
        .value_kind:     by_value
      - .address_space:  global
        .offset:         40
        .size:           8
        .value_kind:     global_buffer
      - .offset:         48
        .size:           4
        .value_kind:     by_value
      - .offset:         56
        .size:           8
        .value_kind:     by_value
      - .address_space:  global
        .offset:         64
        .size:           8
        .value_kind:     global_buffer
      - .address_space:  global
        .offset:         72
        .size:           8
        .value_kind:     global_buffer
      - .offset:         80
        .size:           4
        .value_kind:     by_value
      - .offset:         88
        .size:           8
        .value_kind:     by_value
      - .offset:         96
        .size:           4
        .value_kind:     by_value
    .group_segment_fixed_size: 4096
    .kernarg_segment_align: 8
    .kernarg_segment_size: 100
    .language:       OpenCL C
    .language_version:
      - 2
      - 0
    .max_flat_workgroup_size: 256
    .name:           _ZL29rocblas_internal_gemmt_kernelIiLi16ELi32ELi8ELc84ELc84ELc76ELb0ELb0EdPKdS1_PdEviT_T9_T10_S3_lS5_S3_lS4_T11_S3_li
    .private_segment_fixed_size: 0
    .sgpr_count:     38
    .sgpr_spill_count: 0
    .symbol:         _ZL29rocblas_internal_gemmt_kernelIiLi16ELi32ELi8ELc84ELc84ELc76ELb0ELb0EdPKdS1_PdEviT_T9_T10_S3_lS5_S3_lS4_T11_S3_li.kd
    .uniform_work_group_size: 1
    .uses_dynamic_stack: false
    .vgpr_count:     50
    .vgpr_spill_count: 0
    .wavefront_size: 32
  - .args:
      - .offset:         0
        .size:           4
        .value_kind:     by_value
      - .offset:         4
        .size:           4
        .value_kind:     by_value
      - .address_space:  global
        .offset:         8
        .size:           8
        .value_kind:     global_buffer
      - .address_space:  global
        .offset:         16
        .size:           8
        .value_kind:     global_buffer
      - .offset:         24
        .size:           4
        .value_kind:     by_value
      - .offset:         32
        .size:           8
        .value_kind:     by_value
      - .address_space:  global
        .offset:         40
        .size:           8
        .value_kind:     global_buffer
      - .offset:         48
        .size:           4
        .value_kind:     by_value
      - .offset:         56
        .size:           8
        .value_kind:     by_value
      - .address_space:  global
        .offset:         64
        .size:           8
        .value_kind:     global_buffer
      - .address_space:  global
        .offset:         72
        .size:           8
        .value_kind:     global_buffer
      - .offset:         80
        .size:           4
        .value_kind:     by_value
      - .offset:         88
        .size:           8
        .value_kind:     by_value
      - .offset:         96
        .size:           4
        .value_kind:     by_value
    .group_segment_fixed_size: 4096
    .kernarg_segment_align: 8
    .kernarg_segment_size: 100
    .language:       OpenCL C
    .language_version:
      - 2
      - 0
    .max_flat_workgroup_size: 256
    .name:           _ZL29rocblas_internal_gemmt_kernelIiLi16ELi32ELi8ELc84ELc67ELc76ELb0ELb0EdPKdS1_PdEviT_T9_T10_S3_lS5_S3_lS4_T11_S3_li
    .private_segment_fixed_size: 0
    .sgpr_count:     38
    .sgpr_spill_count: 0
    .symbol:         _ZL29rocblas_internal_gemmt_kernelIiLi16ELi32ELi8ELc84ELc67ELc76ELb0ELb0EdPKdS1_PdEviT_T9_T10_S3_lS5_S3_lS4_T11_S3_li.kd
    .uniform_work_group_size: 1
    .uses_dynamic_stack: false
    .vgpr_count:     50
    .vgpr_spill_count: 0
    .wavefront_size: 32
  - .args:
      - .offset:         0
        .size:           4
        .value_kind:     by_value
      - .offset:         4
        .size:           4
        .value_kind:     by_value
      - .address_space:  global
        .offset:         8
        .size:           8
        .value_kind:     global_buffer
      - .address_space:  global
        .offset:         16
        .size:           8
        .value_kind:     global_buffer
      - .offset:         24
        .size:           4
        .value_kind:     by_value
      - .offset:         32
        .size:           8
        .value_kind:     by_value
      - .address_space:  global
        .offset:         40
        .size:           8
        .value_kind:     global_buffer
      - .offset:         48
        .size:           4
        .value_kind:     by_value
      - .offset:         56
        .size:           8
        .value_kind:     by_value
      - .address_space:  global
        .offset:         64
        .size:           8
        .value_kind:     global_buffer
      - .address_space:  global
        .offset:         72
        .size:           8
        .value_kind:     global_buffer
      - .offset:         80
        .size:           4
        .value_kind:     by_value
      - .offset:         88
        .size:           8
        .value_kind:     by_value
      - .offset:         96
        .size:           4
        .value_kind:     by_value
    .group_segment_fixed_size: 4096
    .kernarg_segment_align: 8
    .kernarg_segment_size: 100
    .language:       OpenCL C
    .language_version:
      - 2
      - 0
    .max_flat_workgroup_size: 256
    .name:           _ZL29rocblas_internal_gemmt_kernelIiLi16ELi32ELi8ELc67ELc78ELc76ELb0ELb0EdPKdS1_PdEviT_T9_T10_S3_lS5_S3_lS4_T11_S3_li
    .private_segment_fixed_size: 0
    .sgpr_count:     36
    .sgpr_spill_count: 0
    .symbol:         _ZL29rocblas_internal_gemmt_kernelIiLi16ELi32ELi8ELc67ELc78ELc76ELb0ELb0EdPKdS1_PdEviT_T9_T10_S3_lS5_S3_lS4_T11_S3_li.kd
    .uniform_work_group_size: 1
    .uses_dynamic_stack: false
    .vgpr_count:     50
    .vgpr_spill_count: 0
    .wavefront_size: 32
  - .args:
      - .offset:         0
        .size:           4
        .value_kind:     by_value
      - .offset:         4
        .size:           4
        .value_kind:     by_value
      - .address_space:  global
        .offset:         8
        .size:           8
        .value_kind:     global_buffer
      - .address_space:  global
        .offset:         16
        .size:           8
        .value_kind:     global_buffer
      - .offset:         24
        .size:           4
        .value_kind:     by_value
      - .offset:         32
        .size:           8
        .value_kind:     by_value
      - .address_space:  global
        .offset:         40
        .size:           8
        .value_kind:     global_buffer
      - .offset:         48
        .size:           4
        .value_kind:     by_value
      - .offset:         56
        .size:           8
        .value_kind:     by_value
      - .address_space:  global
        .offset:         64
        .size:           8
        .value_kind:     global_buffer
      - .address_space:  global
        .offset:         72
        .size:           8
        .value_kind:     global_buffer
      - .offset:         80
        .size:           4
        .value_kind:     by_value
      - .offset:         88
        .size:           8
        .value_kind:     by_value
      - .offset:         96
        .size:           4
        .value_kind:     by_value
    .group_segment_fixed_size: 4096
    .kernarg_segment_align: 8
    .kernarg_segment_size: 100
    .language:       OpenCL C
    .language_version:
      - 2
      - 0
    .max_flat_workgroup_size: 256
    .name:           _ZL29rocblas_internal_gemmt_kernelIiLi16ELi32ELi8ELc67ELc84ELc76ELb0ELb0EdPKdS1_PdEviT_T9_T10_S3_lS5_S3_lS4_T11_S3_li
    .private_segment_fixed_size: 0
    .sgpr_count:     38
    .sgpr_spill_count: 0
    .symbol:         _ZL29rocblas_internal_gemmt_kernelIiLi16ELi32ELi8ELc67ELc84ELc76ELb0ELb0EdPKdS1_PdEviT_T9_T10_S3_lS5_S3_lS4_T11_S3_li.kd
    .uniform_work_group_size: 1
    .uses_dynamic_stack: false
    .vgpr_count:     50
    .vgpr_spill_count: 0
    .wavefront_size: 32
  - .args:
      - .offset:         0
        .size:           4
        .value_kind:     by_value
      - .offset:         4
        .size:           4
        .value_kind:     by_value
      - .address_space:  global
        .offset:         8
        .size:           8
        .value_kind:     global_buffer
      - .address_space:  global
        .offset:         16
        .size:           8
        .value_kind:     global_buffer
      - .offset:         24
        .size:           4
        .value_kind:     by_value
      - .offset:         32
        .size:           8
        .value_kind:     by_value
      - .address_space:  global
        .offset:         40
        .size:           8
        .value_kind:     global_buffer
      - .offset:         48
        .size:           4
        .value_kind:     by_value
      - .offset:         56
        .size:           8
        .value_kind:     by_value
      - .address_space:  global
        .offset:         64
        .size:           8
        .value_kind:     global_buffer
      - .address_space:  global
        .offset:         72
        .size:           8
        .value_kind:     global_buffer
      - .offset:         80
        .size:           4
        .value_kind:     by_value
      - .offset:         88
        .size:           8
        .value_kind:     by_value
      - .offset:         96
        .size:           4
        .value_kind:     by_value
    .group_segment_fixed_size: 4096
    .kernarg_segment_align: 8
    .kernarg_segment_size: 100
    .language:       OpenCL C
    .language_version:
      - 2
      - 0
    .max_flat_workgroup_size: 256
    .name:           _ZL29rocblas_internal_gemmt_kernelIiLi16ELi32ELi8ELc67ELc67ELc76ELb0ELb0EdPKdS1_PdEviT_T9_T10_S3_lS5_S3_lS4_T11_S3_li
    .private_segment_fixed_size: 0
    .sgpr_count:     38
    .sgpr_spill_count: 0
    .symbol:         _ZL29rocblas_internal_gemmt_kernelIiLi16ELi32ELi8ELc67ELc67ELc76ELb0ELb0EdPKdS1_PdEviT_T9_T10_S3_lS5_S3_lS4_T11_S3_li.kd
    .uniform_work_group_size: 1
    .uses_dynamic_stack: false
    .vgpr_count:     50
    .vgpr_spill_count: 0
    .wavefront_size: 32
  - .args:
      - .offset:         0
        .size:           4
        .value_kind:     by_value
      - .offset:         4
        .size:           4
        .value_kind:     by_value
      - .offset:         8
        .size:           8
        .value_kind:     by_value
      - .address_space:  global
        .offset:         16
        .size:           8
        .value_kind:     global_buffer
      - .offset:         24
        .size:           4
        .value_kind:     by_value
      - .offset:         32
        .size:           8
        .value_kind:     by_value
      - .address_space:  global
        .offset:         40
        .size:           8
        .value_kind:     global_buffer
      - .offset:         48
        .size:           4
        .value_kind:     by_value
      - .offset:         56
        .size:           8
        .value_kind:     by_value
      - .offset:         64
        .size:           8
        .value_kind:     by_value
      - .address_space:  global
        .offset:         72
        .size:           8
        .value_kind:     global_buffer
      - .offset:         80
        .size:           4
        .value_kind:     by_value
      - .offset:         88
        .size:           8
        .value_kind:     by_value
      - .offset:         96
        .size:           4
        .value_kind:     by_value
    .group_segment_fixed_size: 4096
    .kernarg_segment_align: 8
    .kernarg_segment_size: 100
    .language:       OpenCL C
    .language_version:
      - 2
      - 0
    .max_flat_workgroup_size: 256
    .name:           _ZL29rocblas_internal_gemmt_kernelIiLi16ELi32ELi8ELc78ELc78ELc85ELb0ELb0EddPKdPdEviT_T9_T10_S3_lS5_S3_lS4_T11_S3_li
    .private_segment_fixed_size: 0
    .sgpr_count:     36
    .sgpr_spill_count: 0
    .symbol:         _ZL29rocblas_internal_gemmt_kernelIiLi16ELi32ELi8ELc78ELc78ELc85ELb0ELb0EddPKdPdEviT_T9_T10_S3_lS5_S3_lS4_T11_S3_li.kd
    .uniform_work_group_size: 1
    .uses_dynamic_stack: false
    .vgpr_count:     52
    .vgpr_spill_count: 0
    .wavefront_size: 32
  - .args:
      - .offset:         0
        .size:           4
        .value_kind:     by_value
      - .offset:         4
        .size:           4
        .value_kind:     by_value
      - .offset:         8
        .size:           8
        .value_kind:     by_value
      - .address_space:  global
        .offset:         16
        .size:           8
        .value_kind:     global_buffer
      - .offset:         24
        .size:           4
        .value_kind:     by_value
      - .offset:         32
        .size:           8
        .value_kind:     by_value
      - .address_space:  global
        .offset:         40
        .size:           8
        .value_kind:     global_buffer
      - .offset:         48
        .size:           4
        .value_kind:     by_value
      - .offset:         56
        .size:           8
        .value_kind:     by_value
      - .offset:         64
        .size:           8
        .value_kind:     by_value
      - .address_space:  global
        .offset:         72
        .size:           8
        .value_kind:     global_buffer
      - .offset:         80
        .size:           4
        .value_kind:     by_value
      - .offset:         88
        .size:           8
        .value_kind:     by_value
      - .offset:         96
        .size:           4
        .value_kind:     by_value
    .group_segment_fixed_size: 4096
    .kernarg_segment_align: 8
    .kernarg_segment_size: 100
    .language:       OpenCL C
    .language_version:
      - 2
      - 0
    .max_flat_workgroup_size: 256
    .name:           _ZL29rocblas_internal_gemmt_kernelIiLi16ELi32ELi8ELc78ELc84ELc85ELb0ELb0EddPKdPdEviT_T9_T10_S3_lS5_S3_lS4_T11_S3_li
    .private_segment_fixed_size: 0
    .sgpr_count:     38
    .sgpr_spill_count: 0
    .symbol:         _ZL29rocblas_internal_gemmt_kernelIiLi16ELi32ELi8ELc78ELc84ELc85ELb0ELb0EddPKdPdEviT_T9_T10_S3_lS5_S3_lS4_T11_S3_li.kd
    .uniform_work_group_size: 1
    .uses_dynamic_stack: false
    .vgpr_count:     50
    .vgpr_spill_count: 0
    .wavefront_size: 32
  - .args:
      - .offset:         0
        .size:           4
        .value_kind:     by_value
      - .offset:         4
        .size:           4
        .value_kind:     by_value
      - .offset:         8
        .size:           8
        .value_kind:     by_value
      - .address_space:  global
        .offset:         16
        .size:           8
        .value_kind:     global_buffer
      - .offset:         24
        .size:           4
        .value_kind:     by_value
      - .offset:         32
        .size:           8
        .value_kind:     by_value
      - .address_space:  global
        .offset:         40
        .size:           8
        .value_kind:     global_buffer
      - .offset:         48
        .size:           4
        .value_kind:     by_value
      - .offset:         56
        .size:           8
        .value_kind:     by_value
      - .offset:         64
        .size:           8
        .value_kind:     by_value
      - .address_space:  global
        .offset:         72
        .size:           8
        .value_kind:     global_buffer
      - .offset:         80
        .size:           4
        .value_kind:     by_value
      - .offset:         88
        .size:           8
        .value_kind:     by_value
      - .offset:         96
        .size:           4
        .value_kind:     by_value
    .group_segment_fixed_size: 4096
    .kernarg_segment_align: 8
    .kernarg_segment_size: 100
    .language:       OpenCL C
    .language_version:
      - 2
      - 0
    .max_flat_workgroup_size: 256
    .name:           _ZL29rocblas_internal_gemmt_kernelIiLi16ELi32ELi8ELc78ELc67ELc85ELb0ELb0EddPKdPdEviT_T9_T10_S3_lS5_S3_lS4_T11_S3_li
    .private_segment_fixed_size: 0
    .sgpr_count:     38
    .sgpr_spill_count: 0
    .symbol:         _ZL29rocblas_internal_gemmt_kernelIiLi16ELi32ELi8ELc78ELc67ELc85ELb0ELb0EddPKdPdEviT_T9_T10_S3_lS5_S3_lS4_T11_S3_li.kd
    .uniform_work_group_size: 1
    .uses_dynamic_stack: false
    .vgpr_count:     50
    .vgpr_spill_count: 0
    .wavefront_size: 32
  - .args:
      - .offset:         0
        .size:           4
        .value_kind:     by_value
      - .offset:         4
        .size:           4
        .value_kind:     by_value
      - .offset:         8
        .size:           8
        .value_kind:     by_value
      - .address_space:  global
        .offset:         16
        .size:           8
        .value_kind:     global_buffer
      - .offset:         24
        .size:           4
        .value_kind:     by_value
      - .offset:         32
        .size:           8
        .value_kind:     by_value
      - .address_space:  global
        .offset:         40
        .size:           8
        .value_kind:     global_buffer
      - .offset:         48
        .size:           4
        .value_kind:     by_value
      - .offset:         56
        .size:           8
        .value_kind:     by_value
      - .offset:         64
        .size:           8
        .value_kind:     by_value
      - .address_space:  global
        .offset:         72
        .size:           8
        .value_kind:     global_buffer
      - .offset:         80
        .size:           4
        .value_kind:     by_value
      - .offset:         88
        .size:           8
        .value_kind:     by_value
      - .offset:         96
        .size:           4
        .value_kind:     by_value
    .group_segment_fixed_size: 4096
    .kernarg_segment_align: 8
    .kernarg_segment_size: 100
    .language:       OpenCL C
    .language_version:
      - 2
      - 0
    .max_flat_workgroup_size: 256
    .name:           _ZL29rocblas_internal_gemmt_kernelIiLi16ELi32ELi8ELc84ELc78ELc85ELb0ELb0EddPKdPdEviT_T9_T10_S3_lS5_S3_lS4_T11_S3_li
    .private_segment_fixed_size: 0
    .sgpr_count:     36
    .sgpr_spill_count: 0
    .symbol:         _ZL29rocblas_internal_gemmt_kernelIiLi16ELi32ELi8ELc84ELc78ELc85ELb0ELb0EddPKdPdEviT_T9_T10_S3_lS5_S3_lS4_T11_S3_li.kd
    .uniform_work_group_size: 1
    .uses_dynamic_stack: false
    .vgpr_count:     50
    .vgpr_spill_count: 0
    .wavefront_size: 32
  - .args:
      - .offset:         0
        .size:           4
        .value_kind:     by_value
      - .offset:         4
        .size:           4
        .value_kind:     by_value
      - .offset:         8
        .size:           8
        .value_kind:     by_value
      - .address_space:  global
        .offset:         16
        .size:           8
        .value_kind:     global_buffer
      - .offset:         24
        .size:           4
        .value_kind:     by_value
      - .offset:         32
        .size:           8
        .value_kind:     by_value
      - .address_space:  global
        .offset:         40
        .size:           8
        .value_kind:     global_buffer
      - .offset:         48
        .size:           4
        .value_kind:     by_value
      - .offset:         56
        .size:           8
        .value_kind:     by_value
      - .offset:         64
        .size:           8
        .value_kind:     by_value
      - .address_space:  global
        .offset:         72
        .size:           8
        .value_kind:     global_buffer
      - .offset:         80
        .size:           4
        .value_kind:     by_value
      - .offset:         88
        .size:           8
        .value_kind:     by_value
      - .offset:         96
        .size:           4
        .value_kind:     by_value
    .group_segment_fixed_size: 4096
    .kernarg_segment_align: 8
    .kernarg_segment_size: 100
    .language:       OpenCL C
    .language_version:
      - 2
      - 0
    .max_flat_workgroup_size: 256
    .name:           _ZL29rocblas_internal_gemmt_kernelIiLi16ELi32ELi8ELc84ELc84ELc85ELb0ELb0EddPKdPdEviT_T9_T10_S3_lS5_S3_lS4_T11_S3_li
    .private_segment_fixed_size: 0
    .sgpr_count:     36
    .sgpr_spill_count: 0
    .symbol:         _ZL29rocblas_internal_gemmt_kernelIiLi16ELi32ELi8ELc84ELc84ELc85ELb0ELb0EddPKdPdEviT_T9_T10_S3_lS5_S3_lS4_T11_S3_li.kd
    .uniform_work_group_size: 1
    .uses_dynamic_stack: false
    .vgpr_count:     50
    .vgpr_spill_count: 0
    .wavefront_size: 32
  - .args:
      - .offset:         0
        .size:           4
        .value_kind:     by_value
      - .offset:         4
        .size:           4
        .value_kind:     by_value
      - .offset:         8
        .size:           8
        .value_kind:     by_value
      - .address_space:  global
        .offset:         16
        .size:           8
        .value_kind:     global_buffer
      - .offset:         24
        .size:           4
        .value_kind:     by_value
      - .offset:         32
        .size:           8
        .value_kind:     by_value
      - .address_space:  global
        .offset:         40
        .size:           8
        .value_kind:     global_buffer
      - .offset:         48
        .size:           4
        .value_kind:     by_value
      - .offset:         56
        .size:           8
        .value_kind:     by_value
      - .offset:         64
        .size:           8
        .value_kind:     by_value
      - .address_space:  global
        .offset:         72
        .size:           8
        .value_kind:     global_buffer
      - .offset:         80
        .size:           4
        .value_kind:     by_value
      - .offset:         88
        .size:           8
        .value_kind:     by_value
      - .offset:         96
        .size:           4
        .value_kind:     by_value
    .group_segment_fixed_size: 4096
    .kernarg_segment_align: 8
    .kernarg_segment_size: 100
    .language:       OpenCL C
    .language_version:
      - 2
      - 0
    .max_flat_workgroup_size: 256
    .name:           _ZL29rocblas_internal_gemmt_kernelIiLi16ELi32ELi8ELc84ELc67ELc85ELb0ELb0EddPKdPdEviT_T9_T10_S3_lS5_S3_lS4_T11_S3_li
    .private_segment_fixed_size: 0
    .sgpr_count:     36
    .sgpr_spill_count: 0
    .symbol:         _ZL29rocblas_internal_gemmt_kernelIiLi16ELi32ELi8ELc84ELc67ELc85ELb0ELb0EddPKdPdEviT_T9_T10_S3_lS5_S3_lS4_T11_S3_li.kd
    .uniform_work_group_size: 1
    .uses_dynamic_stack: false
    .vgpr_count:     50
    .vgpr_spill_count: 0
    .wavefront_size: 32
  - .args:
      - .offset:         0
        .size:           4
        .value_kind:     by_value
      - .offset:         4
        .size:           4
        .value_kind:     by_value
      - .offset:         8
        .size:           8
        .value_kind:     by_value
      - .address_space:  global
        .offset:         16
        .size:           8
        .value_kind:     global_buffer
      - .offset:         24
        .size:           4
        .value_kind:     by_value
      - .offset:         32
        .size:           8
        .value_kind:     by_value
      - .address_space:  global
        .offset:         40
        .size:           8
        .value_kind:     global_buffer
      - .offset:         48
        .size:           4
        .value_kind:     by_value
      - .offset:         56
        .size:           8
        .value_kind:     by_value
      - .offset:         64
        .size:           8
        .value_kind:     by_value
      - .address_space:  global
        .offset:         72
        .size:           8
        .value_kind:     global_buffer
      - .offset:         80
        .size:           4
        .value_kind:     by_value
      - .offset:         88
        .size:           8
        .value_kind:     by_value
      - .offset:         96
        .size:           4
        .value_kind:     by_value
    .group_segment_fixed_size: 4096
    .kernarg_segment_align: 8
    .kernarg_segment_size: 100
    .language:       OpenCL C
    .language_version:
      - 2
      - 0
    .max_flat_workgroup_size: 256
    .name:           _ZL29rocblas_internal_gemmt_kernelIiLi16ELi32ELi8ELc67ELc78ELc85ELb0ELb0EddPKdPdEviT_T9_T10_S3_lS5_S3_lS4_T11_S3_li
    .private_segment_fixed_size: 0
    .sgpr_count:     36
    .sgpr_spill_count: 0
    .symbol:         _ZL29rocblas_internal_gemmt_kernelIiLi16ELi32ELi8ELc67ELc78ELc85ELb0ELb0EddPKdPdEviT_T9_T10_S3_lS5_S3_lS4_T11_S3_li.kd
    .uniform_work_group_size: 1
    .uses_dynamic_stack: false
    .vgpr_count:     50
    .vgpr_spill_count: 0
    .wavefront_size: 32
  - .args:
      - .offset:         0
        .size:           4
        .value_kind:     by_value
      - .offset:         4
        .size:           4
        .value_kind:     by_value
      - .offset:         8
        .size:           8
        .value_kind:     by_value
      - .address_space:  global
        .offset:         16
        .size:           8
        .value_kind:     global_buffer
      - .offset:         24
        .size:           4
        .value_kind:     by_value
      - .offset:         32
        .size:           8
        .value_kind:     by_value
      - .address_space:  global
        .offset:         40
        .size:           8
        .value_kind:     global_buffer
      - .offset:         48
        .size:           4
        .value_kind:     by_value
      - .offset:         56
        .size:           8
        .value_kind:     by_value
      - .offset:         64
        .size:           8
        .value_kind:     by_value
      - .address_space:  global
        .offset:         72
        .size:           8
        .value_kind:     global_buffer
      - .offset:         80
        .size:           4
        .value_kind:     by_value
      - .offset:         88
        .size:           8
        .value_kind:     by_value
      - .offset:         96
        .size:           4
        .value_kind:     by_value
    .group_segment_fixed_size: 4096
    .kernarg_segment_align: 8
    .kernarg_segment_size: 100
    .language:       OpenCL C
    .language_version:
      - 2
      - 0
    .max_flat_workgroup_size: 256
    .name:           _ZL29rocblas_internal_gemmt_kernelIiLi16ELi32ELi8ELc67ELc84ELc85ELb0ELb0EddPKdPdEviT_T9_T10_S3_lS5_S3_lS4_T11_S3_li
    .private_segment_fixed_size: 0
    .sgpr_count:     36
    .sgpr_spill_count: 0
    .symbol:         _ZL29rocblas_internal_gemmt_kernelIiLi16ELi32ELi8ELc67ELc84ELc85ELb0ELb0EddPKdPdEviT_T9_T10_S3_lS5_S3_lS4_T11_S3_li.kd
    .uniform_work_group_size: 1
    .uses_dynamic_stack: false
    .vgpr_count:     50
    .vgpr_spill_count: 0
    .wavefront_size: 32
  - .args:
      - .offset:         0
        .size:           4
        .value_kind:     by_value
      - .offset:         4
        .size:           4
        .value_kind:     by_value
      - .offset:         8
        .size:           8
        .value_kind:     by_value
      - .address_space:  global
        .offset:         16
        .size:           8
        .value_kind:     global_buffer
      - .offset:         24
        .size:           4
        .value_kind:     by_value
      - .offset:         32
        .size:           8
        .value_kind:     by_value
      - .address_space:  global
        .offset:         40
        .size:           8
        .value_kind:     global_buffer
      - .offset:         48
        .size:           4
        .value_kind:     by_value
      - .offset:         56
        .size:           8
        .value_kind:     by_value
      - .offset:         64
        .size:           8
        .value_kind:     by_value
      - .address_space:  global
        .offset:         72
        .size:           8
        .value_kind:     global_buffer
      - .offset:         80
        .size:           4
        .value_kind:     by_value
      - .offset:         88
        .size:           8
        .value_kind:     by_value
      - .offset:         96
        .size:           4
        .value_kind:     by_value
    .group_segment_fixed_size: 4096
    .kernarg_segment_align: 8
    .kernarg_segment_size: 100
    .language:       OpenCL C
    .language_version:
      - 2
      - 0
    .max_flat_workgroup_size: 256
    .name:           _ZL29rocblas_internal_gemmt_kernelIiLi16ELi32ELi8ELc67ELc67ELc85ELb0ELb0EddPKdPdEviT_T9_T10_S3_lS5_S3_lS4_T11_S3_li
    .private_segment_fixed_size: 0
    .sgpr_count:     36
    .sgpr_spill_count: 0
    .symbol:         _ZL29rocblas_internal_gemmt_kernelIiLi16ELi32ELi8ELc67ELc67ELc85ELb0ELb0EddPKdPdEviT_T9_T10_S3_lS5_S3_lS4_T11_S3_li.kd
    .uniform_work_group_size: 1
    .uses_dynamic_stack: false
    .vgpr_count:     50
    .vgpr_spill_count: 0
    .wavefront_size: 32
  - .args:
      - .offset:         0
        .size:           4
        .value_kind:     by_value
      - .offset:         4
        .size:           4
        .value_kind:     by_value
      - .offset:         8
        .size:           8
        .value_kind:     by_value
      - .address_space:  global
        .offset:         16
        .size:           8
        .value_kind:     global_buffer
      - .offset:         24
        .size:           4
        .value_kind:     by_value
      - .offset:         32
        .size:           8
        .value_kind:     by_value
      - .address_space:  global
        .offset:         40
        .size:           8
        .value_kind:     global_buffer
      - .offset:         48
        .size:           4
        .value_kind:     by_value
      - .offset:         56
        .size:           8
        .value_kind:     by_value
      - .offset:         64
        .size:           8
        .value_kind:     by_value
      - .address_space:  global
        .offset:         72
        .size:           8
        .value_kind:     global_buffer
      - .offset:         80
        .size:           4
        .value_kind:     by_value
      - .offset:         88
        .size:           8
        .value_kind:     by_value
      - .offset:         96
        .size:           4
        .value_kind:     by_value
    .group_segment_fixed_size: 4096
    .kernarg_segment_align: 8
    .kernarg_segment_size: 100
    .language:       OpenCL C
    .language_version:
      - 2
      - 0
    .max_flat_workgroup_size: 256
    .name:           _ZL29rocblas_internal_gemmt_kernelIiLi16ELi32ELi8ELc78ELc78ELc76ELb0ELb0EddPKdPdEviT_T9_T10_S3_lS5_S3_lS4_T11_S3_li
    .private_segment_fixed_size: 0
    .sgpr_count:     36
    .sgpr_spill_count: 0
    .symbol:         _ZL29rocblas_internal_gemmt_kernelIiLi16ELi32ELi8ELc78ELc78ELc76ELb0ELb0EddPKdPdEviT_T9_T10_S3_lS5_S3_lS4_T11_S3_li.kd
    .uniform_work_group_size: 1
    .uses_dynamic_stack: false
    .vgpr_count:     52
    .vgpr_spill_count: 0
    .wavefront_size: 32
  - .args:
      - .offset:         0
        .size:           4
        .value_kind:     by_value
      - .offset:         4
        .size:           4
        .value_kind:     by_value
      - .offset:         8
        .size:           8
        .value_kind:     by_value
      - .address_space:  global
        .offset:         16
        .size:           8
        .value_kind:     global_buffer
      - .offset:         24
        .size:           4
        .value_kind:     by_value
      - .offset:         32
        .size:           8
        .value_kind:     by_value
      - .address_space:  global
        .offset:         40
        .size:           8
        .value_kind:     global_buffer
      - .offset:         48
        .size:           4
        .value_kind:     by_value
      - .offset:         56
        .size:           8
        .value_kind:     by_value
      - .offset:         64
        .size:           8
        .value_kind:     by_value
      - .address_space:  global
        .offset:         72
        .size:           8
        .value_kind:     global_buffer
      - .offset:         80
        .size:           4
        .value_kind:     by_value
      - .offset:         88
        .size:           8
        .value_kind:     by_value
      - .offset:         96
        .size:           4
        .value_kind:     by_value
    .group_segment_fixed_size: 4096
    .kernarg_segment_align: 8
    .kernarg_segment_size: 100
    .language:       OpenCL C
    .language_version:
      - 2
      - 0
    .max_flat_workgroup_size: 256
    .name:           _ZL29rocblas_internal_gemmt_kernelIiLi16ELi32ELi8ELc78ELc84ELc76ELb0ELb0EddPKdPdEviT_T9_T10_S3_lS5_S3_lS4_T11_S3_li
    .private_segment_fixed_size: 0
    .sgpr_count:     38
    .sgpr_spill_count: 0
    .symbol:         _ZL29rocblas_internal_gemmt_kernelIiLi16ELi32ELi8ELc78ELc84ELc76ELb0ELb0EddPKdPdEviT_T9_T10_S3_lS5_S3_lS4_T11_S3_li.kd
    .uniform_work_group_size: 1
    .uses_dynamic_stack: false
    .vgpr_count:     50
    .vgpr_spill_count: 0
    .wavefront_size: 32
  - .args:
      - .offset:         0
        .size:           4
        .value_kind:     by_value
      - .offset:         4
        .size:           4
        .value_kind:     by_value
      - .offset:         8
        .size:           8
        .value_kind:     by_value
      - .address_space:  global
        .offset:         16
        .size:           8
        .value_kind:     global_buffer
      - .offset:         24
        .size:           4
        .value_kind:     by_value
      - .offset:         32
        .size:           8
        .value_kind:     by_value
      - .address_space:  global
        .offset:         40
        .size:           8
        .value_kind:     global_buffer
      - .offset:         48
        .size:           4
        .value_kind:     by_value
      - .offset:         56
        .size:           8
        .value_kind:     by_value
      - .offset:         64
        .size:           8
        .value_kind:     by_value
      - .address_space:  global
        .offset:         72
        .size:           8
        .value_kind:     global_buffer
      - .offset:         80
        .size:           4
        .value_kind:     by_value
      - .offset:         88
        .size:           8
        .value_kind:     by_value
      - .offset:         96
        .size:           4
        .value_kind:     by_value
    .group_segment_fixed_size: 4096
    .kernarg_segment_align: 8
    .kernarg_segment_size: 100
    .language:       OpenCL C
    .language_version:
      - 2
      - 0
    .max_flat_workgroup_size: 256
    .name:           _ZL29rocblas_internal_gemmt_kernelIiLi16ELi32ELi8ELc78ELc67ELc76ELb0ELb0EddPKdPdEviT_T9_T10_S3_lS5_S3_lS4_T11_S3_li
    .private_segment_fixed_size: 0
    .sgpr_count:     38
    .sgpr_spill_count: 0
    .symbol:         _ZL29rocblas_internal_gemmt_kernelIiLi16ELi32ELi8ELc78ELc67ELc76ELb0ELb0EddPKdPdEviT_T9_T10_S3_lS5_S3_lS4_T11_S3_li.kd
    .uniform_work_group_size: 1
    .uses_dynamic_stack: false
    .vgpr_count:     50
    .vgpr_spill_count: 0
    .wavefront_size: 32
  - .args:
      - .offset:         0
        .size:           4
        .value_kind:     by_value
      - .offset:         4
        .size:           4
        .value_kind:     by_value
      - .offset:         8
        .size:           8
        .value_kind:     by_value
      - .address_space:  global
        .offset:         16
        .size:           8
        .value_kind:     global_buffer
      - .offset:         24
        .size:           4
        .value_kind:     by_value
      - .offset:         32
        .size:           8
        .value_kind:     by_value
      - .address_space:  global
        .offset:         40
        .size:           8
        .value_kind:     global_buffer
      - .offset:         48
        .size:           4
        .value_kind:     by_value
      - .offset:         56
        .size:           8
        .value_kind:     by_value
      - .offset:         64
        .size:           8
        .value_kind:     by_value
      - .address_space:  global
        .offset:         72
        .size:           8
        .value_kind:     global_buffer
      - .offset:         80
        .size:           4
        .value_kind:     by_value
      - .offset:         88
        .size:           8
        .value_kind:     by_value
      - .offset:         96
        .size:           4
        .value_kind:     by_value
    .group_segment_fixed_size: 4096
    .kernarg_segment_align: 8
    .kernarg_segment_size: 100
    .language:       OpenCL C
    .language_version:
      - 2
      - 0
    .max_flat_workgroup_size: 256
    .name:           _ZL29rocblas_internal_gemmt_kernelIiLi16ELi32ELi8ELc84ELc78ELc76ELb0ELb0EddPKdPdEviT_T9_T10_S3_lS5_S3_lS4_T11_S3_li
    .private_segment_fixed_size: 0
    .sgpr_count:     36
    .sgpr_spill_count: 0
    .symbol:         _ZL29rocblas_internal_gemmt_kernelIiLi16ELi32ELi8ELc84ELc78ELc76ELb0ELb0EddPKdPdEviT_T9_T10_S3_lS5_S3_lS4_T11_S3_li.kd
    .uniform_work_group_size: 1
    .uses_dynamic_stack: false
    .vgpr_count:     50
    .vgpr_spill_count: 0
    .wavefront_size: 32
  - .args:
      - .offset:         0
        .size:           4
        .value_kind:     by_value
      - .offset:         4
        .size:           4
        .value_kind:     by_value
      - .offset:         8
        .size:           8
        .value_kind:     by_value
      - .address_space:  global
        .offset:         16
        .size:           8
        .value_kind:     global_buffer
      - .offset:         24
        .size:           4
        .value_kind:     by_value
      - .offset:         32
        .size:           8
        .value_kind:     by_value
      - .address_space:  global
        .offset:         40
        .size:           8
        .value_kind:     global_buffer
      - .offset:         48
        .size:           4
        .value_kind:     by_value
      - .offset:         56
        .size:           8
        .value_kind:     by_value
      - .offset:         64
        .size:           8
        .value_kind:     by_value
      - .address_space:  global
        .offset:         72
        .size:           8
        .value_kind:     global_buffer
      - .offset:         80
        .size:           4
        .value_kind:     by_value
      - .offset:         88
        .size:           8
        .value_kind:     by_value
      - .offset:         96
        .size:           4
        .value_kind:     by_value
    .group_segment_fixed_size: 4096
    .kernarg_segment_align: 8
    .kernarg_segment_size: 100
    .language:       OpenCL C
    .language_version:
      - 2
      - 0
    .max_flat_workgroup_size: 256
    .name:           _ZL29rocblas_internal_gemmt_kernelIiLi16ELi32ELi8ELc84ELc84ELc76ELb0ELb0EddPKdPdEviT_T9_T10_S3_lS5_S3_lS4_T11_S3_li
    .private_segment_fixed_size: 0
    .sgpr_count:     36
    .sgpr_spill_count: 0
    .symbol:         _ZL29rocblas_internal_gemmt_kernelIiLi16ELi32ELi8ELc84ELc84ELc76ELb0ELb0EddPKdPdEviT_T9_T10_S3_lS5_S3_lS4_T11_S3_li.kd
    .uniform_work_group_size: 1
    .uses_dynamic_stack: false
    .vgpr_count:     50
    .vgpr_spill_count: 0
    .wavefront_size: 32
  - .args:
      - .offset:         0
        .size:           4
        .value_kind:     by_value
      - .offset:         4
        .size:           4
        .value_kind:     by_value
      - .offset:         8
        .size:           8
        .value_kind:     by_value
      - .address_space:  global
        .offset:         16
        .size:           8
        .value_kind:     global_buffer
      - .offset:         24
        .size:           4
        .value_kind:     by_value
      - .offset:         32
        .size:           8
        .value_kind:     by_value
      - .address_space:  global
        .offset:         40
        .size:           8
        .value_kind:     global_buffer
      - .offset:         48
        .size:           4
        .value_kind:     by_value
      - .offset:         56
        .size:           8
        .value_kind:     by_value
      - .offset:         64
        .size:           8
        .value_kind:     by_value
      - .address_space:  global
        .offset:         72
        .size:           8
        .value_kind:     global_buffer
      - .offset:         80
        .size:           4
        .value_kind:     by_value
      - .offset:         88
        .size:           8
        .value_kind:     by_value
      - .offset:         96
        .size:           4
        .value_kind:     by_value
    .group_segment_fixed_size: 4096
    .kernarg_segment_align: 8
    .kernarg_segment_size: 100
    .language:       OpenCL C
    .language_version:
      - 2
      - 0
    .max_flat_workgroup_size: 256
    .name:           _ZL29rocblas_internal_gemmt_kernelIiLi16ELi32ELi8ELc84ELc67ELc76ELb0ELb0EddPKdPdEviT_T9_T10_S3_lS5_S3_lS4_T11_S3_li
    .private_segment_fixed_size: 0
    .sgpr_count:     36
    .sgpr_spill_count: 0
    .symbol:         _ZL29rocblas_internal_gemmt_kernelIiLi16ELi32ELi8ELc84ELc67ELc76ELb0ELb0EddPKdPdEviT_T9_T10_S3_lS5_S3_lS4_T11_S3_li.kd
    .uniform_work_group_size: 1
    .uses_dynamic_stack: false
    .vgpr_count:     50
    .vgpr_spill_count: 0
    .wavefront_size: 32
  - .args:
      - .offset:         0
        .size:           4
        .value_kind:     by_value
      - .offset:         4
        .size:           4
        .value_kind:     by_value
      - .offset:         8
        .size:           8
        .value_kind:     by_value
      - .address_space:  global
        .offset:         16
        .size:           8
        .value_kind:     global_buffer
      - .offset:         24
        .size:           4
        .value_kind:     by_value
      - .offset:         32
        .size:           8
        .value_kind:     by_value
      - .address_space:  global
        .offset:         40
        .size:           8
        .value_kind:     global_buffer
      - .offset:         48
        .size:           4
        .value_kind:     by_value
      - .offset:         56
        .size:           8
        .value_kind:     by_value
      - .offset:         64
        .size:           8
        .value_kind:     by_value
      - .address_space:  global
        .offset:         72
        .size:           8
        .value_kind:     global_buffer
      - .offset:         80
        .size:           4
        .value_kind:     by_value
      - .offset:         88
        .size:           8
        .value_kind:     by_value
      - .offset:         96
        .size:           4
        .value_kind:     by_value
    .group_segment_fixed_size: 4096
    .kernarg_segment_align: 8
    .kernarg_segment_size: 100
    .language:       OpenCL C
    .language_version:
      - 2
      - 0
    .max_flat_workgroup_size: 256
    .name:           _ZL29rocblas_internal_gemmt_kernelIiLi16ELi32ELi8ELc67ELc78ELc76ELb0ELb0EddPKdPdEviT_T9_T10_S3_lS5_S3_lS4_T11_S3_li
    .private_segment_fixed_size: 0
    .sgpr_count:     36
    .sgpr_spill_count: 0
    .symbol:         _ZL29rocblas_internal_gemmt_kernelIiLi16ELi32ELi8ELc67ELc78ELc76ELb0ELb0EddPKdPdEviT_T9_T10_S3_lS5_S3_lS4_T11_S3_li.kd
    .uniform_work_group_size: 1
    .uses_dynamic_stack: false
    .vgpr_count:     50
    .vgpr_spill_count: 0
    .wavefront_size: 32
  - .args:
      - .offset:         0
        .size:           4
        .value_kind:     by_value
      - .offset:         4
        .size:           4
        .value_kind:     by_value
      - .offset:         8
        .size:           8
        .value_kind:     by_value
      - .address_space:  global
        .offset:         16
        .size:           8
        .value_kind:     global_buffer
      - .offset:         24
        .size:           4
        .value_kind:     by_value
      - .offset:         32
        .size:           8
        .value_kind:     by_value
      - .address_space:  global
        .offset:         40
        .size:           8
        .value_kind:     global_buffer
      - .offset:         48
        .size:           4
        .value_kind:     by_value
      - .offset:         56
        .size:           8
        .value_kind:     by_value
      - .offset:         64
        .size:           8
        .value_kind:     by_value
      - .address_space:  global
        .offset:         72
        .size:           8
        .value_kind:     global_buffer
      - .offset:         80
        .size:           4
        .value_kind:     by_value
      - .offset:         88
        .size:           8
        .value_kind:     by_value
      - .offset:         96
        .size:           4
        .value_kind:     by_value
    .group_segment_fixed_size: 4096
    .kernarg_segment_align: 8
    .kernarg_segment_size: 100
    .language:       OpenCL C
    .language_version:
      - 2
      - 0
    .max_flat_workgroup_size: 256
    .name:           _ZL29rocblas_internal_gemmt_kernelIiLi16ELi32ELi8ELc67ELc84ELc76ELb0ELb0EddPKdPdEviT_T9_T10_S3_lS5_S3_lS4_T11_S3_li
    .private_segment_fixed_size: 0
    .sgpr_count:     36
    .sgpr_spill_count: 0
    .symbol:         _ZL29rocblas_internal_gemmt_kernelIiLi16ELi32ELi8ELc67ELc84ELc76ELb0ELb0EddPKdPdEviT_T9_T10_S3_lS5_S3_lS4_T11_S3_li.kd
    .uniform_work_group_size: 1
    .uses_dynamic_stack: false
    .vgpr_count:     50
    .vgpr_spill_count: 0
    .wavefront_size: 32
  - .args:
      - .offset:         0
        .size:           4
        .value_kind:     by_value
      - .offset:         4
        .size:           4
        .value_kind:     by_value
      - .offset:         8
        .size:           8
        .value_kind:     by_value
      - .address_space:  global
        .offset:         16
        .size:           8
        .value_kind:     global_buffer
      - .offset:         24
        .size:           4
        .value_kind:     by_value
      - .offset:         32
        .size:           8
        .value_kind:     by_value
      - .address_space:  global
        .offset:         40
        .size:           8
        .value_kind:     global_buffer
      - .offset:         48
        .size:           4
        .value_kind:     by_value
      - .offset:         56
        .size:           8
        .value_kind:     by_value
      - .offset:         64
        .size:           8
        .value_kind:     by_value
      - .address_space:  global
        .offset:         72
        .size:           8
        .value_kind:     global_buffer
      - .offset:         80
        .size:           4
        .value_kind:     by_value
      - .offset:         88
        .size:           8
        .value_kind:     by_value
      - .offset:         96
        .size:           4
        .value_kind:     by_value
    .group_segment_fixed_size: 4096
    .kernarg_segment_align: 8
    .kernarg_segment_size: 100
    .language:       OpenCL C
    .language_version:
      - 2
      - 0
    .max_flat_workgroup_size: 256
    .name:           _ZL29rocblas_internal_gemmt_kernelIiLi16ELi32ELi8ELc67ELc67ELc76ELb0ELb0EddPKdPdEviT_T9_T10_S3_lS5_S3_lS4_T11_S3_li
    .private_segment_fixed_size: 0
    .sgpr_count:     36
    .sgpr_spill_count: 0
    .symbol:         _ZL29rocblas_internal_gemmt_kernelIiLi16ELi32ELi8ELc67ELc67ELc76ELb0ELb0EddPKdPdEviT_T9_T10_S3_lS5_S3_lS4_T11_S3_li.kd
    .uniform_work_group_size: 1
    .uses_dynamic_stack: false
    .vgpr_count:     50
    .vgpr_spill_count: 0
    .wavefront_size: 32
  - .args:
      - .offset:         0
        .size:           4
        .value_kind:     by_value
      - .offset:         4
        .size:           4
        .value_kind:     by_value
      - .address_space:  global
        .offset:         8
        .size:           8
        .value_kind:     global_buffer
      - .address_space:  global
        .offset:         16
        .size:           8
        .value_kind:     global_buffer
      - .offset:         24
        .size:           4
        .value_kind:     by_value
      - .offset:         32
        .size:           8
        .value_kind:     by_value
      - .address_space:  global
        .offset:         40
        .size:           8
        .value_kind:     global_buffer
      - .offset:         48
        .size:           4
        .value_kind:     by_value
      - .offset:         56
        .size:           8
        .value_kind:     by_value
      - .address_space:  global
        .offset:         64
        .size:           8
        .value_kind:     global_buffer
      - .address_space:  global
        .offset:         72
        .size:           8
        .value_kind:     global_buffer
      - .offset:         80
        .size:           4
        .value_kind:     by_value
      - .offset:         88
        .size:           8
        .value_kind:     by_value
      - .offset:         96
        .size:           4
        .value_kind:     by_value
    .group_segment_fixed_size: 4096
    .kernarg_segment_align: 8
    .kernarg_segment_size: 100
    .language:       OpenCL C
    .language_version:
      - 2
      - 0
    .max_flat_workgroup_size: 256
    .name:           _ZL29rocblas_internal_gemmt_kernelIiLi16ELi32ELi8ELc78ELc78ELc85ELb0ELb0E19rocblas_complex_numIfEPKS1_S3_PS1_EviT_T9_T10_S5_lS7_S5_lS6_T11_S5_li
    .private_segment_fixed_size: 0
    .sgpr_count:     38
    .sgpr_spill_count: 0
    .symbol:         _ZL29rocblas_internal_gemmt_kernelIiLi16ELi32ELi8ELc78ELc78ELc85ELb0ELb0E19rocblas_complex_numIfEPKS1_S3_PS1_EviT_T9_T10_S5_lS7_S5_lS6_T11_S5_li.kd
    .uniform_work_group_size: 1
    .uses_dynamic_stack: false
    .vgpr_count:     56
    .vgpr_spill_count: 0
    .wavefront_size: 32
  - .args:
      - .offset:         0
        .size:           4
        .value_kind:     by_value
      - .offset:         4
        .size:           4
        .value_kind:     by_value
      - .address_space:  global
        .offset:         8
        .size:           8
        .value_kind:     global_buffer
      - .address_space:  global
        .offset:         16
        .size:           8
        .value_kind:     global_buffer
      - .offset:         24
        .size:           4
        .value_kind:     by_value
      - .offset:         32
        .size:           8
        .value_kind:     by_value
      - .address_space:  global
        .offset:         40
        .size:           8
        .value_kind:     global_buffer
      - .offset:         48
        .size:           4
        .value_kind:     by_value
      - .offset:         56
        .size:           8
        .value_kind:     by_value
      - .address_space:  global
        .offset:         64
        .size:           8
        .value_kind:     global_buffer
      - .address_space:  global
        .offset:         72
        .size:           8
        .value_kind:     global_buffer
      - .offset:         80
        .size:           4
        .value_kind:     by_value
      - .offset:         88
        .size:           8
        .value_kind:     by_value
      - .offset:         96
        .size:           4
        .value_kind:     by_value
    .group_segment_fixed_size: 4096
    .kernarg_segment_align: 8
    .kernarg_segment_size: 100
    .language:       OpenCL C
    .language_version:
      - 2
      - 0
    .max_flat_workgroup_size: 256
    .name:           _ZL29rocblas_internal_gemmt_kernelIiLi16ELi32ELi8ELc78ELc84ELc85ELb0ELb0E19rocblas_complex_numIfEPKS1_S3_PS1_EviT_T9_T10_S5_lS7_S5_lS6_T11_S5_li
    .private_segment_fixed_size: 0
    .sgpr_count:     40
    .sgpr_spill_count: 0
    .symbol:         _ZL29rocblas_internal_gemmt_kernelIiLi16ELi32ELi8ELc78ELc84ELc85ELb0ELb0E19rocblas_complex_numIfEPKS1_S3_PS1_EviT_T9_T10_S5_lS7_S5_lS6_T11_S5_li.kd
    .uniform_work_group_size: 1
    .uses_dynamic_stack: false
    .vgpr_count:     56
    .vgpr_spill_count: 0
    .wavefront_size: 32
  - .args:
      - .offset:         0
        .size:           4
        .value_kind:     by_value
      - .offset:         4
        .size:           4
        .value_kind:     by_value
      - .address_space:  global
        .offset:         8
        .size:           8
        .value_kind:     global_buffer
      - .address_space:  global
        .offset:         16
        .size:           8
        .value_kind:     global_buffer
      - .offset:         24
        .size:           4
        .value_kind:     by_value
      - .offset:         32
        .size:           8
        .value_kind:     by_value
      - .address_space:  global
        .offset:         40
        .size:           8
        .value_kind:     global_buffer
      - .offset:         48
        .size:           4
        .value_kind:     by_value
      - .offset:         56
        .size:           8
        .value_kind:     by_value
      - .address_space:  global
        .offset:         64
        .size:           8
        .value_kind:     global_buffer
      - .address_space:  global
        .offset:         72
        .size:           8
        .value_kind:     global_buffer
      - .offset:         80
        .size:           4
        .value_kind:     by_value
      - .offset:         88
        .size:           8
        .value_kind:     by_value
      - .offset:         96
        .size:           4
        .value_kind:     by_value
    .group_segment_fixed_size: 4096
    .kernarg_segment_align: 8
    .kernarg_segment_size: 100
    .language:       OpenCL C
    .language_version:
      - 2
      - 0
    .max_flat_workgroup_size: 256
    .name:           _ZL29rocblas_internal_gemmt_kernelIiLi16ELi32ELi8ELc78ELc67ELc85ELb0ELb1E19rocblas_complex_numIfEPKS1_S3_PS1_EviT_T9_T10_S5_lS7_S5_lS6_T11_S5_li
    .private_segment_fixed_size: 0
    .sgpr_count:     39
    .sgpr_spill_count: 0
    .symbol:         _ZL29rocblas_internal_gemmt_kernelIiLi16ELi32ELi8ELc78ELc67ELc85ELb0ELb1E19rocblas_complex_numIfEPKS1_S3_PS1_EviT_T9_T10_S5_lS7_S5_lS6_T11_S5_li.kd
    .uniform_work_group_size: 1
    .uses_dynamic_stack: false
    .vgpr_count:     56
    .vgpr_spill_count: 0
    .wavefront_size: 32
  - .args:
      - .offset:         0
        .size:           4
        .value_kind:     by_value
      - .offset:         4
        .size:           4
        .value_kind:     by_value
      - .address_space:  global
        .offset:         8
        .size:           8
        .value_kind:     global_buffer
      - .address_space:  global
        .offset:         16
        .size:           8
        .value_kind:     global_buffer
      - .offset:         24
        .size:           4
        .value_kind:     by_value
      - .offset:         32
        .size:           8
        .value_kind:     by_value
      - .address_space:  global
        .offset:         40
        .size:           8
        .value_kind:     global_buffer
      - .offset:         48
        .size:           4
        .value_kind:     by_value
      - .offset:         56
        .size:           8
        .value_kind:     by_value
      - .address_space:  global
        .offset:         64
        .size:           8
        .value_kind:     global_buffer
      - .address_space:  global
        .offset:         72
        .size:           8
        .value_kind:     global_buffer
      - .offset:         80
        .size:           4
        .value_kind:     by_value
      - .offset:         88
        .size:           8
        .value_kind:     by_value
      - .offset:         96
        .size:           4
        .value_kind:     by_value
    .group_segment_fixed_size: 4096
    .kernarg_segment_align: 8
    .kernarg_segment_size: 100
    .language:       OpenCL C
    .language_version:
      - 2
      - 0
    .max_flat_workgroup_size: 256
    .name:           _ZL29rocblas_internal_gemmt_kernelIiLi16ELi32ELi8ELc84ELc78ELc85ELb0ELb0E19rocblas_complex_numIfEPKS1_S3_PS1_EviT_T9_T10_S5_lS7_S5_lS6_T11_S5_li
    .private_segment_fixed_size: 0
    .sgpr_count:     36
    .sgpr_spill_count: 0
    .symbol:         _ZL29rocblas_internal_gemmt_kernelIiLi16ELi32ELi8ELc84ELc78ELc85ELb0ELb0E19rocblas_complex_numIfEPKS1_S3_PS1_EviT_T9_T10_S5_lS7_S5_lS6_T11_S5_li.kd
    .uniform_work_group_size: 1
    .uses_dynamic_stack: false
    .vgpr_count:     54
    .vgpr_spill_count: 0
    .wavefront_size: 32
  - .args:
      - .offset:         0
        .size:           4
        .value_kind:     by_value
      - .offset:         4
        .size:           4
        .value_kind:     by_value
      - .address_space:  global
        .offset:         8
        .size:           8
        .value_kind:     global_buffer
      - .address_space:  global
        .offset:         16
        .size:           8
        .value_kind:     global_buffer
      - .offset:         24
        .size:           4
        .value_kind:     by_value
      - .offset:         32
        .size:           8
        .value_kind:     by_value
      - .address_space:  global
        .offset:         40
        .size:           8
        .value_kind:     global_buffer
      - .offset:         48
        .size:           4
        .value_kind:     by_value
      - .offset:         56
        .size:           8
        .value_kind:     by_value
      - .address_space:  global
        .offset:         64
        .size:           8
        .value_kind:     global_buffer
      - .address_space:  global
        .offset:         72
        .size:           8
        .value_kind:     global_buffer
      - .offset:         80
        .size:           4
        .value_kind:     by_value
      - .offset:         88
        .size:           8
        .value_kind:     by_value
      - .offset:         96
        .size:           4
        .value_kind:     by_value
    .group_segment_fixed_size: 4096
    .kernarg_segment_align: 8
    .kernarg_segment_size: 100
    .language:       OpenCL C
    .language_version:
      - 2
      - 0
    .max_flat_workgroup_size: 256
    .name:           _ZL29rocblas_internal_gemmt_kernelIiLi16ELi32ELi8ELc84ELc84ELc85ELb0ELb0E19rocblas_complex_numIfEPKS1_S3_PS1_EviT_T9_T10_S5_lS7_S5_lS6_T11_S5_li
    .private_segment_fixed_size: 0
    .sgpr_count:     38
    .sgpr_spill_count: 0
    .symbol:         _ZL29rocblas_internal_gemmt_kernelIiLi16ELi32ELi8ELc84ELc84ELc85ELb0ELb0E19rocblas_complex_numIfEPKS1_S3_PS1_EviT_T9_T10_S5_lS7_S5_lS6_T11_S5_li.kd
    .uniform_work_group_size: 1
    .uses_dynamic_stack: false
    .vgpr_count:     56
    .vgpr_spill_count: 0
    .wavefront_size: 32
  - .args:
      - .offset:         0
        .size:           4
        .value_kind:     by_value
      - .offset:         4
        .size:           4
        .value_kind:     by_value
      - .address_space:  global
        .offset:         8
        .size:           8
        .value_kind:     global_buffer
      - .address_space:  global
        .offset:         16
        .size:           8
        .value_kind:     global_buffer
      - .offset:         24
        .size:           4
        .value_kind:     by_value
      - .offset:         32
        .size:           8
        .value_kind:     by_value
      - .address_space:  global
        .offset:         40
        .size:           8
        .value_kind:     global_buffer
      - .offset:         48
        .size:           4
        .value_kind:     by_value
      - .offset:         56
        .size:           8
        .value_kind:     by_value
      - .address_space:  global
        .offset:         64
        .size:           8
        .value_kind:     global_buffer
      - .address_space:  global
        .offset:         72
        .size:           8
        .value_kind:     global_buffer
      - .offset:         80
        .size:           4
        .value_kind:     by_value
      - .offset:         88
        .size:           8
        .value_kind:     by_value
      - .offset:         96
        .size:           4
        .value_kind:     by_value
    .group_segment_fixed_size: 4096
    .kernarg_segment_align: 8
    .kernarg_segment_size: 100
    .language:       OpenCL C
    .language_version:
      - 2
      - 0
    .max_flat_workgroup_size: 256
    .name:           _ZL29rocblas_internal_gemmt_kernelIiLi16ELi32ELi8ELc84ELc67ELc85ELb0ELb1E19rocblas_complex_numIfEPKS1_S3_PS1_EviT_T9_T10_S5_lS7_S5_lS6_T11_S5_li
    .private_segment_fixed_size: 0
    .sgpr_count:     37
    .sgpr_spill_count: 0
    .symbol:         _ZL29rocblas_internal_gemmt_kernelIiLi16ELi32ELi8ELc84ELc67ELc85ELb0ELb1E19rocblas_complex_numIfEPKS1_S3_PS1_EviT_T9_T10_S5_lS7_S5_lS6_T11_S5_li.kd
    .uniform_work_group_size: 1
    .uses_dynamic_stack: false
    .vgpr_count:     57
    .vgpr_spill_count: 0
    .wavefront_size: 32
  - .args:
      - .offset:         0
        .size:           4
        .value_kind:     by_value
      - .offset:         4
        .size:           4
        .value_kind:     by_value
      - .address_space:  global
        .offset:         8
        .size:           8
        .value_kind:     global_buffer
      - .address_space:  global
        .offset:         16
        .size:           8
        .value_kind:     global_buffer
      - .offset:         24
        .size:           4
        .value_kind:     by_value
      - .offset:         32
        .size:           8
        .value_kind:     by_value
      - .address_space:  global
        .offset:         40
        .size:           8
        .value_kind:     global_buffer
      - .offset:         48
        .size:           4
        .value_kind:     by_value
      - .offset:         56
        .size:           8
        .value_kind:     by_value
      - .address_space:  global
        .offset:         64
        .size:           8
        .value_kind:     global_buffer
      - .address_space:  global
        .offset:         72
        .size:           8
        .value_kind:     global_buffer
      - .offset:         80
        .size:           4
        .value_kind:     by_value
      - .offset:         88
        .size:           8
        .value_kind:     by_value
      - .offset:         96
        .size:           4
        .value_kind:     by_value
    .group_segment_fixed_size: 4096
    .kernarg_segment_align: 8
    .kernarg_segment_size: 100
    .language:       OpenCL C
    .language_version:
      - 2
      - 0
    .max_flat_workgroup_size: 256
    .name:           _ZL29rocblas_internal_gemmt_kernelIiLi16ELi32ELi8ELc67ELc78ELc85ELb1ELb0E19rocblas_complex_numIfEPKS1_S3_PS1_EviT_T9_T10_S5_lS7_S5_lS6_T11_S5_li
    .private_segment_fixed_size: 0
    .sgpr_count:     36
    .sgpr_spill_count: 0
    .symbol:         _ZL29rocblas_internal_gemmt_kernelIiLi16ELi32ELi8ELc67ELc78ELc85ELb1ELb0E19rocblas_complex_numIfEPKS1_S3_PS1_EviT_T9_T10_S5_lS7_S5_lS6_T11_S5_li.kd
    .uniform_work_group_size: 1
    .uses_dynamic_stack: false
    .vgpr_count:     54
    .vgpr_spill_count: 0
    .wavefront_size: 32
  - .args:
      - .offset:         0
        .size:           4
        .value_kind:     by_value
      - .offset:         4
        .size:           4
        .value_kind:     by_value
      - .address_space:  global
        .offset:         8
        .size:           8
        .value_kind:     global_buffer
      - .address_space:  global
        .offset:         16
        .size:           8
        .value_kind:     global_buffer
      - .offset:         24
        .size:           4
        .value_kind:     by_value
      - .offset:         32
        .size:           8
        .value_kind:     by_value
      - .address_space:  global
        .offset:         40
        .size:           8
        .value_kind:     global_buffer
      - .offset:         48
        .size:           4
        .value_kind:     by_value
      - .offset:         56
        .size:           8
        .value_kind:     by_value
      - .address_space:  global
        .offset:         64
        .size:           8
        .value_kind:     global_buffer
      - .address_space:  global
        .offset:         72
        .size:           8
        .value_kind:     global_buffer
      - .offset:         80
        .size:           4
        .value_kind:     by_value
      - .offset:         88
        .size:           8
        .value_kind:     by_value
      - .offset:         96
        .size:           4
        .value_kind:     by_value
    .group_segment_fixed_size: 4096
    .kernarg_segment_align: 8
    .kernarg_segment_size: 100
    .language:       OpenCL C
    .language_version:
      - 2
      - 0
    .max_flat_workgroup_size: 256
    .name:           _ZL29rocblas_internal_gemmt_kernelIiLi16ELi32ELi8ELc67ELc84ELc85ELb1ELb0E19rocblas_complex_numIfEPKS1_S3_PS1_EviT_T9_T10_S5_lS7_S5_lS6_T11_S5_li
    .private_segment_fixed_size: 0
    .sgpr_count:     37
    .sgpr_spill_count: 0
    .symbol:         _ZL29rocblas_internal_gemmt_kernelIiLi16ELi32ELi8ELc67ELc84ELc85ELb1ELb0E19rocblas_complex_numIfEPKS1_S3_PS1_EviT_T9_T10_S5_lS7_S5_lS6_T11_S5_li.kd
    .uniform_work_group_size: 1
    .uses_dynamic_stack: false
    .vgpr_count:     57
    .vgpr_spill_count: 0
    .wavefront_size: 32
  - .args:
      - .offset:         0
        .size:           4
        .value_kind:     by_value
      - .offset:         4
        .size:           4
        .value_kind:     by_value
      - .address_space:  global
        .offset:         8
        .size:           8
        .value_kind:     global_buffer
      - .address_space:  global
        .offset:         16
        .size:           8
        .value_kind:     global_buffer
      - .offset:         24
        .size:           4
        .value_kind:     by_value
      - .offset:         32
        .size:           8
        .value_kind:     by_value
      - .address_space:  global
        .offset:         40
        .size:           8
        .value_kind:     global_buffer
      - .offset:         48
        .size:           4
        .value_kind:     by_value
      - .offset:         56
        .size:           8
        .value_kind:     by_value
      - .address_space:  global
        .offset:         64
        .size:           8
        .value_kind:     global_buffer
      - .address_space:  global
        .offset:         72
        .size:           8
        .value_kind:     global_buffer
      - .offset:         80
        .size:           4
        .value_kind:     by_value
      - .offset:         88
        .size:           8
        .value_kind:     by_value
      - .offset:         96
        .size:           4
        .value_kind:     by_value
    .group_segment_fixed_size: 4096
    .kernarg_segment_align: 8
    .kernarg_segment_size: 100
    .language:       OpenCL C
    .language_version:
      - 2
      - 0
    .max_flat_workgroup_size: 256
    .name:           _ZL29rocblas_internal_gemmt_kernelIiLi16ELi32ELi8ELc67ELc67ELc85ELb1ELb1E19rocblas_complex_numIfEPKS1_S3_PS1_EviT_T9_T10_S5_lS7_S5_lS6_T11_S5_li
    .private_segment_fixed_size: 0
    .sgpr_count:     37
    .sgpr_spill_count: 0
    .symbol:         _ZL29rocblas_internal_gemmt_kernelIiLi16ELi32ELi8ELc67ELc67ELc85ELb1ELb1E19rocblas_complex_numIfEPKS1_S3_PS1_EviT_T9_T10_S5_lS7_S5_lS6_T11_S5_li.kd
    .uniform_work_group_size: 1
    .uses_dynamic_stack: false
    .vgpr_count:     57
    .vgpr_spill_count: 0
    .wavefront_size: 32
  - .args:
      - .offset:         0
        .size:           4
        .value_kind:     by_value
      - .offset:         4
        .size:           4
        .value_kind:     by_value
      - .address_space:  global
        .offset:         8
        .size:           8
        .value_kind:     global_buffer
      - .address_space:  global
        .offset:         16
        .size:           8
        .value_kind:     global_buffer
      - .offset:         24
        .size:           4
        .value_kind:     by_value
      - .offset:         32
        .size:           8
        .value_kind:     by_value
      - .address_space:  global
        .offset:         40
        .size:           8
        .value_kind:     global_buffer
      - .offset:         48
        .size:           4
        .value_kind:     by_value
      - .offset:         56
        .size:           8
        .value_kind:     by_value
      - .address_space:  global
        .offset:         64
        .size:           8
        .value_kind:     global_buffer
      - .address_space:  global
        .offset:         72
        .size:           8
        .value_kind:     global_buffer
      - .offset:         80
        .size:           4
        .value_kind:     by_value
      - .offset:         88
        .size:           8
        .value_kind:     by_value
      - .offset:         96
        .size:           4
        .value_kind:     by_value
    .group_segment_fixed_size: 4096
    .kernarg_segment_align: 8
    .kernarg_segment_size: 100
    .language:       OpenCL C
    .language_version:
      - 2
      - 0
    .max_flat_workgroup_size: 256
    .name:           _ZL29rocblas_internal_gemmt_kernelIiLi16ELi32ELi8ELc78ELc78ELc76ELb0ELb0E19rocblas_complex_numIfEPKS1_S3_PS1_EviT_T9_T10_S5_lS7_S5_lS6_T11_S5_li
    .private_segment_fixed_size: 0
    .sgpr_count:     38
    .sgpr_spill_count: 0
    .symbol:         _ZL29rocblas_internal_gemmt_kernelIiLi16ELi32ELi8ELc78ELc78ELc76ELb0ELb0E19rocblas_complex_numIfEPKS1_S3_PS1_EviT_T9_T10_S5_lS7_S5_lS6_T11_S5_li.kd
    .uniform_work_group_size: 1
    .uses_dynamic_stack: false
    .vgpr_count:     56
    .vgpr_spill_count: 0
    .wavefront_size: 32
  - .args:
      - .offset:         0
        .size:           4
        .value_kind:     by_value
      - .offset:         4
        .size:           4
        .value_kind:     by_value
      - .address_space:  global
        .offset:         8
        .size:           8
        .value_kind:     global_buffer
      - .address_space:  global
        .offset:         16
        .size:           8
        .value_kind:     global_buffer
      - .offset:         24
        .size:           4
        .value_kind:     by_value
      - .offset:         32
        .size:           8
        .value_kind:     by_value
      - .address_space:  global
        .offset:         40
        .size:           8
        .value_kind:     global_buffer
      - .offset:         48
        .size:           4
        .value_kind:     by_value
      - .offset:         56
        .size:           8
        .value_kind:     by_value
      - .address_space:  global
        .offset:         64
        .size:           8
        .value_kind:     global_buffer
      - .address_space:  global
        .offset:         72
        .size:           8
        .value_kind:     global_buffer
      - .offset:         80
        .size:           4
        .value_kind:     by_value
      - .offset:         88
        .size:           8
        .value_kind:     by_value
      - .offset:         96
        .size:           4
        .value_kind:     by_value
    .group_segment_fixed_size: 4096
    .kernarg_segment_align: 8
    .kernarg_segment_size: 100
    .language:       OpenCL C
    .language_version:
      - 2
      - 0
    .max_flat_workgroup_size: 256
    .name:           _ZL29rocblas_internal_gemmt_kernelIiLi16ELi32ELi8ELc78ELc84ELc76ELb0ELb0E19rocblas_complex_numIfEPKS1_S3_PS1_EviT_T9_T10_S5_lS7_S5_lS6_T11_S5_li
    .private_segment_fixed_size: 0
    .sgpr_count:     41
    .sgpr_spill_count: 0
    .symbol:         _ZL29rocblas_internal_gemmt_kernelIiLi16ELi32ELi8ELc78ELc84ELc76ELb0ELb0E19rocblas_complex_numIfEPKS1_S3_PS1_EviT_T9_T10_S5_lS7_S5_lS6_T11_S5_li.kd
    .uniform_work_group_size: 1
    .uses_dynamic_stack: false
    .vgpr_count:     56
    .vgpr_spill_count: 0
    .wavefront_size: 32
  - .args:
      - .offset:         0
        .size:           4
        .value_kind:     by_value
      - .offset:         4
        .size:           4
        .value_kind:     by_value
      - .address_space:  global
        .offset:         8
        .size:           8
        .value_kind:     global_buffer
      - .address_space:  global
        .offset:         16
        .size:           8
        .value_kind:     global_buffer
      - .offset:         24
        .size:           4
        .value_kind:     by_value
      - .offset:         32
        .size:           8
        .value_kind:     by_value
      - .address_space:  global
        .offset:         40
        .size:           8
        .value_kind:     global_buffer
      - .offset:         48
        .size:           4
        .value_kind:     by_value
      - .offset:         56
        .size:           8
        .value_kind:     by_value
      - .address_space:  global
        .offset:         64
        .size:           8
        .value_kind:     global_buffer
      - .address_space:  global
        .offset:         72
        .size:           8
        .value_kind:     global_buffer
      - .offset:         80
        .size:           4
        .value_kind:     by_value
      - .offset:         88
        .size:           8
        .value_kind:     by_value
      - .offset:         96
        .size:           4
        .value_kind:     by_value
    .group_segment_fixed_size: 4096
    .kernarg_segment_align: 8
    .kernarg_segment_size: 100
    .language:       OpenCL C
    .language_version:
      - 2
      - 0
    .max_flat_workgroup_size: 256
    .name:           _ZL29rocblas_internal_gemmt_kernelIiLi16ELi32ELi8ELc78ELc67ELc76ELb0ELb1E19rocblas_complex_numIfEPKS1_S3_PS1_EviT_T9_T10_S5_lS7_S5_lS6_T11_S5_li
    .private_segment_fixed_size: 0
    .sgpr_count:     39
    .sgpr_spill_count: 0
    .symbol:         _ZL29rocblas_internal_gemmt_kernelIiLi16ELi32ELi8ELc78ELc67ELc76ELb0ELb1E19rocblas_complex_numIfEPKS1_S3_PS1_EviT_T9_T10_S5_lS7_S5_lS6_T11_S5_li.kd
    .uniform_work_group_size: 1
    .uses_dynamic_stack: false
    .vgpr_count:     56
    .vgpr_spill_count: 0
    .wavefront_size: 32
  - .args:
      - .offset:         0
        .size:           4
        .value_kind:     by_value
      - .offset:         4
        .size:           4
        .value_kind:     by_value
      - .address_space:  global
        .offset:         8
        .size:           8
        .value_kind:     global_buffer
      - .address_space:  global
        .offset:         16
        .size:           8
        .value_kind:     global_buffer
      - .offset:         24
        .size:           4
        .value_kind:     by_value
      - .offset:         32
        .size:           8
        .value_kind:     by_value
      - .address_space:  global
        .offset:         40
        .size:           8
        .value_kind:     global_buffer
      - .offset:         48
        .size:           4
        .value_kind:     by_value
      - .offset:         56
        .size:           8
        .value_kind:     by_value
      - .address_space:  global
        .offset:         64
        .size:           8
        .value_kind:     global_buffer
      - .address_space:  global
        .offset:         72
        .size:           8
        .value_kind:     global_buffer
      - .offset:         80
        .size:           4
        .value_kind:     by_value
      - .offset:         88
        .size:           8
        .value_kind:     by_value
      - .offset:         96
        .size:           4
        .value_kind:     by_value
    .group_segment_fixed_size: 4096
    .kernarg_segment_align: 8
    .kernarg_segment_size: 100
    .language:       OpenCL C
    .language_version:
      - 2
      - 0
    .max_flat_workgroup_size: 256
    .name:           _ZL29rocblas_internal_gemmt_kernelIiLi16ELi32ELi8ELc84ELc78ELc76ELb0ELb0E19rocblas_complex_numIfEPKS1_S3_PS1_EviT_T9_T10_S5_lS7_S5_lS6_T11_S5_li
    .private_segment_fixed_size: 0
    .sgpr_count:     36
    .sgpr_spill_count: 0
    .symbol:         _ZL29rocblas_internal_gemmt_kernelIiLi16ELi32ELi8ELc84ELc78ELc76ELb0ELb0E19rocblas_complex_numIfEPKS1_S3_PS1_EviT_T9_T10_S5_lS7_S5_lS6_T11_S5_li.kd
    .uniform_work_group_size: 1
    .uses_dynamic_stack: false
    .vgpr_count:     54
    .vgpr_spill_count: 0
    .wavefront_size: 32
  - .args:
      - .offset:         0
        .size:           4
        .value_kind:     by_value
      - .offset:         4
        .size:           4
        .value_kind:     by_value
      - .address_space:  global
        .offset:         8
        .size:           8
        .value_kind:     global_buffer
      - .address_space:  global
        .offset:         16
        .size:           8
        .value_kind:     global_buffer
      - .offset:         24
        .size:           4
        .value_kind:     by_value
      - .offset:         32
        .size:           8
        .value_kind:     by_value
      - .address_space:  global
        .offset:         40
        .size:           8
        .value_kind:     global_buffer
      - .offset:         48
        .size:           4
        .value_kind:     by_value
      - .offset:         56
        .size:           8
        .value_kind:     by_value
      - .address_space:  global
        .offset:         64
        .size:           8
        .value_kind:     global_buffer
      - .address_space:  global
        .offset:         72
        .size:           8
        .value_kind:     global_buffer
      - .offset:         80
        .size:           4
        .value_kind:     by_value
      - .offset:         88
        .size:           8
        .value_kind:     by_value
      - .offset:         96
        .size:           4
        .value_kind:     by_value
    .group_segment_fixed_size: 4096
    .kernarg_segment_align: 8
    .kernarg_segment_size: 100
    .language:       OpenCL C
    .language_version:
      - 2
      - 0
    .max_flat_workgroup_size: 256
    .name:           _ZL29rocblas_internal_gemmt_kernelIiLi16ELi32ELi8ELc84ELc84ELc76ELb0ELb0E19rocblas_complex_numIfEPKS1_S3_PS1_EviT_T9_T10_S5_lS7_S5_lS6_T11_S5_li
    .private_segment_fixed_size: 0
    .sgpr_count:     38
    .sgpr_spill_count: 0
    .symbol:         _ZL29rocblas_internal_gemmt_kernelIiLi16ELi32ELi8ELc84ELc84ELc76ELb0ELb0E19rocblas_complex_numIfEPKS1_S3_PS1_EviT_T9_T10_S5_lS7_S5_lS6_T11_S5_li.kd
    .uniform_work_group_size: 1
    .uses_dynamic_stack: false
    .vgpr_count:     56
    .vgpr_spill_count: 0
    .wavefront_size: 32
  - .args:
      - .offset:         0
        .size:           4
        .value_kind:     by_value
      - .offset:         4
        .size:           4
        .value_kind:     by_value
      - .address_space:  global
        .offset:         8
        .size:           8
        .value_kind:     global_buffer
      - .address_space:  global
        .offset:         16
        .size:           8
        .value_kind:     global_buffer
      - .offset:         24
        .size:           4
        .value_kind:     by_value
      - .offset:         32
        .size:           8
        .value_kind:     by_value
      - .address_space:  global
        .offset:         40
        .size:           8
        .value_kind:     global_buffer
      - .offset:         48
        .size:           4
        .value_kind:     by_value
      - .offset:         56
        .size:           8
        .value_kind:     by_value
      - .address_space:  global
        .offset:         64
        .size:           8
        .value_kind:     global_buffer
      - .address_space:  global
        .offset:         72
        .size:           8
        .value_kind:     global_buffer
      - .offset:         80
        .size:           4
        .value_kind:     by_value
      - .offset:         88
        .size:           8
        .value_kind:     by_value
      - .offset:         96
        .size:           4
        .value_kind:     by_value
    .group_segment_fixed_size: 4096
    .kernarg_segment_align: 8
    .kernarg_segment_size: 100
    .language:       OpenCL C
    .language_version:
      - 2
      - 0
    .max_flat_workgroup_size: 256
    .name:           _ZL29rocblas_internal_gemmt_kernelIiLi16ELi32ELi8ELc84ELc67ELc76ELb0ELb1E19rocblas_complex_numIfEPKS1_S3_PS1_EviT_T9_T10_S5_lS7_S5_lS6_T11_S5_li
    .private_segment_fixed_size: 0
    .sgpr_count:     37
    .sgpr_spill_count: 0
    .symbol:         _ZL29rocblas_internal_gemmt_kernelIiLi16ELi32ELi8ELc84ELc67ELc76ELb0ELb1E19rocblas_complex_numIfEPKS1_S3_PS1_EviT_T9_T10_S5_lS7_S5_lS6_T11_S5_li.kd
    .uniform_work_group_size: 1
    .uses_dynamic_stack: false
    .vgpr_count:     57
    .vgpr_spill_count: 0
    .wavefront_size: 32
  - .args:
      - .offset:         0
        .size:           4
        .value_kind:     by_value
      - .offset:         4
        .size:           4
        .value_kind:     by_value
      - .address_space:  global
        .offset:         8
        .size:           8
        .value_kind:     global_buffer
      - .address_space:  global
        .offset:         16
        .size:           8
        .value_kind:     global_buffer
      - .offset:         24
        .size:           4
        .value_kind:     by_value
      - .offset:         32
        .size:           8
        .value_kind:     by_value
      - .address_space:  global
        .offset:         40
        .size:           8
        .value_kind:     global_buffer
      - .offset:         48
        .size:           4
        .value_kind:     by_value
      - .offset:         56
        .size:           8
        .value_kind:     by_value
      - .address_space:  global
        .offset:         64
        .size:           8
        .value_kind:     global_buffer
      - .address_space:  global
        .offset:         72
        .size:           8
        .value_kind:     global_buffer
      - .offset:         80
        .size:           4
        .value_kind:     by_value
      - .offset:         88
        .size:           8
        .value_kind:     by_value
      - .offset:         96
        .size:           4
        .value_kind:     by_value
    .group_segment_fixed_size: 4096
    .kernarg_segment_align: 8
    .kernarg_segment_size: 100
    .language:       OpenCL C
    .language_version:
      - 2
      - 0
    .max_flat_workgroup_size: 256
    .name:           _ZL29rocblas_internal_gemmt_kernelIiLi16ELi32ELi8ELc67ELc78ELc76ELb1ELb0E19rocblas_complex_numIfEPKS1_S3_PS1_EviT_T9_T10_S5_lS7_S5_lS6_T11_S5_li
    .private_segment_fixed_size: 0
    .sgpr_count:     36
    .sgpr_spill_count: 0
    .symbol:         _ZL29rocblas_internal_gemmt_kernelIiLi16ELi32ELi8ELc67ELc78ELc76ELb1ELb0E19rocblas_complex_numIfEPKS1_S3_PS1_EviT_T9_T10_S5_lS7_S5_lS6_T11_S5_li.kd
    .uniform_work_group_size: 1
    .uses_dynamic_stack: false
    .vgpr_count:     54
    .vgpr_spill_count: 0
    .wavefront_size: 32
  - .args:
      - .offset:         0
        .size:           4
        .value_kind:     by_value
      - .offset:         4
        .size:           4
        .value_kind:     by_value
      - .address_space:  global
        .offset:         8
        .size:           8
        .value_kind:     global_buffer
      - .address_space:  global
        .offset:         16
        .size:           8
        .value_kind:     global_buffer
      - .offset:         24
        .size:           4
        .value_kind:     by_value
      - .offset:         32
        .size:           8
        .value_kind:     by_value
      - .address_space:  global
        .offset:         40
        .size:           8
        .value_kind:     global_buffer
      - .offset:         48
        .size:           4
        .value_kind:     by_value
      - .offset:         56
        .size:           8
        .value_kind:     by_value
      - .address_space:  global
        .offset:         64
        .size:           8
        .value_kind:     global_buffer
      - .address_space:  global
        .offset:         72
        .size:           8
        .value_kind:     global_buffer
      - .offset:         80
        .size:           4
        .value_kind:     by_value
      - .offset:         88
        .size:           8
        .value_kind:     by_value
      - .offset:         96
        .size:           4
        .value_kind:     by_value
    .group_segment_fixed_size: 4096
    .kernarg_segment_align: 8
    .kernarg_segment_size: 100
    .language:       OpenCL C
    .language_version:
      - 2
      - 0
    .max_flat_workgroup_size: 256
    .name:           _ZL29rocblas_internal_gemmt_kernelIiLi16ELi32ELi8ELc67ELc84ELc76ELb1ELb0E19rocblas_complex_numIfEPKS1_S3_PS1_EviT_T9_T10_S5_lS7_S5_lS6_T11_S5_li
    .private_segment_fixed_size: 0
    .sgpr_count:     37
    .sgpr_spill_count: 0
    .symbol:         _ZL29rocblas_internal_gemmt_kernelIiLi16ELi32ELi8ELc67ELc84ELc76ELb1ELb0E19rocblas_complex_numIfEPKS1_S3_PS1_EviT_T9_T10_S5_lS7_S5_lS6_T11_S5_li.kd
    .uniform_work_group_size: 1
    .uses_dynamic_stack: false
    .vgpr_count:     57
    .vgpr_spill_count: 0
    .wavefront_size: 32
  - .args:
      - .offset:         0
        .size:           4
        .value_kind:     by_value
      - .offset:         4
        .size:           4
        .value_kind:     by_value
      - .address_space:  global
        .offset:         8
        .size:           8
        .value_kind:     global_buffer
      - .address_space:  global
        .offset:         16
        .size:           8
        .value_kind:     global_buffer
      - .offset:         24
        .size:           4
        .value_kind:     by_value
      - .offset:         32
        .size:           8
        .value_kind:     by_value
      - .address_space:  global
        .offset:         40
        .size:           8
        .value_kind:     global_buffer
      - .offset:         48
        .size:           4
        .value_kind:     by_value
      - .offset:         56
        .size:           8
        .value_kind:     by_value
      - .address_space:  global
        .offset:         64
        .size:           8
        .value_kind:     global_buffer
      - .address_space:  global
        .offset:         72
        .size:           8
        .value_kind:     global_buffer
      - .offset:         80
        .size:           4
        .value_kind:     by_value
      - .offset:         88
        .size:           8
        .value_kind:     by_value
      - .offset:         96
        .size:           4
        .value_kind:     by_value
    .group_segment_fixed_size: 4096
    .kernarg_segment_align: 8
    .kernarg_segment_size: 100
    .language:       OpenCL C
    .language_version:
      - 2
      - 0
    .max_flat_workgroup_size: 256
    .name:           _ZL29rocblas_internal_gemmt_kernelIiLi16ELi32ELi8ELc67ELc67ELc76ELb1ELb1E19rocblas_complex_numIfEPKS1_S3_PS1_EviT_T9_T10_S5_lS7_S5_lS6_T11_S5_li
    .private_segment_fixed_size: 0
    .sgpr_count:     38
    .sgpr_spill_count: 0
    .symbol:         _ZL29rocblas_internal_gemmt_kernelIiLi16ELi32ELi8ELc67ELc67ELc76ELb1ELb1E19rocblas_complex_numIfEPKS1_S3_PS1_EviT_T9_T10_S5_lS7_S5_lS6_T11_S5_li.kd
    .uniform_work_group_size: 1
    .uses_dynamic_stack: false
    .vgpr_count:     57
    .vgpr_spill_count: 0
    .wavefront_size: 32
  - .args:
      - .offset:         0
        .size:           4
        .value_kind:     by_value
      - .offset:         4
        .size:           4
        .value_kind:     by_value
      - .offset:         8
        .size:           8
        .value_kind:     by_value
      - .address_space:  global
        .offset:         16
        .size:           8
        .value_kind:     global_buffer
      - .offset:         24
        .size:           4
        .value_kind:     by_value
      - .offset:         32
        .size:           8
        .value_kind:     by_value
      - .address_space:  global
        .offset:         40
        .size:           8
        .value_kind:     global_buffer
      - .offset:         48
        .size:           4
        .value_kind:     by_value
      - .offset:         56
        .size:           8
        .value_kind:     by_value
      - .offset:         64
        .size:           8
        .value_kind:     by_value
      - .address_space:  global
        .offset:         72
        .size:           8
        .value_kind:     global_buffer
      - .offset:         80
        .size:           4
        .value_kind:     by_value
      - .offset:         88
        .size:           8
        .value_kind:     by_value
      - .offset:         96
        .size:           4
        .value_kind:     by_value
    .group_segment_fixed_size: 4096
    .kernarg_segment_align: 8
    .kernarg_segment_size: 100
    .language:       OpenCL C
    .language_version:
      - 2
      - 0
    .max_flat_workgroup_size: 256
    .name:           _ZL29rocblas_internal_gemmt_kernelIiLi16ELi32ELi8ELc78ELc78ELc85ELb0ELb0E19rocblas_complex_numIfES1_PKS1_PS1_EviT_T9_T10_S5_lS7_S5_lS6_T11_S5_li
    .private_segment_fixed_size: 0
    .sgpr_count:     38
    .sgpr_spill_count: 0
    .symbol:         _ZL29rocblas_internal_gemmt_kernelIiLi16ELi32ELi8ELc78ELc78ELc85ELb0ELb0E19rocblas_complex_numIfES1_PKS1_PS1_EviT_T9_T10_S5_lS7_S5_lS6_T11_S5_li.kd
    .uniform_work_group_size: 1
    .uses_dynamic_stack: false
    .vgpr_count:     56
    .vgpr_spill_count: 0
    .wavefront_size: 32
  - .args:
      - .offset:         0
        .size:           4
        .value_kind:     by_value
      - .offset:         4
        .size:           4
        .value_kind:     by_value
      - .offset:         8
        .size:           8
        .value_kind:     by_value
      - .address_space:  global
        .offset:         16
        .size:           8
        .value_kind:     global_buffer
      - .offset:         24
        .size:           4
        .value_kind:     by_value
      - .offset:         32
        .size:           8
        .value_kind:     by_value
      - .address_space:  global
        .offset:         40
        .size:           8
        .value_kind:     global_buffer
      - .offset:         48
        .size:           4
        .value_kind:     by_value
      - .offset:         56
        .size:           8
        .value_kind:     by_value
      - .offset:         64
        .size:           8
        .value_kind:     by_value
      - .address_space:  global
        .offset:         72
        .size:           8
        .value_kind:     global_buffer
      - .offset:         80
        .size:           4
        .value_kind:     by_value
      - .offset:         88
        .size:           8
        .value_kind:     by_value
      - .offset:         96
        .size:           4
        .value_kind:     by_value
    .group_segment_fixed_size: 4096
    .kernarg_segment_align: 8
    .kernarg_segment_size: 100
    .language:       OpenCL C
    .language_version:
      - 2
      - 0
    .max_flat_workgroup_size: 256
    .name:           _ZL29rocblas_internal_gemmt_kernelIiLi16ELi32ELi8ELc78ELc84ELc85ELb0ELb0E19rocblas_complex_numIfES1_PKS1_PS1_EviT_T9_T10_S5_lS7_S5_lS6_T11_S5_li
    .private_segment_fixed_size: 0
    .sgpr_count:     40
    .sgpr_spill_count: 0
    .symbol:         _ZL29rocblas_internal_gemmt_kernelIiLi16ELi32ELi8ELc78ELc84ELc85ELb0ELb0E19rocblas_complex_numIfES1_PKS1_PS1_EviT_T9_T10_S5_lS7_S5_lS6_T11_S5_li.kd
    .uniform_work_group_size: 1
    .uses_dynamic_stack: false
    .vgpr_count:     56
    .vgpr_spill_count: 0
    .wavefront_size: 32
  - .args:
      - .offset:         0
        .size:           4
        .value_kind:     by_value
      - .offset:         4
        .size:           4
        .value_kind:     by_value
      - .offset:         8
        .size:           8
        .value_kind:     by_value
      - .address_space:  global
        .offset:         16
        .size:           8
        .value_kind:     global_buffer
      - .offset:         24
        .size:           4
        .value_kind:     by_value
      - .offset:         32
        .size:           8
        .value_kind:     by_value
      - .address_space:  global
        .offset:         40
        .size:           8
        .value_kind:     global_buffer
      - .offset:         48
        .size:           4
        .value_kind:     by_value
      - .offset:         56
        .size:           8
        .value_kind:     by_value
      - .offset:         64
        .size:           8
        .value_kind:     by_value
      - .address_space:  global
        .offset:         72
        .size:           8
        .value_kind:     global_buffer
      - .offset:         80
        .size:           4
        .value_kind:     by_value
      - .offset:         88
        .size:           8
        .value_kind:     by_value
      - .offset:         96
        .size:           4
        .value_kind:     by_value
    .group_segment_fixed_size: 4096
    .kernarg_segment_align: 8
    .kernarg_segment_size: 100
    .language:       OpenCL C
    .language_version:
      - 2
      - 0
    .max_flat_workgroup_size: 256
    .name:           _ZL29rocblas_internal_gemmt_kernelIiLi16ELi32ELi8ELc78ELc67ELc85ELb0ELb1E19rocblas_complex_numIfES1_PKS1_PS1_EviT_T9_T10_S5_lS7_S5_lS6_T11_S5_li
    .private_segment_fixed_size: 0
    .sgpr_count:     39
    .sgpr_spill_count: 0
    .symbol:         _ZL29rocblas_internal_gemmt_kernelIiLi16ELi32ELi8ELc78ELc67ELc85ELb0ELb1E19rocblas_complex_numIfES1_PKS1_PS1_EviT_T9_T10_S5_lS7_S5_lS6_T11_S5_li.kd
    .uniform_work_group_size: 1
    .uses_dynamic_stack: false
    .vgpr_count:     56
    .vgpr_spill_count: 0
    .wavefront_size: 32
  - .args:
      - .offset:         0
        .size:           4
        .value_kind:     by_value
      - .offset:         4
        .size:           4
        .value_kind:     by_value
      - .offset:         8
        .size:           8
        .value_kind:     by_value
      - .address_space:  global
        .offset:         16
        .size:           8
        .value_kind:     global_buffer
      - .offset:         24
        .size:           4
        .value_kind:     by_value
      - .offset:         32
        .size:           8
        .value_kind:     by_value
      - .address_space:  global
        .offset:         40
        .size:           8
        .value_kind:     global_buffer
      - .offset:         48
        .size:           4
        .value_kind:     by_value
      - .offset:         56
        .size:           8
        .value_kind:     by_value
      - .offset:         64
        .size:           8
        .value_kind:     by_value
      - .address_space:  global
        .offset:         72
        .size:           8
        .value_kind:     global_buffer
      - .offset:         80
        .size:           4
        .value_kind:     by_value
      - .offset:         88
        .size:           8
        .value_kind:     by_value
      - .offset:         96
        .size:           4
        .value_kind:     by_value
    .group_segment_fixed_size: 4096
    .kernarg_segment_align: 8
    .kernarg_segment_size: 100
    .language:       OpenCL C
    .language_version:
      - 2
      - 0
    .max_flat_workgroup_size: 256
    .name:           _ZL29rocblas_internal_gemmt_kernelIiLi16ELi32ELi8ELc84ELc78ELc85ELb0ELb0E19rocblas_complex_numIfES1_PKS1_PS1_EviT_T9_T10_S5_lS7_S5_lS6_T11_S5_li
    .private_segment_fixed_size: 0
    .sgpr_count:     37
    .sgpr_spill_count: 0
    .symbol:         _ZL29rocblas_internal_gemmt_kernelIiLi16ELi32ELi8ELc84ELc78ELc85ELb0ELb0E19rocblas_complex_numIfES1_PKS1_PS1_EviT_T9_T10_S5_lS7_S5_lS6_T11_S5_li.kd
    .uniform_work_group_size: 1
    .uses_dynamic_stack: false
    .vgpr_count:     54
    .vgpr_spill_count: 0
    .wavefront_size: 32
  - .args:
      - .offset:         0
        .size:           4
        .value_kind:     by_value
      - .offset:         4
        .size:           4
        .value_kind:     by_value
      - .offset:         8
        .size:           8
        .value_kind:     by_value
      - .address_space:  global
        .offset:         16
        .size:           8
        .value_kind:     global_buffer
      - .offset:         24
        .size:           4
        .value_kind:     by_value
      - .offset:         32
        .size:           8
        .value_kind:     by_value
      - .address_space:  global
        .offset:         40
        .size:           8
        .value_kind:     global_buffer
      - .offset:         48
        .size:           4
        .value_kind:     by_value
      - .offset:         56
        .size:           8
        .value_kind:     by_value
      - .offset:         64
        .size:           8
        .value_kind:     by_value
      - .address_space:  global
        .offset:         72
        .size:           8
        .value_kind:     global_buffer
      - .offset:         80
        .size:           4
        .value_kind:     by_value
      - .offset:         88
        .size:           8
        .value_kind:     by_value
      - .offset:         96
        .size:           4
        .value_kind:     by_value
    .group_segment_fixed_size: 4096
    .kernarg_segment_align: 8
    .kernarg_segment_size: 100
    .language:       OpenCL C
    .language_version:
      - 2
      - 0
    .max_flat_workgroup_size: 256
    .name:           _ZL29rocblas_internal_gemmt_kernelIiLi16ELi32ELi8ELc84ELc84ELc85ELb0ELb0E19rocblas_complex_numIfES1_PKS1_PS1_EviT_T9_T10_S5_lS7_S5_lS6_T11_S5_li
    .private_segment_fixed_size: 0
    .sgpr_count:     40
    .sgpr_spill_count: 0
    .symbol:         _ZL29rocblas_internal_gemmt_kernelIiLi16ELi32ELi8ELc84ELc84ELc85ELb0ELb0E19rocblas_complex_numIfES1_PKS1_PS1_EviT_T9_T10_S5_lS7_S5_lS6_T11_S5_li.kd
    .uniform_work_group_size: 1
    .uses_dynamic_stack: false
    .vgpr_count:     56
    .vgpr_spill_count: 0
    .wavefront_size: 32
  - .args:
      - .offset:         0
        .size:           4
        .value_kind:     by_value
      - .offset:         4
        .size:           4
        .value_kind:     by_value
      - .offset:         8
        .size:           8
        .value_kind:     by_value
      - .address_space:  global
        .offset:         16
        .size:           8
        .value_kind:     global_buffer
      - .offset:         24
        .size:           4
        .value_kind:     by_value
      - .offset:         32
        .size:           8
        .value_kind:     by_value
      - .address_space:  global
        .offset:         40
        .size:           8
        .value_kind:     global_buffer
      - .offset:         48
        .size:           4
        .value_kind:     by_value
      - .offset:         56
        .size:           8
        .value_kind:     by_value
      - .offset:         64
        .size:           8
        .value_kind:     by_value
      - .address_space:  global
        .offset:         72
        .size:           8
        .value_kind:     global_buffer
      - .offset:         80
        .size:           4
        .value_kind:     by_value
      - .offset:         88
        .size:           8
        .value_kind:     by_value
      - .offset:         96
        .size:           4
        .value_kind:     by_value
    .group_segment_fixed_size: 4096
    .kernarg_segment_align: 8
    .kernarg_segment_size: 100
    .language:       OpenCL C
    .language_version:
      - 2
      - 0
    .max_flat_workgroup_size: 256
    .name:           _ZL29rocblas_internal_gemmt_kernelIiLi16ELi32ELi8ELc84ELc67ELc85ELb0ELb1E19rocblas_complex_numIfES1_PKS1_PS1_EviT_T9_T10_S5_lS7_S5_lS6_T11_S5_li
    .private_segment_fixed_size: 0
    .sgpr_count:     38
    .sgpr_spill_count: 0
    .symbol:         _ZL29rocblas_internal_gemmt_kernelIiLi16ELi32ELi8ELc84ELc67ELc85ELb0ELb1E19rocblas_complex_numIfES1_PKS1_PS1_EviT_T9_T10_S5_lS7_S5_lS6_T11_S5_li.kd
    .uniform_work_group_size: 1
    .uses_dynamic_stack: false
    .vgpr_count:     57
    .vgpr_spill_count: 0
    .wavefront_size: 32
  - .args:
      - .offset:         0
        .size:           4
        .value_kind:     by_value
      - .offset:         4
        .size:           4
        .value_kind:     by_value
      - .offset:         8
        .size:           8
        .value_kind:     by_value
      - .address_space:  global
        .offset:         16
        .size:           8
        .value_kind:     global_buffer
      - .offset:         24
        .size:           4
        .value_kind:     by_value
      - .offset:         32
        .size:           8
        .value_kind:     by_value
      - .address_space:  global
        .offset:         40
        .size:           8
        .value_kind:     global_buffer
      - .offset:         48
        .size:           4
        .value_kind:     by_value
      - .offset:         56
        .size:           8
        .value_kind:     by_value
      - .offset:         64
        .size:           8
        .value_kind:     by_value
      - .address_space:  global
        .offset:         72
        .size:           8
        .value_kind:     global_buffer
      - .offset:         80
        .size:           4
        .value_kind:     by_value
      - .offset:         88
        .size:           8
        .value_kind:     by_value
      - .offset:         96
        .size:           4
        .value_kind:     by_value
    .group_segment_fixed_size: 4096
    .kernarg_segment_align: 8
    .kernarg_segment_size: 100
    .language:       OpenCL C
    .language_version:
      - 2
      - 0
    .max_flat_workgroup_size: 256
    .name:           _ZL29rocblas_internal_gemmt_kernelIiLi16ELi32ELi8ELc67ELc78ELc85ELb1ELb0E19rocblas_complex_numIfES1_PKS1_PS1_EviT_T9_T10_S5_lS7_S5_lS6_T11_S5_li
    .private_segment_fixed_size: 0
    .sgpr_count:     37
    .sgpr_spill_count: 0
    .symbol:         _ZL29rocblas_internal_gemmt_kernelIiLi16ELi32ELi8ELc67ELc78ELc85ELb1ELb0E19rocblas_complex_numIfES1_PKS1_PS1_EviT_T9_T10_S5_lS7_S5_lS6_T11_S5_li.kd
    .uniform_work_group_size: 1
    .uses_dynamic_stack: false
    .vgpr_count:     54
    .vgpr_spill_count: 0
    .wavefront_size: 32
  - .args:
      - .offset:         0
        .size:           4
        .value_kind:     by_value
      - .offset:         4
        .size:           4
        .value_kind:     by_value
      - .offset:         8
        .size:           8
        .value_kind:     by_value
      - .address_space:  global
        .offset:         16
        .size:           8
        .value_kind:     global_buffer
      - .offset:         24
        .size:           4
        .value_kind:     by_value
      - .offset:         32
        .size:           8
        .value_kind:     by_value
      - .address_space:  global
        .offset:         40
        .size:           8
        .value_kind:     global_buffer
      - .offset:         48
        .size:           4
        .value_kind:     by_value
      - .offset:         56
        .size:           8
        .value_kind:     by_value
      - .offset:         64
        .size:           8
        .value_kind:     by_value
      - .address_space:  global
        .offset:         72
        .size:           8
        .value_kind:     global_buffer
      - .offset:         80
        .size:           4
        .value_kind:     by_value
      - .offset:         88
        .size:           8
        .value_kind:     by_value
      - .offset:         96
        .size:           4
        .value_kind:     by_value
    .group_segment_fixed_size: 4096
    .kernarg_segment_align: 8
    .kernarg_segment_size: 100
    .language:       OpenCL C
    .language_version:
      - 2
      - 0
    .max_flat_workgroup_size: 256
    .name:           _ZL29rocblas_internal_gemmt_kernelIiLi16ELi32ELi8ELc67ELc84ELc85ELb1ELb0E19rocblas_complex_numIfES1_PKS1_PS1_EviT_T9_T10_S5_lS7_S5_lS6_T11_S5_li
    .private_segment_fixed_size: 0
    .sgpr_count:     38
    .sgpr_spill_count: 0
    .symbol:         _ZL29rocblas_internal_gemmt_kernelIiLi16ELi32ELi8ELc67ELc84ELc85ELb1ELb0E19rocblas_complex_numIfES1_PKS1_PS1_EviT_T9_T10_S5_lS7_S5_lS6_T11_S5_li.kd
    .uniform_work_group_size: 1
    .uses_dynamic_stack: false
    .vgpr_count:     57
    .vgpr_spill_count: 0
    .wavefront_size: 32
  - .args:
      - .offset:         0
        .size:           4
        .value_kind:     by_value
      - .offset:         4
        .size:           4
        .value_kind:     by_value
      - .offset:         8
        .size:           8
        .value_kind:     by_value
      - .address_space:  global
        .offset:         16
        .size:           8
        .value_kind:     global_buffer
      - .offset:         24
        .size:           4
        .value_kind:     by_value
      - .offset:         32
        .size:           8
        .value_kind:     by_value
      - .address_space:  global
        .offset:         40
        .size:           8
        .value_kind:     global_buffer
      - .offset:         48
        .size:           4
        .value_kind:     by_value
      - .offset:         56
        .size:           8
        .value_kind:     by_value
      - .offset:         64
        .size:           8
        .value_kind:     by_value
      - .address_space:  global
        .offset:         72
        .size:           8
        .value_kind:     global_buffer
      - .offset:         80
        .size:           4
        .value_kind:     by_value
      - .offset:         88
        .size:           8
        .value_kind:     by_value
      - .offset:         96
        .size:           4
        .value_kind:     by_value
    .group_segment_fixed_size: 4096
    .kernarg_segment_align: 8
    .kernarg_segment_size: 100
    .language:       OpenCL C
    .language_version:
      - 2
      - 0
    .max_flat_workgroup_size: 256
    .name:           _ZL29rocblas_internal_gemmt_kernelIiLi16ELi32ELi8ELc67ELc67ELc85ELb1ELb1E19rocblas_complex_numIfES1_PKS1_PS1_EviT_T9_T10_S5_lS7_S5_lS6_T11_S5_li
    .private_segment_fixed_size: 0
    .sgpr_count:     38
    .sgpr_spill_count: 0
    .symbol:         _ZL29rocblas_internal_gemmt_kernelIiLi16ELi32ELi8ELc67ELc67ELc85ELb1ELb1E19rocblas_complex_numIfES1_PKS1_PS1_EviT_T9_T10_S5_lS7_S5_lS6_T11_S5_li.kd
    .uniform_work_group_size: 1
    .uses_dynamic_stack: false
    .vgpr_count:     57
    .vgpr_spill_count: 0
    .wavefront_size: 32
  - .args:
      - .offset:         0
        .size:           4
        .value_kind:     by_value
      - .offset:         4
        .size:           4
        .value_kind:     by_value
      - .offset:         8
        .size:           8
        .value_kind:     by_value
      - .address_space:  global
        .offset:         16
        .size:           8
        .value_kind:     global_buffer
      - .offset:         24
        .size:           4
        .value_kind:     by_value
      - .offset:         32
        .size:           8
        .value_kind:     by_value
      - .address_space:  global
        .offset:         40
        .size:           8
        .value_kind:     global_buffer
      - .offset:         48
        .size:           4
        .value_kind:     by_value
      - .offset:         56
        .size:           8
        .value_kind:     by_value
      - .offset:         64
        .size:           8
        .value_kind:     by_value
      - .address_space:  global
        .offset:         72
        .size:           8
        .value_kind:     global_buffer
      - .offset:         80
        .size:           4
        .value_kind:     by_value
      - .offset:         88
        .size:           8
        .value_kind:     by_value
      - .offset:         96
        .size:           4
        .value_kind:     by_value
    .group_segment_fixed_size: 4096
    .kernarg_segment_align: 8
    .kernarg_segment_size: 100
    .language:       OpenCL C
    .language_version:
      - 2
      - 0
    .max_flat_workgroup_size: 256
    .name:           _ZL29rocblas_internal_gemmt_kernelIiLi16ELi32ELi8ELc78ELc78ELc76ELb0ELb0E19rocblas_complex_numIfES1_PKS1_PS1_EviT_T9_T10_S5_lS7_S5_lS6_T11_S5_li
    .private_segment_fixed_size: 0
    .sgpr_count:     38
    .sgpr_spill_count: 0
    .symbol:         _ZL29rocblas_internal_gemmt_kernelIiLi16ELi32ELi8ELc78ELc78ELc76ELb0ELb0E19rocblas_complex_numIfES1_PKS1_PS1_EviT_T9_T10_S5_lS7_S5_lS6_T11_S5_li.kd
    .uniform_work_group_size: 1
    .uses_dynamic_stack: false
    .vgpr_count:     56
    .vgpr_spill_count: 0
    .wavefront_size: 32
  - .args:
      - .offset:         0
        .size:           4
        .value_kind:     by_value
      - .offset:         4
        .size:           4
        .value_kind:     by_value
      - .offset:         8
        .size:           8
        .value_kind:     by_value
      - .address_space:  global
        .offset:         16
        .size:           8
        .value_kind:     global_buffer
      - .offset:         24
        .size:           4
        .value_kind:     by_value
      - .offset:         32
        .size:           8
        .value_kind:     by_value
      - .address_space:  global
        .offset:         40
        .size:           8
        .value_kind:     global_buffer
      - .offset:         48
        .size:           4
        .value_kind:     by_value
      - .offset:         56
        .size:           8
        .value_kind:     by_value
      - .offset:         64
        .size:           8
        .value_kind:     by_value
      - .address_space:  global
        .offset:         72
        .size:           8
        .value_kind:     global_buffer
      - .offset:         80
        .size:           4
        .value_kind:     by_value
      - .offset:         88
        .size:           8
        .value_kind:     by_value
      - .offset:         96
        .size:           4
        .value_kind:     by_value
    .group_segment_fixed_size: 4096
    .kernarg_segment_align: 8
    .kernarg_segment_size: 100
    .language:       OpenCL C
    .language_version:
      - 2
      - 0
    .max_flat_workgroup_size: 256
    .name:           _ZL29rocblas_internal_gemmt_kernelIiLi16ELi32ELi8ELc78ELc84ELc76ELb0ELb0E19rocblas_complex_numIfES1_PKS1_PS1_EviT_T9_T10_S5_lS7_S5_lS6_T11_S5_li
    .private_segment_fixed_size: 0
    .sgpr_count:     40
    .sgpr_spill_count: 0
    .symbol:         _ZL29rocblas_internal_gemmt_kernelIiLi16ELi32ELi8ELc78ELc84ELc76ELb0ELb0E19rocblas_complex_numIfES1_PKS1_PS1_EviT_T9_T10_S5_lS7_S5_lS6_T11_S5_li.kd
    .uniform_work_group_size: 1
    .uses_dynamic_stack: false
    .vgpr_count:     56
    .vgpr_spill_count: 0
    .wavefront_size: 32
  - .args:
      - .offset:         0
        .size:           4
        .value_kind:     by_value
      - .offset:         4
        .size:           4
        .value_kind:     by_value
      - .offset:         8
        .size:           8
        .value_kind:     by_value
      - .address_space:  global
        .offset:         16
        .size:           8
        .value_kind:     global_buffer
      - .offset:         24
        .size:           4
        .value_kind:     by_value
      - .offset:         32
        .size:           8
        .value_kind:     by_value
      - .address_space:  global
        .offset:         40
        .size:           8
        .value_kind:     global_buffer
      - .offset:         48
        .size:           4
        .value_kind:     by_value
      - .offset:         56
        .size:           8
        .value_kind:     by_value
      - .offset:         64
        .size:           8
        .value_kind:     by_value
      - .address_space:  global
        .offset:         72
        .size:           8
        .value_kind:     global_buffer
      - .offset:         80
        .size:           4
        .value_kind:     by_value
      - .offset:         88
        .size:           8
        .value_kind:     by_value
      - .offset:         96
        .size:           4
        .value_kind:     by_value
    .group_segment_fixed_size: 4096
    .kernarg_segment_align: 8
    .kernarg_segment_size: 100
    .language:       OpenCL C
    .language_version:
      - 2
      - 0
    .max_flat_workgroup_size: 256
    .name:           _ZL29rocblas_internal_gemmt_kernelIiLi16ELi32ELi8ELc78ELc67ELc76ELb0ELb1E19rocblas_complex_numIfES1_PKS1_PS1_EviT_T9_T10_S5_lS7_S5_lS6_T11_S5_li
    .private_segment_fixed_size: 0
    .sgpr_count:     39
    .sgpr_spill_count: 0
    .symbol:         _ZL29rocblas_internal_gemmt_kernelIiLi16ELi32ELi8ELc78ELc67ELc76ELb0ELb1E19rocblas_complex_numIfES1_PKS1_PS1_EviT_T9_T10_S5_lS7_S5_lS6_T11_S5_li.kd
    .uniform_work_group_size: 1
    .uses_dynamic_stack: false
    .vgpr_count:     56
    .vgpr_spill_count: 0
    .wavefront_size: 32
  - .args:
      - .offset:         0
        .size:           4
        .value_kind:     by_value
      - .offset:         4
        .size:           4
        .value_kind:     by_value
      - .offset:         8
        .size:           8
        .value_kind:     by_value
      - .address_space:  global
        .offset:         16
        .size:           8
        .value_kind:     global_buffer
      - .offset:         24
        .size:           4
        .value_kind:     by_value
      - .offset:         32
        .size:           8
        .value_kind:     by_value
      - .address_space:  global
        .offset:         40
        .size:           8
        .value_kind:     global_buffer
      - .offset:         48
        .size:           4
        .value_kind:     by_value
      - .offset:         56
        .size:           8
        .value_kind:     by_value
      - .offset:         64
        .size:           8
        .value_kind:     by_value
      - .address_space:  global
        .offset:         72
        .size:           8
        .value_kind:     global_buffer
      - .offset:         80
        .size:           4
        .value_kind:     by_value
      - .offset:         88
        .size:           8
        .value_kind:     by_value
      - .offset:         96
        .size:           4
        .value_kind:     by_value
    .group_segment_fixed_size: 4096
    .kernarg_segment_align: 8
    .kernarg_segment_size: 100
    .language:       OpenCL C
    .language_version:
      - 2
      - 0
    .max_flat_workgroup_size: 256
    .name:           _ZL29rocblas_internal_gemmt_kernelIiLi16ELi32ELi8ELc84ELc78ELc76ELb0ELb0E19rocblas_complex_numIfES1_PKS1_PS1_EviT_T9_T10_S5_lS7_S5_lS6_T11_S5_li
    .private_segment_fixed_size: 0
    .sgpr_count:     37
    .sgpr_spill_count: 0
    .symbol:         _ZL29rocblas_internal_gemmt_kernelIiLi16ELi32ELi8ELc84ELc78ELc76ELb0ELb0E19rocblas_complex_numIfES1_PKS1_PS1_EviT_T9_T10_S5_lS7_S5_lS6_T11_S5_li.kd
    .uniform_work_group_size: 1
    .uses_dynamic_stack: false
    .vgpr_count:     54
    .vgpr_spill_count: 0
    .wavefront_size: 32
  - .args:
      - .offset:         0
        .size:           4
        .value_kind:     by_value
      - .offset:         4
        .size:           4
        .value_kind:     by_value
      - .offset:         8
        .size:           8
        .value_kind:     by_value
      - .address_space:  global
        .offset:         16
        .size:           8
        .value_kind:     global_buffer
      - .offset:         24
        .size:           4
        .value_kind:     by_value
      - .offset:         32
        .size:           8
        .value_kind:     by_value
      - .address_space:  global
        .offset:         40
        .size:           8
        .value_kind:     global_buffer
      - .offset:         48
        .size:           4
        .value_kind:     by_value
      - .offset:         56
        .size:           8
        .value_kind:     by_value
      - .offset:         64
        .size:           8
        .value_kind:     by_value
      - .address_space:  global
        .offset:         72
        .size:           8
        .value_kind:     global_buffer
      - .offset:         80
        .size:           4
        .value_kind:     by_value
      - .offset:         88
        .size:           8
        .value_kind:     by_value
      - .offset:         96
        .size:           4
        .value_kind:     by_value
    .group_segment_fixed_size: 4096
    .kernarg_segment_align: 8
    .kernarg_segment_size: 100
    .language:       OpenCL C
    .language_version:
      - 2
      - 0
    .max_flat_workgroup_size: 256
    .name:           _ZL29rocblas_internal_gemmt_kernelIiLi16ELi32ELi8ELc84ELc84ELc76ELb0ELb0E19rocblas_complex_numIfES1_PKS1_PS1_EviT_T9_T10_S5_lS7_S5_lS6_T11_S5_li
    .private_segment_fixed_size: 0
    .sgpr_count:     40
    .sgpr_spill_count: 0
    .symbol:         _ZL29rocblas_internal_gemmt_kernelIiLi16ELi32ELi8ELc84ELc84ELc76ELb0ELb0E19rocblas_complex_numIfES1_PKS1_PS1_EviT_T9_T10_S5_lS7_S5_lS6_T11_S5_li.kd
    .uniform_work_group_size: 1
    .uses_dynamic_stack: false
    .vgpr_count:     56
    .vgpr_spill_count: 0
    .wavefront_size: 32
  - .args:
      - .offset:         0
        .size:           4
        .value_kind:     by_value
      - .offset:         4
        .size:           4
        .value_kind:     by_value
      - .offset:         8
        .size:           8
        .value_kind:     by_value
      - .address_space:  global
        .offset:         16
        .size:           8
        .value_kind:     global_buffer
      - .offset:         24
        .size:           4
        .value_kind:     by_value
      - .offset:         32
        .size:           8
        .value_kind:     by_value
      - .address_space:  global
        .offset:         40
        .size:           8
        .value_kind:     global_buffer
      - .offset:         48
        .size:           4
        .value_kind:     by_value
      - .offset:         56
        .size:           8
        .value_kind:     by_value
      - .offset:         64
        .size:           8
        .value_kind:     by_value
      - .address_space:  global
        .offset:         72
        .size:           8
        .value_kind:     global_buffer
      - .offset:         80
        .size:           4
        .value_kind:     by_value
      - .offset:         88
        .size:           8
        .value_kind:     by_value
      - .offset:         96
        .size:           4
        .value_kind:     by_value
    .group_segment_fixed_size: 4096
    .kernarg_segment_align: 8
    .kernarg_segment_size: 100
    .language:       OpenCL C
    .language_version:
      - 2
      - 0
    .max_flat_workgroup_size: 256
    .name:           _ZL29rocblas_internal_gemmt_kernelIiLi16ELi32ELi8ELc84ELc67ELc76ELb0ELb1E19rocblas_complex_numIfES1_PKS1_PS1_EviT_T9_T10_S5_lS7_S5_lS6_T11_S5_li
    .private_segment_fixed_size: 0
    .sgpr_count:     38
    .sgpr_spill_count: 0
    .symbol:         _ZL29rocblas_internal_gemmt_kernelIiLi16ELi32ELi8ELc84ELc67ELc76ELb0ELb1E19rocblas_complex_numIfES1_PKS1_PS1_EviT_T9_T10_S5_lS7_S5_lS6_T11_S5_li.kd
    .uniform_work_group_size: 1
    .uses_dynamic_stack: false
    .vgpr_count:     57
    .vgpr_spill_count: 0
    .wavefront_size: 32
  - .args:
      - .offset:         0
        .size:           4
        .value_kind:     by_value
      - .offset:         4
        .size:           4
        .value_kind:     by_value
      - .offset:         8
        .size:           8
        .value_kind:     by_value
      - .address_space:  global
        .offset:         16
        .size:           8
        .value_kind:     global_buffer
      - .offset:         24
        .size:           4
        .value_kind:     by_value
      - .offset:         32
        .size:           8
        .value_kind:     by_value
      - .address_space:  global
        .offset:         40
        .size:           8
        .value_kind:     global_buffer
      - .offset:         48
        .size:           4
        .value_kind:     by_value
      - .offset:         56
        .size:           8
        .value_kind:     by_value
      - .offset:         64
        .size:           8
        .value_kind:     by_value
      - .address_space:  global
        .offset:         72
        .size:           8
        .value_kind:     global_buffer
      - .offset:         80
        .size:           4
        .value_kind:     by_value
      - .offset:         88
        .size:           8
        .value_kind:     by_value
      - .offset:         96
        .size:           4
        .value_kind:     by_value
    .group_segment_fixed_size: 4096
    .kernarg_segment_align: 8
    .kernarg_segment_size: 100
    .language:       OpenCL C
    .language_version:
      - 2
      - 0
    .max_flat_workgroup_size: 256
    .name:           _ZL29rocblas_internal_gemmt_kernelIiLi16ELi32ELi8ELc67ELc78ELc76ELb1ELb0E19rocblas_complex_numIfES1_PKS1_PS1_EviT_T9_T10_S5_lS7_S5_lS6_T11_S5_li
    .private_segment_fixed_size: 0
    .sgpr_count:     37
    .sgpr_spill_count: 0
    .symbol:         _ZL29rocblas_internal_gemmt_kernelIiLi16ELi32ELi8ELc67ELc78ELc76ELb1ELb0E19rocblas_complex_numIfES1_PKS1_PS1_EviT_T9_T10_S5_lS7_S5_lS6_T11_S5_li.kd
    .uniform_work_group_size: 1
    .uses_dynamic_stack: false
    .vgpr_count:     54
    .vgpr_spill_count: 0
    .wavefront_size: 32
  - .args:
      - .offset:         0
        .size:           4
        .value_kind:     by_value
      - .offset:         4
        .size:           4
        .value_kind:     by_value
      - .offset:         8
        .size:           8
        .value_kind:     by_value
      - .address_space:  global
        .offset:         16
        .size:           8
        .value_kind:     global_buffer
      - .offset:         24
        .size:           4
        .value_kind:     by_value
      - .offset:         32
        .size:           8
        .value_kind:     by_value
      - .address_space:  global
        .offset:         40
        .size:           8
        .value_kind:     global_buffer
      - .offset:         48
        .size:           4
        .value_kind:     by_value
      - .offset:         56
        .size:           8
        .value_kind:     by_value
      - .offset:         64
        .size:           8
        .value_kind:     by_value
      - .address_space:  global
        .offset:         72
        .size:           8
        .value_kind:     global_buffer
      - .offset:         80
        .size:           4
        .value_kind:     by_value
      - .offset:         88
        .size:           8
        .value_kind:     by_value
      - .offset:         96
        .size:           4
        .value_kind:     by_value
    .group_segment_fixed_size: 4096
    .kernarg_segment_align: 8
    .kernarg_segment_size: 100
    .language:       OpenCL C
    .language_version:
      - 2
      - 0
    .max_flat_workgroup_size: 256
    .name:           _ZL29rocblas_internal_gemmt_kernelIiLi16ELi32ELi8ELc67ELc84ELc76ELb1ELb0E19rocblas_complex_numIfES1_PKS1_PS1_EviT_T9_T10_S5_lS7_S5_lS6_T11_S5_li
    .private_segment_fixed_size: 0
    .sgpr_count:     38
    .sgpr_spill_count: 0
    .symbol:         _ZL29rocblas_internal_gemmt_kernelIiLi16ELi32ELi8ELc67ELc84ELc76ELb1ELb0E19rocblas_complex_numIfES1_PKS1_PS1_EviT_T9_T10_S5_lS7_S5_lS6_T11_S5_li.kd
    .uniform_work_group_size: 1
    .uses_dynamic_stack: false
    .vgpr_count:     57
    .vgpr_spill_count: 0
    .wavefront_size: 32
  - .args:
      - .offset:         0
        .size:           4
        .value_kind:     by_value
      - .offset:         4
        .size:           4
        .value_kind:     by_value
      - .offset:         8
        .size:           8
        .value_kind:     by_value
      - .address_space:  global
        .offset:         16
        .size:           8
        .value_kind:     global_buffer
      - .offset:         24
        .size:           4
        .value_kind:     by_value
      - .offset:         32
        .size:           8
        .value_kind:     by_value
      - .address_space:  global
        .offset:         40
        .size:           8
        .value_kind:     global_buffer
      - .offset:         48
        .size:           4
        .value_kind:     by_value
      - .offset:         56
        .size:           8
        .value_kind:     by_value
      - .offset:         64
        .size:           8
        .value_kind:     by_value
      - .address_space:  global
        .offset:         72
        .size:           8
        .value_kind:     global_buffer
      - .offset:         80
        .size:           4
        .value_kind:     by_value
      - .offset:         88
        .size:           8
        .value_kind:     by_value
      - .offset:         96
        .size:           4
        .value_kind:     by_value
    .group_segment_fixed_size: 4096
    .kernarg_segment_align: 8
    .kernarg_segment_size: 100
    .language:       OpenCL C
    .language_version:
      - 2
      - 0
    .max_flat_workgroup_size: 256
    .name:           _ZL29rocblas_internal_gemmt_kernelIiLi16ELi32ELi8ELc67ELc67ELc76ELb1ELb1E19rocblas_complex_numIfES1_PKS1_PS1_EviT_T9_T10_S5_lS7_S5_lS6_T11_S5_li
    .private_segment_fixed_size: 0
    .sgpr_count:     38
    .sgpr_spill_count: 0
    .symbol:         _ZL29rocblas_internal_gemmt_kernelIiLi16ELi32ELi8ELc67ELc67ELc76ELb1ELb1E19rocblas_complex_numIfES1_PKS1_PS1_EviT_T9_T10_S5_lS7_S5_lS6_T11_S5_li.kd
    .uniform_work_group_size: 1
    .uses_dynamic_stack: false
    .vgpr_count:     57
    .vgpr_spill_count: 0
    .wavefront_size: 32
  - .args:
      - .offset:         0
        .size:           4
        .value_kind:     by_value
      - .offset:         4
        .size:           4
        .value_kind:     by_value
      - .address_space:  global
        .offset:         8
        .size:           8
        .value_kind:     global_buffer
      - .address_space:  global
        .offset:         16
        .size:           8
        .value_kind:     global_buffer
      - .offset:         24
        .size:           4
        .value_kind:     by_value
      - .offset:         32
        .size:           8
        .value_kind:     by_value
      - .address_space:  global
        .offset:         40
        .size:           8
        .value_kind:     global_buffer
      - .offset:         48
        .size:           4
        .value_kind:     by_value
      - .offset:         56
        .size:           8
        .value_kind:     by_value
      - .address_space:  global
        .offset:         64
        .size:           8
        .value_kind:     global_buffer
      - .address_space:  global
        .offset:         72
        .size:           8
        .value_kind:     global_buffer
      - .offset:         80
        .size:           4
        .value_kind:     by_value
      - .offset:         88
        .size:           8
        .value_kind:     by_value
      - .offset:         96
        .size:           4
        .value_kind:     by_value
    .group_segment_fixed_size: 8192
    .kernarg_segment_align: 8
    .kernarg_segment_size: 100
    .language:       OpenCL C
    .language_version:
      - 2
      - 0
    .max_flat_workgroup_size: 256
    .name:           _ZL29rocblas_internal_gemmt_kernelIiLi16ELi32ELi8ELc78ELc78ELc85ELb0ELb0E19rocblas_complex_numIdEPKS1_S3_PS1_EviT_T9_T10_S5_lS7_S5_lS6_T11_S5_li
    .private_segment_fixed_size: 0
    .sgpr_count:     43
    .sgpr_spill_count: 0
    .symbol:         _ZL29rocblas_internal_gemmt_kernelIiLi16ELi32ELi8ELc78ELc78ELc85ELb0ELb0E19rocblas_complex_numIdEPKS1_S3_PS1_EviT_T9_T10_S5_lS7_S5_lS6_T11_S5_li.kd
    .uniform_work_group_size: 1
    .uses_dynamic_stack: false
    .vgpr_count:     66
    .vgpr_spill_count: 0
    .wavefront_size: 32
  - .args:
      - .offset:         0
        .size:           4
        .value_kind:     by_value
      - .offset:         4
        .size:           4
        .value_kind:     by_value
      - .address_space:  global
        .offset:         8
        .size:           8
        .value_kind:     global_buffer
      - .address_space:  global
        .offset:         16
        .size:           8
        .value_kind:     global_buffer
      - .offset:         24
        .size:           4
        .value_kind:     by_value
      - .offset:         32
        .size:           8
        .value_kind:     by_value
      - .address_space:  global
        .offset:         40
        .size:           8
        .value_kind:     global_buffer
      - .offset:         48
        .size:           4
        .value_kind:     by_value
      - .offset:         56
        .size:           8
        .value_kind:     by_value
      - .address_space:  global
        .offset:         64
        .size:           8
        .value_kind:     global_buffer
      - .address_space:  global
        .offset:         72
        .size:           8
        .value_kind:     global_buffer
      - .offset:         80
        .size:           4
        .value_kind:     by_value
      - .offset:         88
        .size:           8
        .value_kind:     by_value
      - .offset:         96
        .size:           4
        .value_kind:     by_value
    .group_segment_fixed_size: 8192
    .kernarg_segment_align: 8
    .kernarg_segment_size: 100
    .language:       OpenCL C
    .language_version:
      - 2
      - 0
    .max_flat_workgroup_size: 256
    .name:           _ZL29rocblas_internal_gemmt_kernelIiLi16ELi32ELi8ELc78ELc84ELc85ELb0ELb0E19rocblas_complex_numIdEPKS1_S3_PS1_EviT_T9_T10_S5_lS7_S5_lS6_T11_S5_li
    .private_segment_fixed_size: 0
    .sgpr_count:     44
    .sgpr_spill_count: 0
    .symbol:         _ZL29rocblas_internal_gemmt_kernelIiLi16ELi32ELi8ELc78ELc84ELc85ELb0ELb0E19rocblas_complex_numIdEPKS1_S3_PS1_EviT_T9_T10_S5_lS7_S5_lS6_T11_S5_li.kd
    .uniform_work_group_size: 1
    .uses_dynamic_stack: false
    .vgpr_count:     66
    .vgpr_spill_count: 0
    .wavefront_size: 32
  - .args:
      - .offset:         0
        .size:           4
        .value_kind:     by_value
      - .offset:         4
        .size:           4
        .value_kind:     by_value
      - .address_space:  global
        .offset:         8
        .size:           8
        .value_kind:     global_buffer
      - .address_space:  global
        .offset:         16
        .size:           8
        .value_kind:     global_buffer
      - .offset:         24
        .size:           4
        .value_kind:     by_value
      - .offset:         32
        .size:           8
        .value_kind:     by_value
      - .address_space:  global
        .offset:         40
        .size:           8
        .value_kind:     global_buffer
      - .offset:         48
        .size:           4
        .value_kind:     by_value
      - .offset:         56
        .size:           8
        .value_kind:     by_value
      - .address_space:  global
        .offset:         64
        .size:           8
        .value_kind:     global_buffer
      - .address_space:  global
        .offset:         72
        .size:           8
        .value_kind:     global_buffer
      - .offset:         80
        .size:           4
        .value_kind:     by_value
      - .offset:         88
        .size:           8
        .value_kind:     by_value
      - .offset:         96
        .size:           4
        .value_kind:     by_value
    .group_segment_fixed_size: 8192
    .kernarg_segment_align: 8
    .kernarg_segment_size: 100
    .language:       OpenCL C
    .language_version:
      - 2
      - 0
    .max_flat_workgroup_size: 256
    .name:           _ZL29rocblas_internal_gemmt_kernelIiLi16ELi32ELi8ELc78ELc67ELc85ELb0ELb1E19rocblas_complex_numIdEPKS1_S3_PS1_EviT_T9_T10_S5_lS7_S5_lS6_T11_S5_li
    .private_segment_fixed_size: 0
    .sgpr_count:     43
    .sgpr_spill_count: 0
    .symbol:         _ZL29rocblas_internal_gemmt_kernelIiLi16ELi32ELi8ELc78ELc67ELc85ELb0ELb1E19rocblas_complex_numIdEPKS1_S3_PS1_EviT_T9_T10_S5_lS7_S5_lS6_T11_S5_li.kd
    .uniform_work_group_size: 1
    .uses_dynamic_stack: false
    .vgpr_count:     130
    .vgpr_spill_count: 0
    .wavefront_size: 32
  - .args:
      - .offset:         0
        .size:           4
        .value_kind:     by_value
      - .offset:         4
        .size:           4
        .value_kind:     by_value
      - .address_space:  global
        .offset:         8
        .size:           8
        .value_kind:     global_buffer
      - .address_space:  global
        .offset:         16
        .size:           8
        .value_kind:     global_buffer
      - .offset:         24
        .size:           4
        .value_kind:     by_value
      - .offset:         32
        .size:           8
        .value_kind:     by_value
      - .address_space:  global
        .offset:         40
        .size:           8
        .value_kind:     global_buffer
      - .offset:         48
        .size:           4
        .value_kind:     by_value
      - .offset:         56
        .size:           8
        .value_kind:     by_value
      - .address_space:  global
        .offset:         64
        .size:           8
        .value_kind:     global_buffer
      - .address_space:  global
        .offset:         72
        .size:           8
        .value_kind:     global_buffer
      - .offset:         80
        .size:           4
        .value_kind:     by_value
      - .offset:         88
        .size:           8
        .value_kind:     by_value
      - .offset:         96
        .size:           4
        .value_kind:     by_value
    .group_segment_fixed_size: 8192
    .kernarg_segment_align: 8
    .kernarg_segment_size: 100
    .language:       OpenCL C
    .language_version:
      - 2
      - 0
    .max_flat_workgroup_size: 256
    .name:           _ZL29rocblas_internal_gemmt_kernelIiLi16ELi32ELi8ELc84ELc78ELc85ELb0ELb0E19rocblas_complex_numIdEPKS1_S3_PS1_EviT_T9_T10_S5_lS7_S5_lS6_T11_S5_li
    .private_segment_fixed_size: 0
    .sgpr_count:     43
    .sgpr_spill_count: 0
    .symbol:         _ZL29rocblas_internal_gemmt_kernelIiLi16ELi32ELi8ELc84ELc78ELc85ELb0ELb0E19rocblas_complex_numIdEPKS1_S3_PS1_EviT_T9_T10_S5_lS7_S5_lS6_T11_S5_li.kd
    .uniform_work_group_size: 1
    .uses_dynamic_stack: false
    .vgpr_count:     66
    .vgpr_spill_count: 0
    .wavefront_size: 32
  - .args:
      - .offset:         0
        .size:           4
        .value_kind:     by_value
      - .offset:         4
        .size:           4
        .value_kind:     by_value
      - .address_space:  global
        .offset:         8
        .size:           8
        .value_kind:     global_buffer
      - .address_space:  global
        .offset:         16
        .size:           8
        .value_kind:     global_buffer
      - .offset:         24
        .size:           4
        .value_kind:     by_value
      - .offset:         32
        .size:           8
        .value_kind:     by_value
      - .address_space:  global
        .offset:         40
        .size:           8
        .value_kind:     global_buffer
      - .offset:         48
        .size:           4
        .value_kind:     by_value
      - .offset:         56
        .size:           8
        .value_kind:     by_value
      - .address_space:  global
        .offset:         64
        .size:           8
        .value_kind:     global_buffer
      - .address_space:  global
        .offset:         72
        .size:           8
        .value_kind:     global_buffer
      - .offset:         80
        .size:           4
        .value_kind:     by_value
      - .offset:         88
        .size:           8
        .value_kind:     by_value
      - .offset:         96
        .size:           4
        .value_kind:     by_value
    .group_segment_fixed_size: 8192
    .kernarg_segment_align: 8
    .kernarg_segment_size: 100
    .language:       OpenCL C
    .language_version:
      - 2
      - 0
    .max_flat_workgroup_size: 256
    .name:           _ZL29rocblas_internal_gemmt_kernelIiLi16ELi32ELi8ELc84ELc84ELc85ELb0ELb0E19rocblas_complex_numIdEPKS1_S3_PS1_EviT_T9_T10_S5_lS7_S5_lS6_T11_S5_li
    .private_segment_fixed_size: 0
    .sgpr_count:     43
    .sgpr_spill_count: 0
    .symbol:         _ZL29rocblas_internal_gemmt_kernelIiLi16ELi32ELi8ELc84ELc84ELc85ELb0ELb0E19rocblas_complex_numIdEPKS1_S3_PS1_EviT_T9_T10_S5_lS7_S5_lS6_T11_S5_li.kd
    .uniform_work_group_size: 1
    .uses_dynamic_stack: false
    .vgpr_count:     66
    .vgpr_spill_count: 0
    .wavefront_size: 32
  - .args:
      - .offset:         0
        .size:           4
        .value_kind:     by_value
      - .offset:         4
        .size:           4
        .value_kind:     by_value
      - .address_space:  global
        .offset:         8
        .size:           8
        .value_kind:     global_buffer
      - .address_space:  global
        .offset:         16
        .size:           8
        .value_kind:     global_buffer
      - .offset:         24
        .size:           4
        .value_kind:     by_value
      - .offset:         32
        .size:           8
        .value_kind:     by_value
      - .address_space:  global
        .offset:         40
        .size:           8
        .value_kind:     global_buffer
      - .offset:         48
        .size:           4
        .value_kind:     by_value
      - .offset:         56
        .size:           8
        .value_kind:     by_value
      - .address_space:  global
        .offset:         64
        .size:           8
        .value_kind:     global_buffer
      - .address_space:  global
        .offset:         72
        .size:           8
        .value_kind:     global_buffer
      - .offset:         80
        .size:           4
        .value_kind:     by_value
      - .offset:         88
        .size:           8
        .value_kind:     by_value
      - .offset:         96
        .size:           4
        .value_kind:     by_value
    .group_segment_fixed_size: 8192
    .kernarg_segment_align: 8
    .kernarg_segment_size: 100
    .language:       OpenCL C
    .language_version:
      - 2
      - 0
    .max_flat_workgroup_size: 256
    .name:           _ZL29rocblas_internal_gemmt_kernelIiLi16ELi32ELi8ELc84ELc67ELc85ELb0ELb1E19rocblas_complex_numIdEPKS1_S3_PS1_EviT_T9_T10_S5_lS7_S5_lS6_T11_S5_li
    .private_segment_fixed_size: 0
    .sgpr_count:     43
    .sgpr_spill_count: 0
    .symbol:         _ZL29rocblas_internal_gemmt_kernelIiLi16ELi32ELi8ELc84ELc67ELc85ELb0ELb1E19rocblas_complex_numIdEPKS1_S3_PS1_EviT_T9_T10_S5_lS7_S5_lS6_T11_S5_li.kd
    .uniform_work_group_size: 1
    .uses_dynamic_stack: false
    .vgpr_count:     130
    .vgpr_spill_count: 0
    .wavefront_size: 32
  - .args:
      - .offset:         0
        .size:           4
        .value_kind:     by_value
      - .offset:         4
        .size:           4
        .value_kind:     by_value
      - .address_space:  global
        .offset:         8
        .size:           8
        .value_kind:     global_buffer
      - .address_space:  global
        .offset:         16
        .size:           8
        .value_kind:     global_buffer
      - .offset:         24
        .size:           4
        .value_kind:     by_value
      - .offset:         32
        .size:           8
        .value_kind:     by_value
      - .address_space:  global
        .offset:         40
        .size:           8
        .value_kind:     global_buffer
      - .offset:         48
        .size:           4
        .value_kind:     by_value
      - .offset:         56
        .size:           8
        .value_kind:     by_value
      - .address_space:  global
        .offset:         64
        .size:           8
        .value_kind:     global_buffer
      - .address_space:  global
        .offset:         72
        .size:           8
        .value_kind:     global_buffer
      - .offset:         80
        .size:           4
        .value_kind:     by_value
      - .offset:         88
        .size:           8
        .value_kind:     by_value
      - .offset:         96
        .size:           4
        .value_kind:     by_value
    .group_segment_fixed_size: 8192
    .kernarg_segment_align: 8
    .kernarg_segment_size: 100
    .language:       OpenCL C
    .language_version:
      - 2
      - 0
    .max_flat_workgroup_size: 256
    .name:           _ZL29rocblas_internal_gemmt_kernelIiLi16ELi32ELi8ELc67ELc78ELc85ELb1ELb0E19rocblas_complex_numIdEPKS1_S3_PS1_EviT_T9_T10_S5_lS7_S5_lS6_T11_S5_li
    .private_segment_fixed_size: 0
    .sgpr_count:     43
    .sgpr_spill_count: 0
    .symbol:         _ZL29rocblas_internal_gemmt_kernelIiLi16ELi32ELi8ELc67ELc78ELc85ELb1ELb0E19rocblas_complex_numIdEPKS1_S3_PS1_EviT_T9_T10_S5_lS7_S5_lS6_T11_S5_li.kd
    .uniform_work_group_size: 1
    .uses_dynamic_stack: false
    .vgpr_count:     130
    .vgpr_spill_count: 0
    .wavefront_size: 32
  - .args:
      - .offset:         0
        .size:           4
        .value_kind:     by_value
      - .offset:         4
        .size:           4
        .value_kind:     by_value
      - .address_space:  global
        .offset:         8
        .size:           8
        .value_kind:     global_buffer
      - .address_space:  global
        .offset:         16
        .size:           8
        .value_kind:     global_buffer
      - .offset:         24
        .size:           4
        .value_kind:     by_value
      - .offset:         32
        .size:           8
        .value_kind:     by_value
      - .address_space:  global
        .offset:         40
        .size:           8
        .value_kind:     global_buffer
      - .offset:         48
        .size:           4
        .value_kind:     by_value
      - .offset:         56
        .size:           8
        .value_kind:     by_value
      - .address_space:  global
        .offset:         64
        .size:           8
        .value_kind:     global_buffer
      - .address_space:  global
        .offset:         72
        .size:           8
        .value_kind:     global_buffer
      - .offset:         80
        .size:           4
        .value_kind:     by_value
      - .offset:         88
        .size:           8
        .value_kind:     by_value
      - .offset:         96
        .size:           4
        .value_kind:     by_value
    .group_segment_fixed_size: 8192
    .kernarg_segment_align: 8
    .kernarg_segment_size: 100
    .language:       OpenCL C
    .language_version:
      - 2
      - 0
    .max_flat_workgroup_size: 256
    .name:           _ZL29rocblas_internal_gemmt_kernelIiLi16ELi32ELi8ELc67ELc84ELc85ELb1ELb0E19rocblas_complex_numIdEPKS1_S3_PS1_EviT_T9_T10_S5_lS7_S5_lS6_T11_S5_li
    .private_segment_fixed_size: 0
    .sgpr_count:     43
    .sgpr_spill_count: 0
    .symbol:         _ZL29rocblas_internal_gemmt_kernelIiLi16ELi32ELi8ELc67ELc84ELc85ELb1ELb0E19rocblas_complex_numIdEPKS1_S3_PS1_EviT_T9_T10_S5_lS7_S5_lS6_T11_S5_li.kd
    .uniform_work_group_size: 1
    .uses_dynamic_stack: false
    .vgpr_count:     130
    .vgpr_spill_count: 0
    .wavefront_size: 32
  - .args:
      - .offset:         0
        .size:           4
        .value_kind:     by_value
      - .offset:         4
        .size:           4
        .value_kind:     by_value
      - .address_space:  global
        .offset:         8
        .size:           8
        .value_kind:     global_buffer
      - .address_space:  global
        .offset:         16
        .size:           8
        .value_kind:     global_buffer
      - .offset:         24
        .size:           4
        .value_kind:     by_value
      - .offset:         32
        .size:           8
        .value_kind:     by_value
      - .address_space:  global
        .offset:         40
        .size:           8
        .value_kind:     global_buffer
      - .offset:         48
        .size:           4
        .value_kind:     by_value
      - .offset:         56
        .size:           8
        .value_kind:     by_value
      - .address_space:  global
        .offset:         64
        .size:           8
        .value_kind:     global_buffer
      - .address_space:  global
        .offset:         72
        .size:           8
        .value_kind:     global_buffer
      - .offset:         80
        .size:           4
        .value_kind:     by_value
      - .offset:         88
        .size:           8
        .value_kind:     by_value
      - .offset:         96
        .size:           4
        .value_kind:     by_value
    .group_segment_fixed_size: 8192
    .kernarg_segment_align: 8
    .kernarg_segment_size: 100
    .language:       OpenCL C
    .language_version:
      - 2
      - 0
    .max_flat_workgroup_size: 256
    .name:           _ZL29rocblas_internal_gemmt_kernelIiLi16ELi32ELi8ELc67ELc67ELc85ELb1ELb1E19rocblas_complex_numIdEPKS1_S3_PS1_EviT_T9_T10_S5_lS7_S5_lS6_T11_S5_li
    .private_segment_fixed_size: 0
    .sgpr_count:     43
    .sgpr_spill_count: 0
    .symbol:         _ZL29rocblas_internal_gemmt_kernelIiLi16ELi32ELi8ELc67ELc67ELc85ELb1ELb1E19rocblas_complex_numIdEPKS1_S3_PS1_EviT_T9_T10_S5_lS7_S5_lS6_T11_S5_li.kd
    .uniform_work_group_size: 1
    .uses_dynamic_stack: false
    .vgpr_count:     128
    .vgpr_spill_count: 0
    .wavefront_size: 32
  - .args:
      - .offset:         0
        .size:           4
        .value_kind:     by_value
      - .offset:         4
        .size:           4
        .value_kind:     by_value
      - .address_space:  global
        .offset:         8
        .size:           8
        .value_kind:     global_buffer
      - .address_space:  global
        .offset:         16
        .size:           8
        .value_kind:     global_buffer
      - .offset:         24
        .size:           4
        .value_kind:     by_value
      - .offset:         32
        .size:           8
        .value_kind:     by_value
      - .address_space:  global
        .offset:         40
        .size:           8
        .value_kind:     global_buffer
      - .offset:         48
        .size:           4
        .value_kind:     by_value
      - .offset:         56
        .size:           8
        .value_kind:     by_value
      - .address_space:  global
        .offset:         64
        .size:           8
        .value_kind:     global_buffer
      - .address_space:  global
        .offset:         72
        .size:           8
        .value_kind:     global_buffer
      - .offset:         80
        .size:           4
        .value_kind:     by_value
      - .offset:         88
        .size:           8
        .value_kind:     by_value
      - .offset:         96
        .size:           4
        .value_kind:     by_value
    .group_segment_fixed_size: 8192
    .kernarg_segment_align: 8
    .kernarg_segment_size: 100
    .language:       OpenCL C
    .language_version:
      - 2
      - 0
    .max_flat_workgroup_size: 256
    .name:           _ZL29rocblas_internal_gemmt_kernelIiLi16ELi32ELi8ELc78ELc78ELc76ELb0ELb0E19rocblas_complex_numIdEPKS1_S3_PS1_EviT_T9_T10_S5_lS7_S5_lS6_T11_S5_li
    .private_segment_fixed_size: 0
    .sgpr_count:     43
    .sgpr_spill_count: 0
    .symbol:         _ZL29rocblas_internal_gemmt_kernelIiLi16ELi32ELi8ELc78ELc78ELc76ELb0ELb0E19rocblas_complex_numIdEPKS1_S3_PS1_EviT_T9_T10_S5_lS7_S5_lS6_T11_S5_li.kd
    .uniform_work_group_size: 1
    .uses_dynamic_stack: false
    .vgpr_count:     66
    .vgpr_spill_count: 0
    .wavefront_size: 32
  - .args:
      - .offset:         0
        .size:           4
        .value_kind:     by_value
      - .offset:         4
        .size:           4
        .value_kind:     by_value
      - .address_space:  global
        .offset:         8
        .size:           8
        .value_kind:     global_buffer
      - .address_space:  global
        .offset:         16
        .size:           8
        .value_kind:     global_buffer
      - .offset:         24
        .size:           4
        .value_kind:     by_value
      - .offset:         32
        .size:           8
        .value_kind:     by_value
      - .address_space:  global
        .offset:         40
        .size:           8
        .value_kind:     global_buffer
      - .offset:         48
        .size:           4
        .value_kind:     by_value
      - .offset:         56
        .size:           8
        .value_kind:     by_value
      - .address_space:  global
        .offset:         64
        .size:           8
        .value_kind:     global_buffer
      - .address_space:  global
        .offset:         72
        .size:           8
        .value_kind:     global_buffer
      - .offset:         80
        .size:           4
        .value_kind:     by_value
      - .offset:         88
        .size:           8
        .value_kind:     by_value
      - .offset:         96
        .size:           4
        .value_kind:     by_value
    .group_segment_fixed_size: 8192
    .kernarg_segment_align: 8
    .kernarg_segment_size: 100
    .language:       OpenCL C
    .language_version:
      - 2
      - 0
    .max_flat_workgroup_size: 256
    .name:           _ZL29rocblas_internal_gemmt_kernelIiLi16ELi32ELi8ELc78ELc84ELc76ELb0ELb0E19rocblas_complex_numIdEPKS1_S3_PS1_EviT_T9_T10_S5_lS7_S5_lS6_T11_S5_li
    .private_segment_fixed_size: 0
    .sgpr_count:     44
    .sgpr_spill_count: 0
    .symbol:         _ZL29rocblas_internal_gemmt_kernelIiLi16ELi32ELi8ELc78ELc84ELc76ELb0ELb0E19rocblas_complex_numIdEPKS1_S3_PS1_EviT_T9_T10_S5_lS7_S5_lS6_T11_S5_li.kd
    .uniform_work_group_size: 1
    .uses_dynamic_stack: false
    .vgpr_count:     66
    .vgpr_spill_count: 0
    .wavefront_size: 32
  - .args:
      - .offset:         0
        .size:           4
        .value_kind:     by_value
      - .offset:         4
        .size:           4
        .value_kind:     by_value
      - .address_space:  global
        .offset:         8
        .size:           8
        .value_kind:     global_buffer
      - .address_space:  global
        .offset:         16
        .size:           8
        .value_kind:     global_buffer
      - .offset:         24
        .size:           4
        .value_kind:     by_value
      - .offset:         32
        .size:           8
        .value_kind:     by_value
      - .address_space:  global
        .offset:         40
        .size:           8
        .value_kind:     global_buffer
      - .offset:         48
        .size:           4
        .value_kind:     by_value
      - .offset:         56
        .size:           8
        .value_kind:     by_value
      - .address_space:  global
        .offset:         64
        .size:           8
        .value_kind:     global_buffer
      - .address_space:  global
        .offset:         72
        .size:           8
        .value_kind:     global_buffer
      - .offset:         80
        .size:           4
        .value_kind:     by_value
      - .offset:         88
        .size:           8
        .value_kind:     by_value
      - .offset:         96
        .size:           4
        .value_kind:     by_value
    .group_segment_fixed_size: 8192
    .kernarg_segment_align: 8
    .kernarg_segment_size: 100
    .language:       OpenCL C
    .language_version:
      - 2
      - 0
    .max_flat_workgroup_size: 256
    .name:           _ZL29rocblas_internal_gemmt_kernelIiLi16ELi32ELi8ELc78ELc67ELc76ELb0ELb1E19rocblas_complex_numIdEPKS1_S3_PS1_EviT_T9_T10_S5_lS7_S5_lS6_T11_S5_li
    .private_segment_fixed_size: 0
    .sgpr_count:     43
    .sgpr_spill_count: 0
    .symbol:         _ZL29rocblas_internal_gemmt_kernelIiLi16ELi32ELi8ELc78ELc67ELc76ELb0ELb1E19rocblas_complex_numIdEPKS1_S3_PS1_EviT_T9_T10_S5_lS7_S5_lS6_T11_S5_li.kd
    .uniform_work_group_size: 1
    .uses_dynamic_stack: false
    .vgpr_count:     130
    .vgpr_spill_count: 0
    .wavefront_size: 32
  - .args:
      - .offset:         0
        .size:           4
        .value_kind:     by_value
      - .offset:         4
        .size:           4
        .value_kind:     by_value
      - .address_space:  global
        .offset:         8
        .size:           8
        .value_kind:     global_buffer
      - .address_space:  global
        .offset:         16
        .size:           8
        .value_kind:     global_buffer
      - .offset:         24
        .size:           4
        .value_kind:     by_value
      - .offset:         32
        .size:           8
        .value_kind:     by_value
      - .address_space:  global
        .offset:         40
        .size:           8
        .value_kind:     global_buffer
      - .offset:         48
        .size:           4
        .value_kind:     by_value
      - .offset:         56
        .size:           8
        .value_kind:     by_value
      - .address_space:  global
        .offset:         64
        .size:           8
        .value_kind:     global_buffer
      - .address_space:  global
        .offset:         72
        .size:           8
        .value_kind:     global_buffer
      - .offset:         80
        .size:           4
        .value_kind:     by_value
      - .offset:         88
        .size:           8
        .value_kind:     by_value
      - .offset:         96
        .size:           4
        .value_kind:     by_value
    .group_segment_fixed_size: 8192
    .kernarg_segment_align: 8
    .kernarg_segment_size: 100
    .language:       OpenCL C
    .language_version:
      - 2
      - 0
    .max_flat_workgroup_size: 256
    .name:           _ZL29rocblas_internal_gemmt_kernelIiLi16ELi32ELi8ELc84ELc78ELc76ELb0ELb0E19rocblas_complex_numIdEPKS1_S3_PS1_EviT_T9_T10_S5_lS7_S5_lS6_T11_S5_li
    .private_segment_fixed_size: 0
    .sgpr_count:     43
    .sgpr_spill_count: 0
    .symbol:         _ZL29rocblas_internal_gemmt_kernelIiLi16ELi32ELi8ELc84ELc78ELc76ELb0ELb0E19rocblas_complex_numIdEPKS1_S3_PS1_EviT_T9_T10_S5_lS7_S5_lS6_T11_S5_li.kd
    .uniform_work_group_size: 1
    .uses_dynamic_stack: false
    .vgpr_count:     66
    .vgpr_spill_count: 0
    .wavefront_size: 32
  - .args:
      - .offset:         0
        .size:           4
        .value_kind:     by_value
      - .offset:         4
        .size:           4
        .value_kind:     by_value
      - .address_space:  global
        .offset:         8
        .size:           8
        .value_kind:     global_buffer
      - .address_space:  global
        .offset:         16
        .size:           8
        .value_kind:     global_buffer
      - .offset:         24
        .size:           4
        .value_kind:     by_value
      - .offset:         32
        .size:           8
        .value_kind:     by_value
      - .address_space:  global
        .offset:         40
        .size:           8
        .value_kind:     global_buffer
      - .offset:         48
        .size:           4
        .value_kind:     by_value
      - .offset:         56
        .size:           8
        .value_kind:     by_value
      - .address_space:  global
        .offset:         64
        .size:           8
        .value_kind:     global_buffer
      - .address_space:  global
        .offset:         72
        .size:           8
        .value_kind:     global_buffer
      - .offset:         80
        .size:           4
        .value_kind:     by_value
      - .offset:         88
        .size:           8
        .value_kind:     by_value
      - .offset:         96
        .size:           4
        .value_kind:     by_value
    .group_segment_fixed_size: 8192
    .kernarg_segment_align: 8
    .kernarg_segment_size: 100
    .language:       OpenCL C
    .language_version:
      - 2
      - 0
    .max_flat_workgroup_size: 256
    .name:           _ZL29rocblas_internal_gemmt_kernelIiLi16ELi32ELi8ELc84ELc84ELc76ELb0ELb0E19rocblas_complex_numIdEPKS1_S3_PS1_EviT_T9_T10_S5_lS7_S5_lS6_T11_S5_li
    .private_segment_fixed_size: 0
    .sgpr_count:     43
    .sgpr_spill_count: 0
    .symbol:         _ZL29rocblas_internal_gemmt_kernelIiLi16ELi32ELi8ELc84ELc84ELc76ELb0ELb0E19rocblas_complex_numIdEPKS1_S3_PS1_EviT_T9_T10_S5_lS7_S5_lS6_T11_S5_li.kd
    .uniform_work_group_size: 1
    .uses_dynamic_stack: false
    .vgpr_count:     66
    .vgpr_spill_count: 0
    .wavefront_size: 32
  - .args:
      - .offset:         0
        .size:           4
        .value_kind:     by_value
      - .offset:         4
        .size:           4
        .value_kind:     by_value
      - .address_space:  global
        .offset:         8
        .size:           8
        .value_kind:     global_buffer
      - .address_space:  global
        .offset:         16
        .size:           8
        .value_kind:     global_buffer
      - .offset:         24
        .size:           4
        .value_kind:     by_value
      - .offset:         32
        .size:           8
        .value_kind:     by_value
      - .address_space:  global
        .offset:         40
        .size:           8
        .value_kind:     global_buffer
      - .offset:         48
        .size:           4
        .value_kind:     by_value
      - .offset:         56
        .size:           8
        .value_kind:     by_value
      - .address_space:  global
        .offset:         64
        .size:           8
        .value_kind:     global_buffer
      - .address_space:  global
        .offset:         72
        .size:           8
        .value_kind:     global_buffer
      - .offset:         80
        .size:           4
        .value_kind:     by_value
      - .offset:         88
        .size:           8
        .value_kind:     by_value
      - .offset:         96
        .size:           4
        .value_kind:     by_value
    .group_segment_fixed_size: 8192
    .kernarg_segment_align: 8
    .kernarg_segment_size: 100
    .language:       OpenCL C
    .language_version:
      - 2
      - 0
    .max_flat_workgroup_size: 256
    .name:           _ZL29rocblas_internal_gemmt_kernelIiLi16ELi32ELi8ELc84ELc67ELc76ELb0ELb1E19rocblas_complex_numIdEPKS1_S3_PS1_EviT_T9_T10_S5_lS7_S5_lS6_T11_S5_li
    .private_segment_fixed_size: 0
    .sgpr_count:     43
    .sgpr_spill_count: 0
    .symbol:         _ZL29rocblas_internal_gemmt_kernelIiLi16ELi32ELi8ELc84ELc67ELc76ELb0ELb1E19rocblas_complex_numIdEPKS1_S3_PS1_EviT_T9_T10_S5_lS7_S5_lS6_T11_S5_li.kd
    .uniform_work_group_size: 1
    .uses_dynamic_stack: false
    .vgpr_count:     130
    .vgpr_spill_count: 0
    .wavefront_size: 32
  - .args:
      - .offset:         0
        .size:           4
        .value_kind:     by_value
      - .offset:         4
        .size:           4
        .value_kind:     by_value
      - .address_space:  global
        .offset:         8
        .size:           8
        .value_kind:     global_buffer
      - .address_space:  global
        .offset:         16
        .size:           8
        .value_kind:     global_buffer
      - .offset:         24
        .size:           4
        .value_kind:     by_value
      - .offset:         32
        .size:           8
        .value_kind:     by_value
      - .address_space:  global
        .offset:         40
        .size:           8
        .value_kind:     global_buffer
      - .offset:         48
        .size:           4
        .value_kind:     by_value
      - .offset:         56
        .size:           8
        .value_kind:     by_value
      - .address_space:  global
        .offset:         64
        .size:           8
        .value_kind:     global_buffer
      - .address_space:  global
        .offset:         72
        .size:           8
        .value_kind:     global_buffer
      - .offset:         80
        .size:           4
        .value_kind:     by_value
      - .offset:         88
        .size:           8
        .value_kind:     by_value
      - .offset:         96
        .size:           4
        .value_kind:     by_value
    .group_segment_fixed_size: 8192
    .kernarg_segment_align: 8
    .kernarg_segment_size: 100
    .language:       OpenCL C
    .language_version:
      - 2
      - 0
    .max_flat_workgroup_size: 256
    .name:           _ZL29rocblas_internal_gemmt_kernelIiLi16ELi32ELi8ELc67ELc78ELc76ELb1ELb0E19rocblas_complex_numIdEPKS1_S3_PS1_EviT_T9_T10_S5_lS7_S5_lS6_T11_S5_li
    .private_segment_fixed_size: 0
    .sgpr_count:     43
    .sgpr_spill_count: 0
    .symbol:         _ZL29rocblas_internal_gemmt_kernelIiLi16ELi32ELi8ELc67ELc78ELc76ELb1ELb0E19rocblas_complex_numIdEPKS1_S3_PS1_EviT_T9_T10_S5_lS7_S5_lS6_T11_S5_li.kd
    .uniform_work_group_size: 1
    .uses_dynamic_stack: false
    .vgpr_count:     130
    .vgpr_spill_count: 0
    .wavefront_size: 32
  - .args:
      - .offset:         0
        .size:           4
        .value_kind:     by_value
      - .offset:         4
        .size:           4
        .value_kind:     by_value
      - .address_space:  global
        .offset:         8
        .size:           8
        .value_kind:     global_buffer
      - .address_space:  global
        .offset:         16
        .size:           8
        .value_kind:     global_buffer
      - .offset:         24
        .size:           4
        .value_kind:     by_value
      - .offset:         32
        .size:           8
        .value_kind:     by_value
      - .address_space:  global
        .offset:         40
        .size:           8
        .value_kind:     global_buffer
      - .offset:         48
        .size:           4
        .value_kind:     by_value
      - .offset:         56
        .size:           8
        .value_kind:     by_value
      - .address_space:  global
        .offset:         64
        .size:           8
        .value_kind:     global_buffer
      - .address_space:  global
        .offset:         72
        .size:           8
        .value_kind:     global_buffer
      - .offset:         80
        .size:           4
        .value_kind:     by_value
      - .offset:         88
        .size:           8
        .value_kind:     by_value
      - .offset:         96
        .size:           4
        .value_kind:     by_value
    .group_segment_fixed_size: 8192
    .kernarg_segment_align: 8
    .kernarg_segment_size: 100
    .language:       OpenCL C
    .language_version:
      - 2
      - 0
    .max_flat_workgroup_size: 256
    .name:           _ZL29rocblas_internal_gemmt_kernelIiLi16ELi32ELi8ELc67ELc84ELc76ELb1ELb0E19rocblas_complex_numIdEPKS1_S3_PS1_EviT_T9_T10_S5_lS7_S5_lS6_T11_S5_li
    .private_segment_fixed_size: 0
    .sgpr_count:     43
    .sgpr_spill_count: 0
    .symbol:         _ZL29rocblas_internal_gemmt_kernelIiLi16ELi32ELi8ELc67ELc84ELc76ELb1ELb0E19rocblas_complex_numIdEPKS1_S3_PS1_EviT_T9_T10_S5_lS7_S5_lS6_T11_S5_li.kd
    .uniform_work_group_size: 1
    .uses_dynamic_stack: false
    .vgpr_count:     130
    .vgpr_spill_count: 0
    .wavefront_size: 32
  - .args:
      - .offset:         0
        .size:           4
        .value_kind:     by_value
      - .offset:         4
        .size:           4
        .value_kind:     by_value
      - .address_space:  global
        .offset:         8
        .size:           8
        .value_kind:     global_buffer
      - .address_space:  global
        .offset:         16
        .size:           8
        .value_kind:     global_buffer
      - .offset:         24
        .size:           4
        .value_kind:     by_value
      - .offset:         32
        .size:           8
        .value_kind:     by_value
      - .address_space:  global
        .offset:         40
        .size:           8
        .value_kind:     global_buffer
      - .offset:         48
        .size:           4
        .value_kind:     by_value
      - .offset:         56
        .size:           8
        .value_kind:     by_value
      - .address_space:  global
        .offset:         64
        .size:           8
        .value_kind:     global_buffer
      - .address_space:  global
        .offset:         72
        .size:           8
        .value_kind:     global_buffer
      - .offset:         80
        .size:           4
        .value_kind:     by_value
      - .offset:         88
        .size:           8
        .value_kind:     by_value
      - .offset:         96
        .size:           4
        .value_kind:     by_value
    .group_segment_fixed_size: 8192
    .kernarg_segment_align: 8
    .kernarg_segment_size: 100
    .language:       OpenCL C
    .language_version:
      - 2
      - 0
    .max_flat_workgroup_size: 256
    .name:           _ZL29rocblas_internal_gemmt_kernelIiLi16ELi32ELi8ELc67ELc67ELc76ELb1ELb1E19rocblas_complex_numIdEPKS1_S3_PS1_EviT_T9_T10_S5_lS7_S5_lS6_T11_S5_li
    .private_segment_fixed_size: 0
    .sgpr_count:     43
    .sgpr_spill_count: 0
    .symbol:         _ZL29rocblas_internal_gemmt_kernelIiLi16ELi32ELi8ELc67ELc67ELc76ELb1ELb1E19rocblas_complex_numIdEPKS1_S3_PS1_EviT_T9_T10_S5_lS7_S5_lS6_T11_S5_li.kd
    .uniform_work_group_size: 1
    .uses_dynamic_stack: false
    .vgpr_count:     128
    .vgpr_spill_count: 0
    .wavefront_size: 32
  - .args:
      - .offset:         0
        .size:           4
        .value_kind:     by_value
      - .offset:         4
        .size:           4
        .value_kind:     by_value
      - .offset:         8
        .size:           16
        .value_kind:     by_value
      - .address_space:  global
        .offset:         24
        .size:           8
        .value_kind:     global_buffer
      - .offset:         32
        .size:           4
        .value_kind:     by_value
      - .offset:         40
        .size:           8
        .value_kind:     by_value
      - .address_space:  global
        .offset:         48
        .size:           8
        .value_kind:     global_buffer
      - .offset:         56
        .size:           4
        .value_kind:     by_value
      - .offset:         64
        .size:           8
        .value_kind:     by_value
      - .offset:         72
        .size:           16
        .value_kind:     by_value
      - .address_space:  global
        .offset:         88
        .size:           8
        .value_kind:     global_buffer
      - .offset:         96
        .size:           4
        .value_kind:     by_value
      - .offset:         104
        .size:           8
        .value_kind:     by_value
      - .offset:         112
        .size:           4
        .value_kind:     by_value
    .group_segment_fixed_size: 8192
    .kernarg_segment_align: 8
    .kernarg_segment_size: 116
    .language:       OpenCL C
    .language_version:
      - 2
      - 0
    .max_flat_workgroup_size: 256
    .name:           _ZL29rocblas_internal_gemmt_kernelIiLi16ELi32ELi8ELc78ELc78ELc85ELb0ELb0E19rocblas_complex_numIdES1_PKS1_PS1_EviT_T9_T10_S5_lS7_S5_lS6_T11_S5_li
    .private_segment_fixed_size: 0
    .sgpr_count:     43
    .sgpr_spill_count: 0
    .symbol:         _ZL29rocblas_internal_gemmt_kernelIiLi16ELi32ELi8ELc78ELc78ELc85ELb0ELb0E19rocblas_complex_numIdES1_PKS1_PS1_EviT_T9_T10_S5_lS7_S5_lS6_T11_S5_li.kd
    .uniform_work_group_size: 1
    .uses_dynamic_stack: false
    .vgpr_count:     66
    .vgpr_spill_count: 0
    .wavefront_size: 32
  - .args:
      - .offset:         0
        .size:           4
        .value_kind:     by_value
      - .offset:         4
        .size:           4
        .value_kind:     by_value
      - .offset:         8
        .size:           16
        .value_kind:     by_value
      - .address_space:  global
        .offset:         24
        .size:           8
        .value_kind:     global_buffer
      - .offset:         32
        .size:           4
        .value_kind:     by_value
      - .offset:         40
        .size:           8
        .value_kind:     by_value
      - .address_space:  global
        .offset:         48
        .size:           8
        .value_kind:     global_buffer
      - .offset:         56
        .size:           4
        .value_kind:     by_value
      - .offset:         64
        .size:           8
        .value_kind:     by_value
      - .offset:         72
        .size:           16
        .value_kind:     by_value
      - .address_space:  global
        .offset:         88
        .size:           8
        .value_kind:     global_buffer
      - .offset:         96
        .size:           4
        .value_kind:     by_value
      - .offset:         104
        .size:           8
        .value_kind:     by_value
      - .offset:         112
        .size:           4
        .value_kind:     by_value
    .group_segment_fixed_size: 8192
    .kernarg_segment_align: 8
    .kernarg_segment_size: 116
    .language:       OpenCL C
    .language_version:
      - 2
      - 0
    .max_flat_workgroup_size: 256
    .name:           _ZL29rocblas_internal_gemmt_kernelIiLi16ELi32ELi8ELc78ELc84ELc85ELb0ELb0E19rocblas_complex_numIdES1_PKS1_PS1_EviT_T9_T10_S5_lS7_S5_lS6_T11_S5_li
    .private_segment_fixed_size: 0
    .sgpr_count:     43
    .sgpr_spill_count: 0
    .symbol:         _ZL29rocblas_internal_gemmt_kernelIiLi16ELi32ELi8ELc78ELc84ELc85ELb0ELb0E19rocblas_complex_numIdES1_PKS1_PS1_EviT_T9_T10_S5_lS7_S5_lS6_T11_S5_li.kd
    .uniform_work_group_size: 1
    .uses_dynamic_stack: false
    .vgpr_count:     66
    .vgpr_spill_count: 0
    .wavefront_size: 32
  - .args:
      - .offset:         0
        .size:           4
        .value_kind:     by_value
      - .offset:         4
        .size:           4
        .value_kind:     by_value
      - .offset:         8
        .size:           16
        .value_kind:     by_value
      - .address_space:  global
        .offset:         24
        .size:           8
        .value_kind:     global_buffer
      - .offset:         32
        .size:           4
        .value_kind:     by_value
      - .offset:         40
        .size:           8
        .value_kind:     by_value
      - .address_space:  global
        .offset:         48
        .size:           8
        .value_kind:     global_buffer
      - .offset:         56
        .size:           4
        .value_kind:     by_value
      - .offset:         64
        .size:           8
        .value_kind:     by_value
      - .offset:         72
        .size:           16
        .value_kind:     by_value
      - .address_space:  global
        .offset:         88
        .size:           8
        .value_kind:     global_buffer
      - .offset:         96
        .size:           4
        .value_kind:     by_value
      - .offset:         104
        .size:           8
        .value_kind:     by_value
      - .offset:         112
        .size:           4
        .value_kind:     by_value
    .group_segment_fixed_size: 8192
    .kernarg_segment_align: 8
    .kernarg_segment_size: 116
    .language:       OpenCL C
    .language_version:
      - 2
      - 0
    .max_flat_workgroup_size: 256
    .name:           _ZL29rocblas_internal_gemmt_kernelIiLi16ELi32ELi8ELc78ELc67ELc85ELb0ELb1E19rocblas_complex_numIdES1_PKS1_PS1_EviT_T9_T10_S5_lS7_S5_lS6_T11_S5_li
    .private_segment_fixed_size: 0
    .sgpr_count:     43
    .sgpr_spill_count: 0
    .symbol:         _ZL29rocblas_internal_gemmt_kernelIiLi16ELi32ELi8ELc78ELc67ELc85ELb0ELb1E19rocblas_complex_numIdES1_PKS1_PS1_EviT_T9_T10_S5_lS7_S5_lS6_T11_S5_li.kd
    .uniform_work_group_size: 1
    .uses_dynamic_stack: false
    .vgpr_count:     130
    .vgpr_spill_count: 0
    .wavefront_size: 32
  - .args:
      - .offset:         0
        .size:           4
        .value_kind:     by_value
      - .offset:         4
        .size:           4
        .value_kind:     by_value
      - .offset:         8
        .size:           16
        .value_kind:     by_value
      - .address_space:  global
        .offset:         24
        .size:           8
        .value_kind:     global_buffer
      - .offset:         32
        .size:           4
        .value_kind:     by_value
      - .offset:         40
        .size:           8
        .value_kind:     by_value
      - .address_space:  global
        .offset:         48
        .size:           8
        .value_kind:     global_buffer
      - .offset:         56
        .size:           4
        .value_kind:     by_value
      - .offset:         64
        .size:           8
        .value_kind:     by_value
      - .offset:         72
        .size:           16
        .value_kind:     by_value
      - .address_space:  global
        .offset:         88
        .size:           8
        .value_kind:     global_buffer
      - .offset:         96
        .size:           4
        .value_kind:     by_value
      - .offset:         104
        .size:           8
        .value_kind:     by_value
      - .offset:         112
        .size:           4
        .value_kind:     by_value
    .group_segment_fixed_size: 8192
    .kernarg_segment_align: 8
    .kernarg_segment_size: 116
    .language:       OpenCL C
    .language_version:
      - 2
      - 0
    .max_flat_workgroup_size: 256
    .name:           _ZL29rocblas_internal_gemmt_kernelIiLi16ELi32ELi8ELc84ELc78ELc85ELb0ELb0E19rocblas_complex_numIdES1_PKS1_PS1_EviT_T9_T10_S5_lS7_S5_lS6_T11_S5_li
    .private_segment_fixed_size: 0
    .sgpr_count:     43
    .sgpr_spill_count: 0
    .symbol:         _ZL29rocblas_internal_gemmt_kernelIiLi16ELi32ELi8ELc84ELc78ELc85ELb0ELb0E19rocblas_complex_numIdES1_PKS1_PS1_EviT_T9_T10_S5_lS7_S5_lS6_T11_S5_li.kd
    .uniform_work_group_size: 1
    .uses_dynamic_stack: false
    .vgpr_count:     66
    .vgpr_spill_count: 0
    .wavefront_size: 32
  - .args:
      - .offset:         0
        .size:           4
        .value_kind:     by_value
      - .offset:         4
        .size:           4
        .value_kind:     by_value
      - .offset:         8
        .size:           16
        .value_kind:     by_value
      - .address_space:  global
        .offset:         24
        .size:           8
        .value_kind:     global_buffer
      - .offset:         32
        .size:           4
        .value_kind:     by_value
      - .offset:         40
        .size:           8
        .value_kind:     by_value
      - .address_space:  global
        .offset:         48
        .size:           8
        .value_kind:     global_buffer
      - .offset:         56
        .size:           4
        .value_kind:     by_value
      - .offset:         64
        .size:           8
        .value_kind:     by_value
      - .offset:         72
        .size:           16
        .value_kind:     by_value
      - .address_space:  global
        .offset:         88
        .size:           8
        .value_kind:     global_buffer
      - .offset:         96
        .size:           4
        .value_kind:     by_value
      - .offset:         104
        .size:           8
        .value_kind:     by_value
      - .offset:         112
        .size:           4
        .value_kind:     by_value
    .group_segment_fixed_size: 8192
    .kernarg_segment_align: 8
    .kernarg_segment_size: 116
    .language:       OpenCL C
    .language_version:
      - 2
      - 0
    .max_flat_workgroup_size: 256
    .name:           _ZL29rocblas_internal_gemmt_kernelIiLi16ELi32ELi8ELc84ELc84ELc85ELb0ELb0E19rocblas_complex_numIdES1_PKS1_PS1_EviT_T9_T10_S5_lS7_S5_lS6_T11_S5_li
    .private_segment_fixed_size: 0
    .sgpr_count:     43
    .sgpr_spill_count: 0
    .symbol:         _ZL29rocblas_internal_gemmt_kernelIiLi16ELi32ELi8ELc84ELc84ELc85ELb0ELb0E19rocblas_complex_numIdES1_PKS1_PS1_EviT_T9_T10_S5_lS7_S5_lS6_T11_S5_li.kd
    .uniform_work_group_size: 1
    .uses_dynamic_stack: false
    .vgpr_count:     66
    .vgpr_spill_count: 0
    .wavefront_size: 32
  - .args:
      - .offset:         0
        .size:           4
        .value_kind:     by_value
      - .offset:         4
        .size:           4
        .value_kind:     by_value
      - .offset:         8
        .size:           16
        .value_kind:     by_value
      - .address_space:  global
        .offset:         24
        .size:           8
        .value_kind:     global_buffer
      - .offset:         32
        .size:           4
        .value_kind:     by_value
      - .offset:         40
        .size:           8
        .value_kind:     by_value
      - .address_space:  global
        .offset:         48
        .size:           8
        .value_kind:     global_buffer
      - .offset:         56
        .size:           4
        .value_kind:     by_value
      - .offset:         64
        .size:           8
        .value_kind:     by_value
      - .offset:         72
        .size:           16
        .value_kind:     by_value
      - .address_space:  global
        .offset:         88
        .size:           8
        .value_kind:     global_buffer
      - .offset:         96
        .size:           4
        .value_kind:     by_value
      - .offset:         104
        .size:           8
        .value_kind:     by_value
      - .offset:         112
        .size:           4
        .value_kind:     by_value
    .group_segment_fixed_size: 8192
    .kernarg_segment_align: 8
    .kernarg_segment_size: 116
    .language:       OpenCL C
    .language_version:
      - 2
      - 0
    .max_flat_workgroup_size: 256
    .name:           _ZL29rocblas_internal_gemmt_kernelIiLi16ELi32ELi8ELc84ELc67ELc85ELb0ELb1E19rocblas_complex_numIdES1_PKS1_PS1_EviT_T9_T10_S5_lS7_S5_lS6_T11_S5_li
    .private_segment_fixed_size: 0
    .sgpr_count:     43
    .sgpr_spill_count: 0
    .symbol:         _ZL29rocblas_internal_gemmt_kernelIiLi16ELi32ELi8ELc84ELc67ELc85ELb0ELb1E19rocblas_complex_numIdES1_PKS1_PS1_EviT_T9_T10_S5_lS7_S5_lS6_T11_S5_li.kd
    .uniform_work_group_size: 1
    .uses_dynamic_stack: false
    .vgpr_count:     130
    .vgpr_spill_count: 0
    .wavefront_size: 32
  - .args:
      - .offset:         0
        .size:           4
        .value_kind:     by_value
      - .offset:         4
        .size:           4
        .value_kind:     by_value
      - .offset:         8
        .size:           16
        .value_kind:     by_value
      - .address_space:  global
        .offset:         24
        .size:           8
        .value_kind:     global_buffer
      - .offset:         32
        .size:           4
        .value_kind:     by_value
      - .offset:         40
        .size:           8
        .value_kind:     by_value
      - .address_space:  global
        .offset:         48
        .size:           8
        .value_kind:     global_buffer
      - .offset:         56
        .size:           4
        .value_kind:     by_value
      - .offset:         64
        .size:           8
        .value_kind:     by_value
      - .offset:         72
        .size:           16
        .value_kind:     by_value
      - .address_space:  global
        .offset:         88
        .size:           8
        .value_kind:     global_buffer
      - .offset:         96
        .size:           4
        .value_kind:     by_value
      - .offset:         104
        .size:           8
        .value_kind:     by_value
      - .offset:         112
        .size:           4
        .value_kind:     by_value
    .group_segment_fixed_size: 8192
    .kernarg_segment_align: 8
    .kernarg_segment_size: 116
    .language:       OpenCL C
    .language_version:
      - 2
      - 0
    .max_flat_workgroup_size: 256
    .name:           _ZL29rocblas_internal_gemmt_kernelIiLi16ELi32ELi8ELc67ELc78ELc85ELb1ELb0E19rocblas_complex_numIdES1_PKS1_PS1_EviT_T9_T10_S5_lS7_S5_lS6_T11_S5_li
    .private_segment_fixed_size: 0
    .sgpr_count:     43
    .sgpr_spill_count: 0
    .symbol:         _ZL29rocblas_internal_gemmt_kernelIiLi16ELi32ELi8ELc67ELc78ELc85ELb1ELb0E19rocblas_complex_numIdES1_PKS1_PS1_EviT_T9_T10_S5_lS7_S5_lS6_T11_S5_li.kd
    .uniform_work_group_size: 1
    .uses_dynamic_stack: false
    .vgpr_count:     130
    .vgpr_spill_count: 0
    .wavefront_size: 32
  - .args:
      - .offset:         0
        .size:           4
        .value_kind:     by_value
      - .offset:         4
        .size:           4
        .value_kind:     by_value
      - .offset:         8
        .size:           16
        .value_kind:     by_value
      - .address_space:  global
        .offset:         24
        .size:           8
        .value_kind:     global_buffer
      - .offset:         32
        .size:           4
        .value_kind:     by_value
      - .offset:         40
        .size:           8
        .value_kind:     by_value
      - .address_space:  global
        .offset:         48
        .size:           8
        .value_kind:     global_buffer
      - .offset:         56
        .size:           4
        .value_kind:     by_value
      - .offset:         64
        .size:           8
        .value_kind:     by_value
      - .offset:         72
        .size:           16
        .value_kind:     by_value
      - .address_space:  global
        .offset:         88
        .size:           8
        .value_kind:     global_buffer
      - .offset:         96
        .size:           4
        .value_kind:     by_value
      - .offset:         104
        .size:           8
        .value_kind:     by_value
      - .offset:         112
        .size:           4
        .value_kind:     by_value
    .group_segment_fixed_size: 8192
    .kernarg_segment_align: 8
    .kernarg_segment_size: 116
    .language:       OpenCL C
    .language_version:
      - 2
      - 0
    .max_flat_workgroup_size: 256
    .name:           _ZL29rocblas_internal_gemmt_kernelIiLi16ELi32ELi8ELc67ELc84ELc85ELb1ELb0E19rocblas_complex_numIdES1_PKS1_PS1_EviT_T9_T10_S5_lS7_S5_lS6_T11_S5_li
    .private_segment_fixed_size: 0
    .sgpr_count:     43
    .sgpr_spill_count: 0
    .symbol:         _ZL29rocblas_internal_gemmt_kernelIiLi16ELi32ELi8ELc67ELc84ELc85ELb1ELb0E19rocblas_complex_numIdES1_PKS1_PS1_EviT_T9_T10_S5_lS7_S5_lS6_T11_S5_li.kd
    .uniform_work_group_size: 1
    .uses_dynamic_stack: false
    .vgpr_count:     130
    .vgpr_spill_count: 0
    .wavefront_size: 32
  - .args:
      - .offset:         0
        .size:           4
        .value_kind:     by_value
      - .offset:         4
        .size:           4
        .value_kind:     by_value
      - .offset:         8
        .size:           16
        .value_kind:     by_value
      - .address_space:  global
        .offset:         24
        .size:           8
        .value_kind:     global_buffer
      - .offset:         32
        .size:           4
        .value_kind:     by_value
      - .offset:         40
        .size:           8
        .value_kind:     by_value
      - .address_space:  global
        .offset:         48
        .size:           8
        .value_kind:     global_buffer
      - .offset:         56
        .size:           4
        .value_kind:     by_value
      - .offset:         64
        .size:           8
        .value_kind:     by_value
      - .offset:         72
        .size:           16
        .value_kind:     by_value
      - .address_space:  global
        .offset:         88
        .size:           8
        .value_kind:     global_buffer
      - .offset:         96
        .size:           4
        .value_kind:     by_value
      - .offset:         104
        .size:           8
        .value_kind:     by_value
      - .offset:         112
        .size:           4
        .value_kind:     by_value
    .group_segment_fixed_size: 8192
    .kernarg_segment_align: 8
    .kernarg_segment_size: 116
    .language:       OpenCL C
    .language_version:
      - 2
      - 0
    .max_flat_workgroup_size: 256
    .name:           _ZL29rocblas_internal_gemmt_kernelIiLi16ELi32ELi8ELc67ELc67ELc85ELb1ELb1E19rocblas_complex_numIdES1_PKS1_PS1_EviT_T9_T10_S5_lS7_S5_lS6_T11_S5_li
    .private_segment_fixed_size: 0
    .sgpr_count:     43
    .sgpr_spill_count: 0
    .symbol:         _ZL29rocblas_internal_gemmt_kernelIiLi16ELi32ELi8ELc67ELc67ELc85ELb1ELb1E19rocblas_complex_numIdES1_PKS1_PS1_EviT_T9_T10_S5_lS7_S5_lS6_T11_S5_li.kd
    .uniform_work_group_size: 1
    .uses_dynamic_stack: false
    .vgpr_count:     128
    .vgpr_spill_count: 0
    .wavefront_size: 32
  - .args:
      - .offset:         0
        .size:           4
        .value_kind:     by_value
      - .offset:         4
        .size:           4
        .value_kind:     by_value
      - .offset:         8
        .size:           16
        .value_kind:     by_value
      - .address_space:  global
        .offset:         24
        .size:           8
        .value_kind:     global_buffer
      - .offset:         32
        .size:           4
        .value_kind:     by_value
      - .offset:         40
        .size:           8
        .value_kind:     by_value
      - .address_space:  global
        .offset:         48
        .size:           8
        .value_kind:     global_buffer
      - .offset:         56
        .size:           4
        .value_kind:     by_value
      - .offset:         64
        .size:           8
        .value_kind:     by_value
      - .offset:         72
        .size:           16
        .value_kind:     by_value
      - .address_space:  global
        .offset:         88
        .size:           8
        .value_kind:     global_buffer
      - .offset:         96
        .size:           4
        .value_kind:     by_value
      - .offset:         104
        .size:           8
        .value_kind:     by_value
      - .offset:         112
        .size:           4
        .value_kind:     by_value
    .group_segment_fixed_size: 8192
    .kernarg_segment_align: 8
    .kernarg_segment_size: 116
    .language:       OpenCL C
    .language_version:
      - 2
      - 0
    .max_flat_workgroup_size: 256
    .name:           _ZL29rocblas_internal_gemmt_kernelIiLi16ELi32ELi8ELc78ELc78ELc76ELb0ELb0E19rocblas_complex_numIdES1_PKS1_PS1_EviT_T9_T10_S5_lS7_S5_lS6_T11_S5_li
    .private_segment_fixed_size: 0
    .sgpr_count:     43
    .sgpr_spill_count: 0
    .symbol:         _ZL29rocblas_internal_gemmt_kernelIiLi16ELi32ELi8ELc78ELc78ELc76ELb0ELb0E19rocblas_complex_numIdES1_PKS1_PS1_EviT_T9_T10_S5_lS7_S5_lS6_T11_S5_li.kd
    .uniform_work_group_size: 1
    .uses_dynamic_stack: false
    .vgpr_count:     66
    .vgpr_spill_count: 0
    .wavefront_size: 32
  - .args:
      - .offset:         0
        .size:           4
        .value_kind:     by_value
      - .offset:         4
        .size:           4
        .value_kind:     by_value
      - .offset:         8
        .size:           16
        .value_kind:     by_value
      - .address_space:  global
        .offset:         24
        .size:           8
        .value_kind:     global_buffer
      - .offset:         32
        .size:           4
        .value_kind:     by_value
      - .offset:         40
        .size:           8
        .value_kind:     by_value
      - .address_space:  global
        .offset:         48
        .size:           8
        .value_kind:     global_buffer
      - .offset:         56
        .size:           4
        .value_kind:     by_value
      - .offset:         64
        .size:           8
        .value_kind:     by_value
      - .offset:         72
        .size:           16
        .value_kind:     by_value
      - .address_space:  global
        .offset:         88
        .size:           8
        .value_kind:     global_buffer
      - .offset:         96
        .size:           4
        .value_kind:     by_value
      - .offset:         104
        .size:           8
        .value_kind:     by_value
      - .offset:         112
        .size:           4
        .value_kind:     by_value
    .group_segment_fixed_size: 8192
    .kernarg_segment_align: 8
    .kernarg_segment_size: 116
    .language:       OpenCL C
    .language_version:
      - 2
      - 0
    .max_flat_workgroup_size: 256
    .name:           _ZL29rocblas_internal_gemmt_kernelIiLi16ELi32ELi8ELc78ELc84ELc76ELb0ELb0E19rocblas_complex_numIdES1_PKS1_PS1_EviT_T9_T10_S5_lS7_S5_lS6_T11_S5_li
    .private_segment_fixed_size: 0
    .sgpr_count:     43
    .sgpr_spill_count: 0
    .symbol:         _ZL29rocblas_internal_gemmt_kernelIiLi16ELi32ELi8ELc78ELc84ELc76ELb0ELb0E19rocblas_complex_numIdES1_PKS1_PS1_EviT_T9_T10_S5_lS7_S5_lS6_T11_S5_li.kd
    .uniform_work_group_size: 1
    .uses_dynamic_stack: false
    .vgpr_count:     66
    .vgpr_spill_count: 0
    .wavefront_size: 32
  - .args:
      - .offset:         0
        .size:           4
        .value_kind:     by_value
      - .offset:         4
        .size:           4
        .value_kind:     by_value
      - .offset:         8
        .size:           16
        .value_kind:     by_value
      - .address_space:  global
        .offset:         24
        .size:           8
        .value_kind:     global_buffer
      - .offset:         32
        .size:           4
        .value_kind:     by_value
      - .offset:         40
        .size:           8
        .value_kind:     by_value
      - .address_space:  global
        .offset:         48
        .size:           8
        .value_kind:     global_buffer
      - .offset:         56
        .size:           4
        .value_kind:     by_value
      - .offset:         64
        .size:           8
        .value_kind:     by_value
      - .offset:         72
        .size:           16
        .value_kind:     by_value
      - .address_space:  global
        .offset:         88
        .size:           8
        .value_kind:     global_buffer
      - .offset:         96
        .size:           4
        .value_kind:     by_value
      - .offset:         104
        .size:           8
        .value_kind:     by_value
      - .offset:         112
        .size:           4
        .value_kind:     by_value
    .group_segment_fixed_size: 8192
    .kernarg_segment_align: 8
    .kernarg_segment_size: 116
    .language:       OpenCL C
    .language_version:
      - 2
      - 0
    .max_flat_workgroup_size: 256
    .name:           _ZL29rocblas_internal_gemmt_kernelIiLi16ELi32ELi8ELc78ELc67ELc76ELb0ELb1E19rocblas_complex_numIdES1_PKS1_PS1_EviT_T9_T10_S5_lS7_S5_lS6_T11_S5_li
    .private_segment_fixed_size: 0
    .sgpr_count:     43
    .sgpr_spill_count: 0
    .symbol:         _ZL29rocblas_internal_gemmt_kernelIiLi16ELi32ELi8ELc78ELc67ELc76ELb0ELb1E19rocblas_complex_numIdES1_PKS1_PS1_EviT_T9_T10_S5_lS7_S5_lS6_T11_S5_li.kd
    .uniform_work_group_size: 1
    .uses_dynamic_stack: false
    .vgpr_count:     130
    .vgpr_spill_count: 0
    .wavefront_size: 32
  - .args:
      - .offset:         0
        .size:           4
        .value_kind:     by_value
      - .offset:         4
        .size:           4
        .value_kind:     by_value
      - .offset:         8
        .size:           16
        .value_kind:     by_value
      - .address_space:  global
        .offset:         24
        .size:           8
        .value_kind:     global_buffer
      - .offset:         32
        .size:           4
        .value_kind:     by_value
      - .offset:         40
        .size:           8
        .value_kind:     by_value
      - .address_space:  global
        .offset:         48
        .size:           8
        .value_kind:     global_buffer
      - .offset:         56
        .size:           4
        .value_kind:     by_value
      - .offset:         64
        .size:           8
        .value_kind:     by_value
      - .offset:         72
        .size:           16
        .value_kind:     by_value
      - .address_space:  global
        .offset:         88
        .size:           8
        .value_kind:     global_buffer
      - .offset:         96
        .size:           4
        .value_kind:     by_value
      - .offset:         104
        .size:           8
        .value_kind:     by_value
      - .offset:         112
        .size:           4
        .value_kind:     by_value
    .group_segment_fixed_size: 8192
    .kernarg_segment_align: 8
    .kernarg_segment_size: 116
    .language:       OpenCL C
    .language_version:
      - 2
      - 0
    .max_flat_workgroup_size: 256
    .name:           _ZL29rocblas_internal_gemmt_kernelIiLi16ELi32ELi8ELc84ELc78ELc76ELb0ELb0E19rocblas_complex_numIdES1_PKS1_PS1_EviT_T9_T10_S5_lS7_S5_lS6_T11_S5_li
    .private_segment_fixed_size: 0
    .sgpr_count:     43
    .sgpr_spill_count: 0
    .symbol:         _ZL29rocblas_internal_gemmt_kernelIiLi16ELi32ELi8ELc84ELc78ELc76ELb0ELb0E19rocblas_complex_numIdES1_PKS1_PS1_EviT_T9_T10_S5_lS7_S5_lS6_T11_S5_li.kd
    .uniform_work_group_size: 1
    .uses_dynamic_stack: false
    .vgpr_count:     66
    .vgpr_spill_count: 0
    .wavefront_size: 32
  - .args:
      - .offset:         0
        .size:           4
        .value_kind:     by_value
      - .offset:         4
        .size:           4
        .value_kind:     by_value
      - .offset:         8
        .size:           16
        .value_kind:     by_value
      - .address_space:  global
        .offset:         24
        .size:           8
        .value_kind:     global_buffer
      - .offset:         32
        .size:           4
        .value_kind:     by_value
      - .offset:         40
        .size:           8
        .value_kind:     by_value
      - .address_space:  global
        .offset:         48
        .size:           8
        .value_kind:     global_buffer
      - .offset:         56
        .size:           4
        .value_kind:     by_value
      - .offset:         64
        .size:           8
        .value_kind:     by_value
      - .offset:         72
        .size:           16
        .value_kind:     by_value
      - .address_space:  global
        .offset:         88
        .size:           8
        .value_kind:     global_buffer
      - .offset:         96
        .size:           4
        .value_kind:     by_value
      - .offset:         104
        .size:           8
        .value_kind:     by_value
      - .offset:         112
        .size:           4
        .value_kind:     by_value
    .group_segment_fixed_size: 8192
    .kernarg_segment_align: 8
    .kernarg_segment_size: 116
    .language:       OpenCL C
    .language_version:
      - 2
      - 0
    .max_flat_workgroup_size: 256
    .name:           _ZL29rocblas_internal_gemmt_kernelIiLi16ELi32ELi8ELc84ELc84ELc76ELb0ELb0E19rocblas_complex_numIdES1_PKS1_PS1_EviT_T9_T10_S5_lS7_S5_lS6_T11_S5_li
    .private_segment_fixed_size: 0
    .sgpr_count:     43
    .sgpr_spill_count: 0
    .symbol:         _ZL29rocblas_internal_gemmt_kernelIiLi16ELi32ELi8ELc84ELc84ELc76ELb0ELb0E19rocblas_complex_numIdES1_PKS1_PS1_EviT_T9_T10_S5_lS7_S5_lS6_T11_S5_li.kd
    .uniform_work_group_size: 1
    .uses_dynamic_stack: false
    .vgpr_count:     66
    .vgpr_spill_count: 0
    .wavefront_size: 32
  - .args:
      - .offset:         0
        .size:           4
        .value_kind:     by_value
      - .offset:         4
        .size:           4
        .value_kind:     by_value
      - .offset:         8
        .size:           16
        .value_kind:     by_value
      - .address_space:  global
        .offset:         24
        .size:           8
        .value_kind:     global_buffer
      - .offset:         32
        .size:           4
        .value_kind:     by_value
      - .offset:         40
        .size:           8
        .value_kind:     by_value
      - .address_space:  global
        .offset:         48
        .size:           8
        .value_kind:     global_buffer
      - .offset:         56
        .size:           4
        .value_kind:     by_value
      - .offset:         64
        .size:           8
        .value_kind:     by_value
      - .offset:         72
        .size:           16
        .value_kind:     by_value
      - .address_space:  global
        .offset:         88
        .size:           8
        .value_kind:     global_buffer
      - .offset:         96
        .size:           4
        .value_kind:     by_value
      - .offset:         104
        .size:           8
        .value_kind:     by_value
      - .offset:         112
        .size:           4
        .value_kind:     by_value
    .group_segment_fixed_size: 8192
    .kernarg_segment_align: 8
    .kernarg_segment_size: 116
    .language:       OpenCL C
    .language_version:
      - 2
      - 0
    .max_flat_workgroup_size: 256
    .name:           _ZL29rocblas_internal_gemmt_kernelIiLi16ELi32ELi8ELc84ELc67ELc76ELb0ELb1E19rocblas_complex_numIdES1_PKS1_PS1_EviT_T9_T10_S5_lS7_S5_lS6_T11_S5_li
    .private_segment_fixed_size: 0
    .sgpr_count:     43
    .sgpr_spill_count: 0
    .symbol:         _ZL29rocblas_internal_gemmt_kernelIiLi16ELi32ELi8ELc84ELc67ELc76ELb0ELb1E19rocblas_complex_numIdES1_PKS1_PS1_EviT_T9_T10_S5_lS7_S5_lS6_T11_S5_li.kd
    .uniform_work_group_size: 1
    .uses_dynamic_stack: false
    .vgpr_count:     130
    .vgpr_spill_count: 0
    .wavefront_size: 32
  - .args:
      - .offset:         0
        .size:           4
        .value_kind:     by_value
      - .offset:         4
        .size:           4
        .value_kind:     by_value
      - .offset:         8
        .size:           16
        .value_kind:     by_value
      - .address_space:  global
        .offset:         24
        .size:           8
        .value_kind:     global_buffer
      - .offset:         32
        .size:           4
        .value_kind:     by_value
      - .offset:         40
        .size:           8
        .value_kind:     by_value
      - .address_space:  global
        .offset:         48
        .size:           8
        .value_kind:     global_buffer
      - .offset:         56
        .size:           4
        .value_kind:     by_value
      - .offset:         64
        .size:           8
        .value_kind:     by_value
      - .offset:         72
        .size:           16
        .value_kind:     by_value
      - .address_space:  global
        .offset:         88
        .size:           8
        .value_kind:     global_buffer
      - .offset:         96
        .size:           4
        .value_kind:     by_value
      - .offset:         104
        .size:           8
        .value_kind:     by_value
      - .offset:         112
        .size:           4
        .value_kind:     by_value
    .group_segment_fixed_size: 8192
    .kernarg_segment_align: 8
    .kernarg_segment_size: 116
    .language:       OpenCL C
    .language_version:
      - 2
      - 0
    .max_flat_workgroup_size: 256
    .name:           _ZL29rocblas_internal_gemmt_kernelIiLi16ELi32ELi8ELc67ELc78ELc76ELb1ELb0E19rocblas_complex_numIdES1_PKS1_PS1_EviT_T9_T10_S5_lS7_S5_lS6_T11_S5_li
    .private_segment_fixed_size: 0
    .sgpr_count:     43
    .sgpr_spill_count: 0
    .symbol:         _ZL29rocblas_internal_gemmt_kernelIiLi16ELi32ELi8ELc67ELc78ELc76ELb1ELb0E19rocblas_complex_numIdES1_PKS1_PS1_EviT_T9_T10_S5_lS7_S5_lS6_T11_S5_li.kd
    .uniform_work_group_size: 1
    .uses_dynamic_stack: false
    .vgpr_count:     130
    .vgpr_spill_count: 0
    .wavefront_size: 32
  - .args:
      - .offset:         0
        .size:           4
        .value_kind:     by_value
      - .offset:         4
        .size:           4
        .value_kind:     by_value
      - .offset:         8
        .size:           16
        .value_kind:     by_value
      - .address_space:  global
        .offset:         24
        .size:           8
        .value_kind:     global_buffer
      - .offset:         32
        .size:           4
        .value_kind:     by_value
      - .offset:         40
        .size:           8
        .value_kind:     by_value
      - .address_space:  global
        .offset:         48
        .size:           8
        .value_kind:     global_buffer
      - .offset:         56
        .size:           4
        .value_kind:     by_value
      - .offset:         64
        .size:           8
        .value_kind:     by_value
      - .offset:         72
        .size:           16
        .value_kind:     by_value
      - .address_space:  global
        .offset:         88
        .size:           8
        .value_kind:     global_buffer
      - .offset:         96
        .size:           4
        .value_kind:     by_value
      - .offset:         104
        .size:           8
        .value_kind:     by_value
      - .offset:         112
        .size:           4
        .value_kind:     by_value
    .group_segment_fixed_size: 8192
    .kernarg_segment_align: 8
    .kernarg_segment_size: 116
    .language:       OpenCL C
    .language_version:
      - 2
      - 0
    .max_flat_workgroup_size: 256
    .name:           _ZL29rocblas_internal_gemmt_kernelIiLi16ELi32ELi8ELc67ELc84ELc76ELb1ELb0E19rocblas_complex_numIdES1_PKS1_PS1_EviT_T9_T10_S5_lS7_S5_lS6_T11_S5_li
    .private_segment_fixed_size: 0
    .sgpr_count:     43
    .sgpr_spill_count: 0
    .symbol:         _ZL29rocblas_internal_gemmt_kernelIiLi16ELi32ELi8ELc67ELc84ELc76ELb1ELb0E19rocblas_complex_numIdES1_PKS1_PS1_EviT_T9_T10_S5_lS7_S5_lS6_T11_S5_li.kd
    .uniform_work_group_size: 1
    .uses_dynamic_stack: false
    .vgpr_count:     130
    .vgpr_spill_count: 0
    .wavefront_size: 32
  - .args:
      - .offset:         0
        .size:           4
        .value_kind:     by_value
      - .offset:         4
        .size:           4
        .value_kind:     by_value
      - .offset:         8
        .size:           16
        .value_kind:     by_value
      - .address_space:  global
        .offset:         24
        .size:           8
        .value_kind:     global_buffer
      - .offset:         32
        .size:           4
        .value_kind:     by_value
      - .offset:         40
        .size:           8
        .value_kind:     by_value
      - .address_space:  global
        .offset:         48
        .size:           8
        .value_kind:     global_buffer
      - .offset:         56
        .size:           4
        .value_kind:     by_value
      - .offset:         64
        .size:           8
        .value_kind:     by_value
      - .offset:         72
        .size:           16
        .value_kind:     by_value
      - .address_space:  global
        .offset:         88
        .size:           8
        .value_kind:     global_buffer
      - .offset:         96
        .size:           4
        .value_kind:     by_value
      - .offset:         104
        .size:           8
        .value_kind:     by_value
      - .offset:         112
        .size:           4
        .value_kind:     by_value
    .group_segment_fixed_size: 8192
    .kernarg_segment_align: 8
    .kernarg_segment_size: 116
    .language:       OpenCL C
    .language_version:
      - 2
      - 0
    .max_flat_workgroup_size: 256
    .name:           _ZL29rocblas_internal_gemmt_kernelIiLi16ELi32ELi8ELc67ELc67ELc76ELb1ELb1E19rocblas_complex_numIdES1_PKS1_PS1_EviT_T9_T10_S5_lS7_S5_lS6_T11_S5_li
    .private_segment_fixed_size: 0
    .sgpr_count:     43
    .sgpr_spill_count: 0
    .symbol:         _ZL29rocblas_internal_gemmt_kernelIiLi16ELi32ELi8ELc67ELc67ELc76ELb1ELb1E19rocblas_complex_numIdES1_PKS1_PS1_EviT_T9_T10_S5_lS7_S5_lS6_T11_S5_li.kd
    .uniform_work_group_size: 1
    .uses_dynamic_stack: false
    .vgpr_count:     128
    .vgpr_spill_count: 0
    .wavefront_size: 32
  - .args:
      - .offset:         0
        .size:           4
        .value_kind:     by_value
      - .offset:         8
        .size:           8
        .value_kind:     by_value
      - .address_space:  global
        .offset:         16
        .size:           8
        .value_kind:     global_buffer
      - .address_space:  global
        .offset:         24
        .size:           8
        .value_kind:     global_buffer
      - .offset:         32
        .size:           8
        .value_kind:     by_value
      - .offset:         40
        .size:           8
        .value_kind:     by_value
      - .address_space:  global
        .offset:         48
        .size:           8
        .value_kind:     global_buffer
      - .offset:         56
        .size:           8
        .value_kind:     by_value
      - .offset:         64
        .size:           8
        .value_kind:     by_value
      - .address_space:  global
        .offset:         72
        .size:           8
        .value_kind:     global_buffer
      - .address_space:  global
        .offset:         80
        .size:           8
        .value_kind:     global_buffer
      - .offset:         88
        .size:           8
        .value_kind:     by_value
      - .offset:         96
        .size:           8
        .value_kind:     by_value
      - .offset:         104
        .size:           4
        .value_kind:     by_value
    .group_segment_fixed_size: 2048
    .kernarg_segment_align: 8
    .kernarg_segment_size: 108
    .language:       OpenCL C
    .language_version:
      - 2
      - 0
    .max_flat_workgroup_size: 256
    .name:           _ZL29rocblas_internal_gemmt_kernelIlLi16ELi32ELi8ELc78ELc78ELc85ELb0ELb0EfPKfS1_PfEviT_T9_T10_S3_lS5_S3_lS4_T11_S3_li
    .private_segment_fixed_size: 0
    .sgpr_count:     37
    .sgpr_spill_count: 0
    .symbol:         _ZL29rocblas_internal_gemmt_kernelIlLi16ELi32ELi8ELc78ELc78ELc85ELb0ELb0EfPKfS1_PfEviT_T9_T10_S3_lS5_S3_lS4_T11_S3_li.kd
    .uniform_work_group_size: 1
    .uses_dynamic_stack: false
    .vgpr_count:     54
    .vgpr_spill_count: 0
    .wavefront_size: 32
  - .args:
      - .offset:         0
        .size:           4
        .value_kind:     by_value
      - .offset:         8
        .size:           8
        .value_kind:     by_value
      - .address_space:  global
        .offset:         16
        .size:           8
        .value_kind:     global_buffer
      - .address_space:  global
        .offset:         24
        .size:           8
        .value_kind:     global_buffer
      - .offset:         32
        .size:           8
        .value_kind:     by_value
      - .offset:         40
        .size:           8
        .value_kind:     by_value
      - .address_space:  global
        .offset:         48
        .size:           8
        .value_kind:     global_buffer
      - .offset:         56
        .size:           8
        .value_kind:     by_value
      - .offset:         64
        .size:           8
        .value_kind:     by_value
      - .address_space:  global
        .offset:         72
        .size:           8
        .value_kind:     global_buffer
      - .address_space:  global
        .offset:         80
        .size:           8
        .value_kind:     global_buffer
      - .offset:         88
        .size:           8
        .value_kind:     by_value
      - .offset:         96
        .size:           8
        .value_kind:     by_value
      - .offset:         104
        .size:           4
        .value_kind:     by_value
    .group_segment_fixed_size: 2048
    .kernarg_segment_align: 8
    .kernarg_segment_size: 108
    .language:       OpenCL C
    .language_version:
      - 2
      - 0
    .max_flat_workgroup_size: 256
    .name:           _ZL29rocblas_internal_gemmt_kernelIlLi16ELi32ELi8ELc78ELc84ELc85ELb0ELb0EfPKfS1_PfEviT_T9_T10_S3_lS5_S3_lS4_T11_S3_li
    .private_segment_fixed_size: 0
    .sgpr_count:     37
    .sgpr_spill_count: 0
    .symbol:         _ZL29rocblas_internal_gemmt_kernelIlLi16ELi32ELi8ELc78ELc84ELc85ELb0ELb0EfPKfS1_PfEviT_T9_T10_S3_lS5_S3_lS4_T11_S3_li.kd
    .uniform_work_group_size: 1
    .uses_dynamic_stack: false
    .vgpr_count:     54
    .vgpr_spill_count: 0
    .wavefront_size: 32
  - .args:
      - .offset:         0
        .size:           4
        .value_kind:     by_value
      - .offset:         8
        .size:           8
        .value_kind:     by_value
      - .address_space:  global
        .offset:         16
        .size:           8
        .value_kind:     global_buffer
      - .address_space:  global
        .offset:         24
        .size:           8
        .value_kind:     global_buffer
      - .offset:         32
        .size:           8
        .value_kind:     by_value
      - .offset:         40
        .size:           8
        .value_kind:     by_value
      - .address_space:  global
        .offset:         48
        .size:           8
        .value_kind:     global_buffer
      - .offset:         56
        .size:           8
        .value_kind:     by_value
      - .offset:         64
        .size:           8
        .value_kind:     by_value
      - .address_space:  global
        .offset:         72
        .size:           8
        .value_kind:     global_buffer
      - .address_space:  global
        .offset:         80
        .size:           8
        .value_kind:     global_buffer
      - .offset:         88
        .size:           8
        .value_kind:     by_value
      - .offset:         96
        .size:           8
        .value_kind:     by_value
      - .offset:         104
        .size:           4
        .value_kind:     by_value
    .group_segment_fixed_size: 2048
    .kernarg_segment_align: 8
    .kernarg_segment_size: 108
    .language:       OpenCL C
    .language_version:
      - 2
      - 0
    .max_flat_workgroup_size: 256
    .name:           _ZL29rocblas_internal_gemmt_kernelIlLi16ELi32ELi8ELc78ELc67ELc85ELb0ELb0EfPKfS1_PfEviT_T9_T10_S3_lS5_S3_lS4_T11_S3_li
    .private_segment_fixed_size: 0
    .sgpr_count:     37
    .sgpr_spill_count: 0
    .symbol:         _ZL29rocblas_internal_gemmt_kernelIlLi16ELi32ELi8ELc78ELc67ELc85ELb0ELb0EfPKfS1_PfEviT_T9_T10_S3_lS5_S3_lS4_T11_S3_li.kd
    .uniform_work_group_size: 1
    .uses_dynamic_stack: false
    .vgpr_count:     54
    .vgpr_spill_count: 0
    .wavefront_size: 32
  - .args:
      - .offset:         0
        .size:           4
        .value_kind:     by_value
      - .offset:         8
        .size:           8
        .value_kind:     by_value
      - .address_space:  global
        .offset:         16
        .size:           8
        .value_kind:     global_buffer
      - .address_space:  global
        .offset:         24
        .size:           8
        .value_kind:     global_buffer
      - .offset:         32
        .size:           8
        .value_kind:     by_value
      - .offset:         40
        .size:           8
        .value_kind:     by_value
      - .address_space:  global
        .offset:         48
        .size:           8
        .value_kind:     global_buffer
      - .offset:         56
        .size:           8
        .value_kind:     by_value
      - .offset:         64
        .size:           8
        .value_kind:     by_value
      - .address_space:  global
        .offset:         72
        .size:           8
        .value_kind:     global_buffer
      - .address_space:  global
        .offset:         80
        .size:           8
        .value_kind:     global_buffer
      - .offset:         88
        .size:           8
        .value_kind:     by_value
      - .offset:         96
        .size:           8
        .value_kind:     by_value
      - .offset:         104
        .size:           4
        .value_kind:     by_value
    .group_segment_fixed_size: 2048
    .kernarg_segment_align: 8
    .kernarg_segment_size: 108
    .language:       OpenCL C
    .language_version:
      - 2
      - 0
    .max_flat_workgroup_size: 256
    .name:           _ZL29rocblas_internal_gemmt_kernelIlLi16ELi32ELi8ELc84ELc78ELc85ELb0ELb0EfPKfS1_PfEviT_T9_T10_S3_lS5_S3_lS4_T11_S3_li
    .private_segment_fixed_size: 0
    .sgpr_count:     37
    .sgpr_spill_count: 0
    .symbol:         _ZL29rocblas_internal_gemmt_kernelIlLi16ELi32ELi8ELc84ELc78ELc85ELb0ELb0EfPKfS1_PfEviT_T9_T10_S3_lS5_S3_lS4_T11_S3_li.kd
    .uniform_work_group_size: 1
    .uses_dynamic_stack: false
    .vgpr_count:     54
    .vgpr_spill_count: 0
    .wavefront_size: 32
  - .args:
      - .offset:         0
        .size:           4
        .value_kind:     by_value
      - .offset:         8
        .size:           8
        .value_kind:     by_value
      - .address_space:  global
        .offset:         16
        .size:           8
        .value_kind:     global_buffer
      - .address_space:  global
        .offset:         24
        .size:           8
        .value_kind:     global_buffer
      - .offset:         32
        .size:           8
        .value_kind:     by_value
      - .offset:         40
        .size:           8
        .value_kind:     by_value
      - .address_space:  global
        .offset:         48
        .size:           8
        .value_kind:     global_buffer
      - .offset:         56
        .size:           8
        .value_kind:     by_value
      - .offset:         64
        .size:           8
        .value_kind:     by_value
      - .address_space:  global
        .offset:         72
        .size:           8
        .value_kind:     global_buffer
      - .address_space:  global
        .offset:         80
        .size:           8
        .value_kind:     global_buffer
      - .offset:         88
        .size:           8
        .value_kind:     by_value
      - .offset:         96
        .size:           8
        .value_kind:     by_value
      - .offset:         104
        .size:           4
        .value_kind:     by_value
    .group_segment_fixed_size: 2048
    .kernarg_segment_align: 8
    .kernarg_segment_size: 108
    .language:       OpenCL C
    .language_version:
      - 2
      - 0
    .max_flat_workgroup_size: 256
    .name:           _ZL29rocblas_internal_gemmt_kernelIlLi16ELi32ELi8ELc84ELc84ELc85ELb0ELb0EfPKfS1_PfEviT_T9_T10_S3_lS5_S3_lS4_T11_S3_li
    .private_segment_fixed_size: 0
    .sgpr_count:     37
    .sgpr_spill_count: 0
    .symbol:         _ZL29rocblas_internal_gemmt_kernelIlLi16ELi32ELi8ELc84ELc84ELc85ELb0ELb0EfPKfS1_PfEviT_T9_T10_S3_lS5_S3_lS4_T11_S3_li.kd
    .uniform_work_group_size: 1
    .uses_dynamic_stack: false
    .vgpr_count:     54
    .vgpr_spill_count: 0
    .wavefront_size: 32
  - .args:
      - .offset:         0
        .size:           4
        .value_kind:     by_value
      - .offset:         8
        .size:           8
        .value_kind:     by_value
      - .address_space:  global
        .offset:         16
        .size:           8
        .value_kind:     global_buffer
      - .address_space:  global
        .offset:         24
        .size:           8
        .value_kind:     global_buffer
      - .offset:         32
        .size:           8
        .value_kind:     by_value
      - .offset:         40
        .size:           8
        .value_kind:     by_value
      - .address_space:  global
        .offset:         48
        .size:           8
        .value_kind:     global_buffer
      - .offset:         56
        .size:           8
        .value_kind:     by_value
      - .offset:         64
        .size:           8
        .value_kind:     by_value
      - .address_space:  global
        .offset:         72
        .size:           8
        .value_kind:     global_buffer
      - .address_space:  global
        .offset:         80
        .size:           8
        .value_kind:     global_buffer
      - .offset:         88
        .size:           8
        .value_kind:     by_value
      - .offset:         96
        .size:           8
        .value_kind:     by_value
      - .offset:         104
        .size:           4
        .value_kind:     by_value
    .group_segment_fixed_size: 2048
    .kernarg_segment_align: 8
    .kernarg_segment_size: 108
    .language:       OpenCL C
    .language_version:
      - 2
      - 0
    .max_flat_workgroup_size: 256
    .name:           _ZL29rocblas_internal_gemmt_kernelIlLi16ELi32ELi8ELc84ELc67ELc85ELb0ELb0EfPKfS1_PfEviT_T9_T10_S3_lS5_S3_lS4_T11_S3_li
    .private_segment_fixed_size: 0
    .sgpr_count:     37
    .sgpr_spill_count: 0
    .symbol:         _ZL29rocblas_internal_gemmt_kernelIlLi16ELi32ELi8ELc84ELc67ELc85ELb0ELb0EfPKfS1_PfEviT_T9_T10_S3_lS5_S3_lS4_T11_S3_li.kd
    .uniform_work_group_size: 1
    .uses_dynamic_stack: false
    .vgpr_count:     54
    .vgpr_spill_count: 0
    .wavefront_size: 32
  - .args:
      - .offset:         0
        .size:           4
        .value_kind:     by_value
      - .offset:         8
        .size:           8
        .value_kind:     by_value
      - .address_space:  global
        .offset:         16
        .size:           8
        .value_kind:     global_buffer
      - .address_space:  global
        .offset:         24
        .size:           8
        .value_kind:     global_buffer
      - .offset:         32
        .size:           8
        .value_kind:     by_value
      - .offset:         40
        .size:           8
        .value_kind:     by_value
      - .address_space:  global
        .offset:         48
        .size:           8
        .value_kind:     global_buffer
      - .offset:         56
        .size:           8
        .value_kind:     by_value
      - .offset:         64
        .size:           8
        .value_kind:     by_value
      - .address_space:  global
        .offset:         72
        .size:           8
        .value_kind:     global_buffer
      - .address_space:  global
        .offset:         80
        .size:           8
        .value_kind:     global_buffer
      - .offset:         88
        .size:           8
        .value_kind:     by_value
      - .offset:         96
        .size:           8
        .value_kind:     by_value
      - .offset:         104
        .size:           4
        .value_kind:     by_value
    .group_segment_fixed_size: 2048
    .kernarg_segment_align: 8
    .kernarg_segment_size: 108
    .language:       OpenCL C
    .language_version:
      - 2
      - 0
    .max_flat_workgroup_size: 256
    .name:           _ZL29rocblas_internal_gemmt_kernelIlLi16ELi32ELi8ELc67ELc78ELc85ELb0ELb0EfPKfS1_PfEviT_T9_T10_S3_lS5_S3_lS4_T11_S3_li
    .private_segment_fixed_size: 0
    .sgpr_count:     37
    .sgpr_spill_count: 0
    .symbol:         _ZL29rocblas_internal_gemmt_kernelIlLi16ELi32ELi8ELc67ELc78ELc85ELb0ELb0EfPKfS1_PfEviT_T9_T10_S3_lS5_S3_lS4_T11_S3_li.kd
    .uniform_work_group_size: 1
    .uses_dynamic_stack: false
    .vgpr_count:     54
    .vgpr_spill_count: 0
    .wavefront_size: 32
  - .args:
      - .offset:         0
        .size:           4
        .value_kind:     by_value
      - .offset:         8
        .size:           8
        .value_kind:     by_value
      - .address_space:  global
        .offset:         16
        .size:           8
        .value_kind:     global_buffer
      - .address_space:  global
        .offset:         24
        .size:           8
        .value_kind:     global_buffer
      - .offset:         32
        .size:           8
        .value_kind:     by_value
      - .offset:         40
        .size:           8
        .value_kind:     by_value
      - .address_space:  global
        .offset:         48
        .size:           8
        .value_kind:     global_buffer
      - .offset:         56
        .size:           8
        .value_kind:     by_value
      - .offset:         64
        .size:           8
        .value_kind:     by_value
      - .address_space:  global
        .offset:         72
        .size:           8
        .value_kind:     global_buffer
      - .address_space:  global
        .offset:         80
        .size:           8
        .value_kind:     global_buffer
      - .offset:         88
        .size:           8
        .value_kind:     by_value
      - .offset:         96
        .size:           8
        .value_kind:     by_value
      - .offset:         104
        .size:           4
        .value_kind:     by_value
    .group_segment_fixed_size: 2048
    .kernarg_segment_align: 8
    .kernarg_segment_size: 108
    .language:       OpenCL C
    .language_version:
      - 2
      - 0
    .max_flat_workgroup_size: 256
    .name:           _ZL29rocblas_internal_gemmt_kernelIlLi16ELi32ELi8ELc67ELc84ELc85ELb0ELb0EfPKfS1_PfEviT_T9_T10_S3_lS5_S3_lS4_T11_S3_li
    .private_segment_fixed_size: 0
    .sgpr_count:     37
    .sgpr_spill_count: 0
    .symbol:         _ZL29rocblas_internal_gemmt_kernelIlLi16ELi32ELi8ELc67ELc84ELc85ELb0ELb0EfPKfS1_PfEviT_T9_T10_S3_lS5_S3_lS4_T11_S3_li.kd
    .uniform_work_group_size: 1
    .uses_dynamic_stack: false
    .vgpr_count:     54
    .vgpr_spill_count: 0
    .wavefront_size: 32
  - .args:
      - .offset:         0
        .size:           4
        .value_kind:     by_value
      - .offset:         8
        .size:           8
        .value_kind:     by_value
      - .address_space:  global
        .offset:         16
        .size:           8
        .value_kind:     global_buffer
      - .address_space:  global
        .offset:         24
        .size:           8
        .value_kind:     global_buffer
      - .offset:         32
        .size:           8
        .value_kind:     by_value
      - .offset:         40
        .size:           8
        .value_kind:     by_value
      - .address_space:  global
        .offset:         48
        .size:           8
        .value_kind:     global_buffer
      - .offset:         56
        .size:           8
        .value_kind:     by_value
      - .offset:         64
        .size:           8
        .value_kind:     by_value
      - .address_space:  global
        .offset:         72
        .size:           8
        .value_kind:     global_buffer
      - .address_space:  global
        .offset:         80
        .size:           8
        .value_kind:     global_buffer
      - .offset:         88
        .size:           8
        .value_kind:     by_value
      - .offset:         96
        .size:           8
        .value_kind:     by_value
      - .offset:         104
        .size:           4
        .value_kind:     by_value
    .group_segment_fixed_size: 2048
    .kernarg_segment_align: 8
    .kernarg_segment_size: 108
    .language:       OpenCL C
    .language_version:
      - 2
      - 0
    .max_flat_workgroup_size: 256
    .name:           _ZL29rocblas_internal_gemmt_kernelIlLi16ELi32ELi8ELc67ELc67ELc85ELb0ELb0EfPKfS1_PfEviT_T9_T10_S3_lS5_S3_lS4_T11_S3_li
    .private_segment_fixed_size: 0
    .sgpr_count:     37
    .sgpr_spill_count: 0
    .symbol:         _ZL29rocblas_internal_gemmt_kernelIlLi16ELi32ELi8ELc67ELc67ELc85ELb0ELb0EfPKfS1_PfEviT_T9_T10_S3_lS5_S3_lS4_T11_S3_li.kd
    .uniform_work_group_size: 1
    .uses_dynamic_stack: false
    .vgpr_count:     54
    .vgpr_spill_count: 0
    .wavefront_size: 32
  - .args:
      - .offset:         0
        .size:           4
        .value_kind:     by_value
      - .offset:         8
        .size:           8
        .value_kind:     by_value
      - .address_space:  global
        .offset:         16
        .size:           8
        .value_kind:     global_buffer
      - .address_space:  global
        .offset:         24
        .size:           8
        .value_kind:     global_buffer
      - .offset:         32
        .size:           8
        .value_kind:     by_value
      - .offset:         40
        .size:           8
        .value_kind:     by_value
      - .address_space:  global
        .offset:         48
        .size:           8
        .value_kind:     global_buffer
      - .offset:         56
        .size:           8
        .value_kind:     by_value
      - .offset:         64
        .size:           8
        .value_kind:     by_value
      - .address_space:  global
        .offset:         72
        .size:           8
        .value_kind:     global_buffer
      - .address_space:  global
        .offset:         80
        .size:           8
        .value_kind:     global_buffer
      - .offset:         88
        .size:           8
        .value_kind:     by_value
      - .offset:         96
        .size:           8
        .value_kind:     by_value
      - .offset:         104
        .size:           4
        .value_kind:     by_value
    .group_segment_fixed_size: 2048
    .kernarg_segment_align: 8
    .kernarg_segment_size: 108
    .language:       OpenCL C
    .language_version:
      - 2
      - 0
    .max_flat_workgroup_size: 256
    .name:           _ZL29rocblas_internal_gemmt_kernelIlLi16ELi32ELi8ELc78ELc78ELc76ELb0ELb0EfPKfS1_PfEviT_T9_T10_S3_lS5_S3_lS4_T11_S3_li
    .private_segment_fixed_size: 0
    .sgpr_count:     37
    .sgpr_spill_count: 0
    .symbol:         _ZL29rocblas_internal_gemmt_kernelIlLi16ELi32ELi8ELc78ELc78ELc76ELb0ELb0EfPKfS1_PfEviT_T9_T10_S3_lS5_S3_lS4_T11_S3_li.kd
    .uniform_work_group_size: 1
    .uses_dynamic_stack: false
    .vgpr_count:     54
    .vgpr_spill_count: 0
    .wavefront_size: 32
  - .args:
      - .offset:         0
        .size:           4
        .value_kind:     by_value
      - .offset:         8
        .size:           8
        .value_kind:     by_value
      - .address_space:  global
        .offset:         16
        .size:           8
        .value_kind:     global_buffer
      - .address_space:  global
        .offset:         24
        .size:           8
        .value_kind:     global_buffer
      - .offset:         32
        .size:           8
        .value_kind:     by_value
      - .offset:         40
        .size:           8
        .value_kind:     by_value
      - .address_space:  global
        .offset:         48
        .size:           8
        .value_kind:     global_buffer
      - .offset:         56
        .size:           8
        .value_kind:     by_value
      - .offset:         64
        .size:           8
        .value_kind:     by_value
      - .address_space:  global
        .offset:         72
        .size:           8
        .value_kind:     global_buffer
      - .address_space:  global
        .offset:         80
        .size:           8
        .value_kind:     global_buffer
      - .offset:         88
        .size:           8
        .value_kind:     by_value
      - .offset:         96
        .size:           8
        .value_kind:     by_value
      - .offset:         104
        .size:           4
        .value_kind:     by_value
    .group_segment_fixed_size: 2048
    .kernarg_segment_align: 8
    .kernarg_segment_size: 108
    .language:       OpenCL C
    .language_version:
      - 2
      - 0
    .max_flat_workgroup_size: 256
    .name:           _ZL29rocblas_internal_gemmt_kernelIlLi16ELi32ELi8ELc78ELc84ELc76ELb0ELb0EfPKfS1_PfEviT_T9_T10_S3_lS5_S3_lS4_T11_S3_li
    .private_segment_fixed_size: 0
    .sgpr_count:     37
    .sgpr_spill_count: 0
    .symbol:         _ZL29rocblas_internal_gemmt_kernelIlLi16ELi32ELi8ELc78ELc84ELc76ELb0ELb0EfPKfS1_PfEviT_T9_T10_S3_lS5_S3_lS4_T11_S3_li.kd
    .uniform_work_group_size: 1
    .uses_dynamic_stack: false
    .vgpr_count:     54
    .vgpr_spill_count: 0
    .wavefront_size: 32
  - .args:
      - .offset:         0
        .size:           4
        .value_kind:     by_value
      - .offset:         8
        .size:           8
        .value_kind:     by_value
      - .address_space:  global
        .offset:         16
        .size:           8
        .value_kind:     global_buffer
      - .address_space:  global
        .offset:         24
        .size:           8
        .value_kind:     global_buffer
      - .offset:         32
        .size:           8
        .value_kind:     by_value
      - .offset:         40
        .size:           8
        .value_kind:     by_value
      - .address_space:  global
        .offset:         48
        .size:           8
        .value_kind:     global_buffer
      - .offset:         56
        .size:           8
        .value_kind:     by_value
      - .offset:         64
        .size:           8
        .value_kind:     by_value
      - .address_space:  global
        .offset:         72
        .size:           8
        .value_kind:     global_buffer
      - .address_space:  global
        .offset:         80
        .size:           8
        .value_kind:     global_buffer
      - .offset:         88
        .size:           8
        .value_kind:     by_value
      - .offset:         96
        .size:           8
        .value_kind:     by_value
      - .offset:         104
        .size:           4
        .value_kind:     by_value
    .group_segment_fixed_size: 2048
    .kernarg_segment_align: 8
    .kernarg_segment_size: 108
    .language:       OpenCL C
    .language_version:
      - 2
      - 0
    .max_flat_workgroup_size: 256
    .name:           _ZL29rocblas_internal_gemmt_kernelIlLi16ELi32ELi8ELc78ELc67ELc76ELb0ELb0EfPKfS1_PfEviT_T9_T10_S3_lS5_S3_lS4_T11_S3_li
    .private_segment_fixed_size: 0
    .sgpr_count:     37
    .sgpr_spill_count: 0
    .symbol:         _ZL29rocblas_internal_gemmt_kernelIlLi16ELi32ELi8ELc78ELc67ELc76ELb0ELb0EfPKfS1_PfEviT_T9_T10_S3_lS5_S3_lS4_T11_S3_li.kd
    .uniform_work_group_size: 1
    .uses_dynamic_stack: false
    .vgpr_count:     54
    .vgpr_spill_count: 0
    .wavefront_size: 32
  - .args:
      - .offset:         0
        .size:           4
        .value_kind:     by_value
      - .offset:         8
        .size:           8
        .value_kind:     by_value
      - .address_space:  global
        .offset:         16
        .size:           8
        .value_kind:     global_buffer
      - .address_space:  global
        .offset:         24
        .size:           8
        .value_kind:     global_buffer
      - .offset:         32
        .size:           8
        .value_kind:     by_value
      - .offset:         40
        .size:           8
        .value_kind:     by_value
      - .address_space:  global
        .offset:         48
        .size:           8
        .value_kind:     global_buffer
      - .offset:         56
        .size:           8
        .value_kind:     by_value
      - .offset:         64
        .size:           8
        .value_kind:     by_value
      - .address_space:  global
        .offset:         72
        .size:           8
        .value_kind:     global_buffer
      - .address_space:  global
        .offset:         80
        .size:           8
        .value_kind:     global_buffer
      - .offset:         88
        .size:           8
        .value_kind:     by_value
      - .offset:         96
        .size:           8
        .value_kind:     by_value
      - .offset:         104
        .size:           4
        .value_kind:     by_value
    .group_segment_fixed_size: 2048
    .kernarg_segment_align: 8
    .kernarg_segment_size: 108
    .language:       OpenCL C
    .language_version:
      - 2
      - 0
    .max_flat_workgroup_size: 256
    .name:           _ZL29rocblas_internal_gemmt_kernelIlLi16ELi32ELi8ELc84ELc78ELc76ELb0ELb0EfPKfS1_PfEviT_T9_T10_S3_lS5_S3_lS4_T11_S3_li
    .private_segment_fixed_size: 0
    .sgpr_count:     37
    .sgpr_spill_count: 0
    .symbol:         _ZL29rocblas_internal_gemmt_kernelIlLi16ELi32ELi8ELc84ELc78ELc76ELb0ELb0EfPKfS1_PfEviT_T9_T10_S3_lS5_S3_lS4_T11_S3_li.kd
    .uniform_work_group_size: 1
    .uses_dynamic_stack: false
    .vgpr_count:     54
    .vgpr_spill_count: 0
    .wavefront_size: 32
  - .args:
      - .offset:         0
        .size:           4
        .value_kind:     by_value
      - .offset:         8
        .size:           8
        .value_kind:     by_value
      - .address_space:  global
        .offset:         16
        .size:           8
        .value_kind:     global_buffer
      - .address_space:  global
        .offset:         24
        .size:           8
        .value_kind:     global_buffer
      - .offset:         32
        .size:           8
        .value_kind:     by_value
      - .offset:         40
        .size:           8
        .value_kind:     by_value
      - .address_space:  global
        .offset:         48
        .size:           8
        .value_kind:     global_buffer
      - .offset:         56
        .size:           8
        .value_kind:     by_value
      - .offset:         64
        .size:           8
        .value_kind:     by_value
      - .address_space:  global
        .offset:         72
        .size:           8
        .value_kind:     global_buffer
      - .address_space:  global
        .offset:         80
        .size:           8
        .value_kind:     global_buffer
      - .offset:         88
        .size:           8
        .value_kind:     by_value
      - .offset:         96
        .size:           8
        .value_kind:     by_value
      - .offset:         104
        .size:           4
        .value_kind:     by_value
    .group_segment_fixed_size: 2048
    .kernarg_segment_align: 8
    .kernarg_segment_size: 108
    .language:       OpenCL C
    .language_version:
      - 2
      - 0
    .max_flat_workgroup_size: 256
    .name:           _ZL29rocblas_internal_gemmt_kernelIlLi16ELi32ELi8ELc84ELc84ELc76ELb0ELb0EfPKfS1_PfEviT_T9_T10_S3_lS5_S3_lS4_T11_S3_li
    .private_segment_fixed_size: 0
    .sgpr_count:     37
    .sgpr_spill_count: 0
    .symbol:         _ZL29rocblas_internal_gemmt_kernelIlLi16ELi32ELi8ELc84ELc84ELc76ELb0ELb0EfPKfS1_PfEviT_T9_T10_S3_lS5_S3_lS4_T11_S3_li.kd
    .uniform_work_group_size: 1
    .uses_dynamic_stack: false
    .vgpr_count:     54
    .vgpr_spill_count: 0
    .wavefront_size: 32
  - .args:
      - .offset:         0
        .size:           4
        .value_kind:     by_value
      - .offset:         8
        .size:           8
        .value_kind:     by_value
      - .address_space:  global
        .offset:         16
        .size:           8
        .value_kind:     global_buffer
      - .address_space:  global
        .offset:         24
        .size:           8
        .value_kind:     global_buffer
      - .offset:         32
        .size:           8
        .value_kind:     by_value
      - .offset:         40
        .size:           8
        .value_kind:     by_value
      - .address_space:  global
        .offset:         48
        .size:           8
        .value_kind:     global_buffer
      - .offset:         56
        .size:           8
        .value_kind:     by_value
      - .offset:         64
        .size:           8
        .value_kind:     by_value
      - .address_space:  global
        .offset:         72
        .size:           8
        .value_kind:     global_buffer
      - .address_space:  global
        .offset:         80
        .size:           8
        .value_kind:     global_buffer
      - .offset:         88
        .size:           8
        .value_kind:     by_value
      - .offset:         96
        .size:           8
        .value_kind:     by_value
      - .offset:         104
        .size:           4
        .value_kind:     by_value
    .group_segment_fixed_size: 2048
    .kernarg_segment_align: 8
    .kernarg_segment_size: 108
    .language:       OpenCL C
    .language_version:
      - 2
      - 0
    .max_flat_workgroup_size: 256
    .name:           _ZL29rocblas_internal_gemmt_kernelIlLi16ELi32ELi8ELc84ELc67ELc76ELb0ELb0EfPKfS1_PfEviT_T9_T10_S3_lS5_S3_lS4_T11_S3_li
    .private_segment_fixed_size: 0
    .sgpr_count:     37
    .sgpr_spill_count: 0
    .symbol:         _ZL29rocblas_internal_gemmt_kernelIlLi16ELi32ELi8ELc84ELc67ELc76ELb0ELb0EfPKfS1_PfEviT_T9_T10_S3_lS5_S3_lS4_T11_S3_li.kd
    .uniform_work_group_size: 1
    .uses_dynamic_stack: false
    .vgpr_count:     54
    .vgpr_spill_count: 0
    .wavefront_size: 32
  - .args:
      - .offset:         0
        .size:           4
        .value_kind:     by_value
      - .offset:         8
        .size:           8
        .value_kind:     by_value
      - .address_space:  global
        .offset:         16
        .size:           8
        .value_kind:     global_buffer
      - .address_space:  global
        .offset:         24
        .size:           8
        .value_kind:     global_buffer
      - .offset:         32
        .size:           8
        .value_kind:     by_value
      - .offset:         40
        .size:           8
        .value_kind:     by_value
      - .address_space:  global
        .offset:         48
        .size:           8
        .value_kind:     global_buffer
      - .offset:         56
        .size:           8
        .value_kind:     by_value
      - .offset:         64
        .size:           8
        .value_kind:     by_value
      - .address_space:  global
        .offset:         72
        .size:           8
        .value_kind:     global_buffer
      - .address_space:  global
        .offset:         80
        .size:           8
        .value_kind:     global_buffer
      - .offset:         88
        .size:           8
        .value_kind:     by_value
      - .offset:         96
        .size:           8
        .value_kind:     by_value
      - .offset:         104
        .size:           4
        .value_kind:     by_value
    .group_segment_fixed_size: 2048
    .kernarg_segment_align: 8
    .kernarg_segment_size: 108
    .language:       OpenCL C
    .language_version:
      - 2
      - 0
    .max_flat_workgroup_size: 256
    .name:           _ZL29rocblas_internal_gemmt_kernelIlLi16ELi32ELi8ELc67ELc78ELc76ELb0ELb0EfPKfS1_PfEviT_T9_T10_S3_lS5_S3_lS4_T11_S3_li
    .private_segment_fixed_size: 0
    .sgpr_count:     37
    .sgpr_spill_count: 0
    .symbol:         _ZL29rocblas_internal_gemmt_kernelIlLi16ELi32ELi8ELc67ELc78ELc76ELb0ELb0EfPKfS1_PfEviT_T9_T10_S3_lS5_S3_lS4_T11_S3_li.kd
    .uniform_work_group_size: 1
    .uses_dynamic_stack: false
    .vgpr_count:     54
    .vgpr_spill_count: 0
    .wavefront_size: 32
  - .args:
      - .offset:         0
        .size:           4
        .value_kind:     by_value
      - .offset:         8
        .size:           8
        .value_kind:     by_value
      - .address_space:  global
        .offset:         16
        .size:           8
        .value_kind:     global_buffer
      - .address_space:  global
        .offset:         24
        .size:           8
        .value_kind:     global_buffer
      - .offset:         32
        .size:           8
        .value_kind:     by_value
      - .offset:         40
        .size:           8
        .value_kind:     by_value
      - .address_space:  global
        .offset:         48
        .size:           8
        .value_kind:     global_buffer
      - .offset:         56
        .size:           8
        .value_kind:     by_value
      - .offset:         64
        .size:           8
        .value_kind:     by_value
      - .address_space:  global
        .offset:         72
        .size:           8
        .value_kind:     global_buffer
      - .address_space:  global
        .offset:         80
        .size:           8
        .value_kind:     global_buffer
      - .offset:         88
        .size:           8
        .value_kind:     by_value
      - .offset:         96
        .size:           8
        .value_kind:     by_value
      - .offset:         104
        .size:           4
        .value_kind:     by_value
    .group_segment_fixed_size: 2048
    .kernarg_segment_align: 8
    .kernarg_segment_size: 108
    .language:       OpenCL C
    .language_version:
      - 2
      - 0
    .max_flat_workgroup_size: 256
    .name:           _ZL29rocblas_internal_gemmt_kernelIlLi16ELi32ELi8ELc67ELc84ELc76ELb0ELb0EfPKfS1_PfEviT_T9_T10_S3_lS5_S3_lS4_T11_S3_li
    .private_segment_fixed_size: 0
    .sgpr_count:     37
    .sgpr_spill_count: 0
    .symbol:         _ZL29rocblas_internal_gemmt_kernelIlLi16ELi32ELi8ELc67ELc84ELc76ELb0ELb0EfPKfS1_PfEviT_T9_T10_S3_lS5_S3_lS4_T11_S3_li.kd
    .uniform_work_group_size: 1
    .uses_dynamic_stack: false
    .vgpr_count:     54
    .vgpr_spill_count: 0
    .wavefront_size: 32
  - .args:
      - .offset:         0
        .size:           4
        .value_kind:     by_value
      - .offset:         8
        .size:           8
        .value_kind:     by_value
      - .address_space:  global
        .offset:         16
        .size:           8
        .value_kind:     global_buffer
      - .address_space:  global
        .offset:         24
        .size:           8
        .value_kind:     global_buffer
      - .offset:         32
        .size:           8
        .value_kind:     by_value
      - .offset:         40
        .size:           8
        .value_kind:     by_value
      - .address_space:  global
        .offset:         48
        .size:           8
        .value_kind:     global_buffer
      - .offset:         56
        .size:           8
        .value_kind:     by_value
      - .offset:         64
        .size:           8
        .value_kind:     by_value
      - .address_space:  global
        .offset:         72
        .size:           8
        .value_kind:     global_buffer
      - .address_space:  global
        .offset:         80
        .size:           8
        .value_kind:     global_buffer
      - .offset:         88
        .size:           8
        .value_kind:     by_value
      - .offset:         96
        .size:           8
        .value_kind:     by_value
      - .offset:         104
        .size:           4
        .value_kind:     by_value
    .group_segment_fixed_size: 2048
    .kernarg_segment_align: 8
    .kernarg_segment_size: 108
    .language:       OpenCL C
    .language_version:
      - 2
      - 0
    .max_flat_workgroup_size: 256
    .name:           _ZL29rocblas_internal_gemmt_kernelIlLi16ELi32ELi8ELc67ELc67ELc76ELb0ELb0EfPKfS1_PfEviT_T9_T10_S3_lS5_S3_lS4_T11_S3_li
    .private_segment_fixed_size: 0
    .sgpr_count:     37
    .sgpr_spill_count: 0
    .symbol:         _ZL29rocblas_internal_gemmt_kernelIlLi16ELi32ELi8ELc67ELc67ELc76ELb0ELb0EfPKfS1_PfEviT_T9_T10_S3_lS5_S3_lS4_T11_S3_li.kd
    .uniform_work_group_size: 1
    .uses_dynamic_stack: false
    .vgpr_count:     54
    .vgpr_spill_count: 0
    .wavefront_size: 32
  - .args:
      - .offset:         0
        .size:           4
        .value_kind:     by_value
      - .offset:         8
        .size:           8
        .value_kind:     by_value
      - .offset:         16
        .size:           4
        .value_kind:     by_value
      - .address_space:  global
        .offset:         24
        .size:           8
        .value_kind:     global_buffer
      - .offset:         32
        .size:           8
        .value_kind:     by_value
      - .offset:         40
        .size:           8
        .value_kind:     by_value
      - .address_space:  global
        .offset:         48
        .size:           8
        .value_kind:     global_buffer
      - .offset:         56
        .size:           8
        .value_kind:     by_value
      - .offset:         64
        .size:           8
        .value_kind:     by_value
      - .offset:         72
        .size:           4
        .value_kind:     by_value
      - .address_space:  global
        .offset:         80
        .size:           8
        .value_kind:     global_buffer
      - .offset:         88
        .size:           8
        .value_kind:     by_value
      - .offset:         96
        .size:           8
        .value_kind:     by_value
      - .offset:         104
        .size:           4
        .value_kind:     by_value
    .group_segment_fixed_size: 2048
    .kernarg_segment_align: 8
    .kernarg_segment_size: 108
    .language:       OpenCL C
    .language_version:
      - 2
      - 0
    .max_flat_workgroup_size: 256
    .name:           _ZL29rocblas_internal_gemmt_kernelIlLi16ELi32ELi8ELc78ELc78ELc85ELb0ELb0EffPKfPfEviT_T9_T10_S3_lS5_S3_lS4_T11_S3_li
    .private_segment_fixed_size: 0
    .sgpr_count:     32
    .sgpr_spill_count: 0
    .symbol:         _ZL29rocblas_internal_gemmt_kernelIlLi16ELi32ELi8ELc78ELc78ELc85ELb0ELb0EffPKfPfEviT_T9_T10_S3_lS5_S3_lS4_T11_S3_li.kd
    .uniform_work_group_size: 1
    .uses_dynamic_stack: false
    .vgpr_count:     54
    .vgpr_spill_count: 0
    .wavefront_size: 32
  - .args:
      - .offset:         0
        .size:           4
        .value_kind:     by_value
      - .offset:         8
        .size:           8
        .value_kind:     by_value
      - .offset:         16
        .size:           4
        .value_kind:     by_value
      - .address_space:  global
        .offset:         24
        .size:           8
        .value_kind:     global_buffer
      - .offset:         32
        .size:           8
        .value_kind:     by_value
      - .offset:         40
        .size:           8
        .value_kind:     by_value
      - .address_space:  global
        .offset:         48
        .size:           8
        .value_kind:     global_buffer
      - .offset:         56
        .size:           8
        .value_kind:     by_value
      - .offset:         64
        .size:           8
        .value_kind:     by_value
      - .offset:         72
        .size:           4
        .value_kind:     by_value
      - .address_space:  global
        .offset:         80
        .size:           8
        .value_kind:     global_buffer
      - .offset:         88
        .size:           8
        .value_kind:     by_value
      - .offset:         96
        .size:           8
        .value_kind:     by_value
      - .offset:         104
        .size:           4
        .value_kind:     by_value
    .group_segment_fixed_size: 2048
    .kernarg_segment_align: 8
    .kernarg_segment_size: 108
    .language:       OpenCL C
    .language_version:
      - 2
      - 0
    .max_flat_workgroup_size: 256
    .name:           _ZL29rocblas_internal_gemmt_kernelIlLi16ELi32ELi8ELc78ELc84ELc85ELb0ELb0EffPKfPfEviT_T9_T10_S3_lS5_S3_lS4_T11_S3_li
    .private_segment_fixed_size: 0
    .sgpr_count:     34
    .sgpr_spill_count: 0
    .symbol:         _ZL29rocblas_internal_gemmt_kernelIlLi16ELi32ELi8ELc78ELc84ELc85ELb0ELb0EffPKfPfEviT_T9_T10_S3_lS5_S3_lS4_T11_S3_li.kd
    .uniform_work_group_size: 1
    .uses_dynamic_stack: false
    .vgpr_count:     54
    .vgpr_spill_count: 0
    .wavefront_size: 32
  - .args:
      - .offset:         0
        .size:           4
        .value_kind:     by_value
      - .offset:         8
        .size:           8
        .value_kind:     by_value
      - .offset:         16
        .size:           4
        .value_kind:     by_value
      - .address_space:  global
        .offset:         24
        .size:           8
        .value_kind:     global_buffer
      - .offset:         32
        .size:           8
        .value_kind:     by_value
      - .offset:         40
        .size:           8
        .value_kind:     by_value
      - .address_space:  global
        .offset:         48
        .size:           8
        .value_kind:     global_buffer
      - .offset:         56
        .size:           8
        .value_kind:     by_value
      - .offset:         64
        .size:           8
        .value_kind:     by_value
      - .offset:         72
        .size:           4
        .value_kind:     by_value
      - .address_space:  global
        .offset:         80
        .size:           8
        .value_kind:     global_buffer
      - .offset:         88
        .size:           8
        .value_kind:     by_value
      - .offset:         96
        .size:           8
        .value_kind:     by_value
      - .offset:         104
        .size:           4
        .value_kind:     by_value
    .group_segment_fixed_size: 2048
    .kernarg_segment_align: 8
    .kernarg_segment_size: 108
    .language:       OpenCL C
    .language_version:
      - 2
      - 0
    .max_flat_workgroup_size: 256
    .name:           _ZL29rocblas_internal_gemmt_kernelIlLi16ELi32ELi8ELc78ELc67ELc85ELb0ELb0EffPKfPfEviT_T9_T10_S3_lS5_S3_lS4_T11_S3_li
    .private_segment_fixed_size: 0
    .sgpr_count:     34
    .sgpr_spill_count: 0
    .symbol:         _ZL29rocblas_internal_gemmt_kernelIlLi16ELi32ELi8ELc78ELc67ELc85ELb0ELb0EffPKfPfEviT_T9_T10_S3_lS5_S3_lS4_T11_S3_li.kd
    .uniform_work_group_size: 1
    .uses_dynamic_stack: false
    .vgpr_count:     54
    .vgpr_spill_count: 0
    .wavefront_size: 32
  - .args:
      - .offset:         0
        .size:           4
        .value_kind:     by_value
      - .offset:         8
        .size:           8
        .value_kind:     by_value
      - .offset:         16
        .size:           4
        .value_kind:     by_value
      - .address_space:  global
        .offset:         24
        .size:           8
        .value_kind:     global_buffer
      - .offset:         32
        .size:           8
        .value_kind:     by_value
      - .offset:         40
        .size:           8
        .value_kind:     by_value
      - .address_space:  global
        .offset:         48
        .size:           8
        .value_kind:     global_buffer
      - .offset:         56
        .size:           8
        .value_kind:     by_value
      - .offset:         64
        .size:           8
        .value_kind:     by_value
      - .offset:         72
        .size:           4
        .value_kind:     by_value
      - .address_space:  global
        .offset:         80
        .size:           8
        .value_kind:     global_buffer
      - .offset:         88
        .size:           8
        .value_kind:     by_value
      - .offset:         96
        .size:           8
        .value_kind:     by_value
      - .offset:         104
        .size:           4
        .value_kind:     by_value
    .group_segment_fixed_size: 2048
    .kernarg_segment_align: 8
    .kernarg_segment_size: 108
    .language:       OpenCL C
    .language_version:
      - 2
      - 0
    .max_flat_workgroup_size: 256
    .name:           _ZL29rocblas_internal_gemmt_kernelIlLi16ELi32ELi8ELc84ELc78ELc85ELb0ELb0EffPKfPfEviT_T9_T10_S3_lS5_S3_lS4_T11_S3_li
    .private_segment_fixed_size: 0
    .sgpr_count:     29
    .sgpr_spill_count: 0
    .symbol:         _ZL29rocblas_internal_gemmt_kernelIlLi16ELi32ELi8ELc84ELc78ELc85ELb0ELb0EffPKfPfEviT_T9_T10_S3_lS5_S3_lS4_T11_S3_li.kd
    .uniform_work_group_size: 1
    .uses_dynamic_stack: false
    .vgpr_count:     54
    .vgpr_spill_count: 0
    .wavefront_size: 32
  - .args:
      - .offset:         0
        .size:           4
        .value_kind:     by_value
      - .offset:         8
        .size:           8
        .value_kind:     by_value
      - .offset:         16
        .size:           4
        .value_kind:     by_value
      - .address_space:  global
        .offset:         24
        .size:           8
        .value_kind:     global_buffer
      - .offset:         32
        .size:           8
        .value_kind:     by_value
      - .offset:         40
        .size:           8
        .value_kind:     by_value
      - .address_space:  global
        .offset:         48
        .size:           8
        .value_kind:     global_buffer
      - .offset:         56
        .size:           8
        .value_kind:     by_value
      - .offset:         64
        .size:           8
        .value_kind:     by_value
      - .offset:         72
        .size:           4
        .value_kind:     by_value
      - .address_space:  global
        .offset:         80
        .size:           8
        .value_kind:     global_buffer
      - .offset:         88
        .size:           8
        .value_kind:     by_value
      - .offset:         96
        .size:           8
        .value_kind:     by_value
      - .offset:         104
        .size:           4
        .value_kind:     by_value
    .group_segment_fixed_size: 2048
    .kernarg_segment_align: 8
    .kernarg_segment_size: 108
    .language:       OpenCL C
    .language_version:
      - 2
      - 0
    .max_flat_workgroup_size: 256
    .name:           _ZL29rocblas_internal_gemmt_kernelIlLi16ELi32ELi8ELc84ELc84ELc85ELb0ELb0EffPKfPfEviT_T9_T10_S3_lS5_S3_lS4_T11_S3_li
    .private_segment_fixed_size: 0
    .sgpr_count:     32
    .sgpr_spill_count: 0
    .symbol:         _ZL29rocblas_internal_gemmt_kernelIlLi16ELi32ELi8ELc84ELc84ELc85ELb0ELb0EffPKfPfEviT_T9_T10_S3_lS5_S3_lS4_T11_S3_li.kd
    .uniform_work_group_size: 1
    .uses_dynamic_stack: false
    .vgpr_count:     54
    .vgpr_spill_count: 0
    .wavefront_size: 32
  - .args:
      - .offset:         0
        .size:           4
        .value_kind:     by_value
      - .offset:         8
        .size:           8
        .value_kind:     by_value
      - .offset:         16
        .size:           4
        .value_kind:     by_value
      - .address_space:  global
        .offset:         24
        .size:           8
        .value_kind:     global_buffer
      - .offset:         32
        .size:           8
        .value_kind:     by_value
      - .offset:         40
        .size:           8
        .value_kind:     by_value
      - .address_space:  global
        .offset:         48
        .size:           8
        .value_kind:     global_buffer
      - .offset:         56
        .size:           8
        .value_kind:     by_value
      - .offset:         64
        .size:           8
        .value_kind:     by_value
      - .offset:         72
        .size:           4
        .value_kind:     by_value
      - .address_space:  global
        .offset:         80
        .size:           8
        .value_kind:     global_buffer
      - .offset:         88
        .size:           8
        .value_kind:     by_value
      - .offset:         96
        .size:           8
        .value_kind:     by_value
      - .offset:         104
        .size:           4
        .value_kind:     by_value
    .group_segment_fixed_size: 2048
    .kernarg_segment_align: 8
    .kernarg_segment_size: 108
    .language:       OpenCL C
    .language_version:
      - 2
      - 0
    .max_flat_workgroup_size: 256
    .name:           _ZL29rocblas_internal_gemmt_kernelIlLi16ELi32ELi8ELc84ELc67ELc85ELb0ELb0EffPKfPfEviT_T9_T10_S3_lS5_S3_lS4_T11_S3_li
    .private_segment_fixed_size: 0
    .sgpr_count:     32
    .sgpr_spill_count: 0
    .symbol:         _ZL29rocblas_internal_gemmt_kernelIlLi16ELi32ELi8ELc84ELc67ELc85ELb0ELb0EffPKfPfEviT_T9_T10_S3_lS5_S3_lS4_T11_S3_li.kd
    .uniform_work_group_size: 1
    .uses_dynamic_stack: false
    .vgpr_count:     54
    .vgpr_spill_count: 0
    .wavefront_size: 32
  - .args:
      - .offset:         0
        .size:           4
        .value_kind:     by_value
      - .offset:         8
        .size:           8
        .value_kind:     by_value
      - .offset:         16
        .size:           4
        .value_kind:     by_value
      - .address_space:  global
        .offset:         24
        .size:           8
        .value_kind:     global_buffer
      - .offset:         32
        .size:           8
        .value_kind:     by_value
      - .offset:         40
        .size:           8
        .value_kind:     by_value
      - .address_space:  global
        .offset:         48
        .size:           8
        .value_kind:     global_buffer
      - .offset:         56
        .size:           8
        .value_kind:     by_value
      - .offset:         64
        .size:           8
        .value_kind:     by_value
      - .offset:         72
        .size:           4
        .value_kind:     by_value
      - .address_space:  global
        .offset:         80
        .size:           8
        .value_kind:     global_buffer
      - .offset:         88
        .size:           8
        .value_kind:     by_value
      - .offset:         96
        .size:           8
        .value_kind:     by_value
      - .offset:         104
        .size:           4
        .value_kind:     by_value
    .group_segment_fixed_size: 2048
    .kernarg_segment_align: 8
    .kernarg_segment_size: 108
    .language:       OpenCL C
    .language_version:
      - 2
      - 0
    .max_flat_workgroup_size: 256
    .name:           _ZL29rocblas_internal_gemmt_kernelIlLi16ELi32ELi8ELc67ELc78ELc85ELb0ELb0EffPKfPfEviT_T9_T10_S3_lS5_S3_lS4_T11_S3_li
    .private_segment_fixed_size: 0
    .sgpr_count:     29
    .sgpr_spill_count: 0
    .symbol:         _ZL29rocblas_internal_gemmt_kernelIlLi16ELi32ELi8ELc67ELc78ELc85ELb0ELb0EffPKfPfEviT_T9_T10_S3_lS5_S3_lS4_T11_S3_li.kd
    .uniform_work_group_size: 1
    .uses_dynamic_stack: false
    .vgpr_count:     54
    .vgpr_spill_count: 0
    .wavefront_size: 32
  - .args:
      - .offset:         0
        .size:           4
        .value_kind:     by_value
      - .offset:         8
        .size:           8
        .value_kind:     by_value
      - .offset:         16
        .size:           4
        .value_kind:     by_value
      - .address_space:  global
        .offset:         24
        .size:           8
        .value_kind:     global_buffer
      - .offset:         32
        .size:           8
        .value_kind:     by_value
      - .offset:         40
        .size:           8
        .value_kind:     by_value
      - .address_space:  global
        .offset:         48
        .size:           8
        .value_kind:     global_buffer
      - .offset:         56
        .size:           8
        .value_kind:     by_value
      - .offset:         64
        .size:           8
        .value_kind:     by_value
      - .offset:         72
        .size:           4
        .value_kind:     by_value
      - .address_space:  global
        .offset:         80
        .size:           8
        .value_kind:     global_buffer
      - .offset:         88
        .size:           8
        .value_kind:     by_value
      - .offset:         96
        .size:           8
        .value_kind:     by_value
      - .offset:         104
        .size:           4
        .value_kind:     by_value
    .group_segment_fixed_size: 2048
    .kernarg_segment_align: 8
    .kernarg_segment_size: 108
    .language:       OpenCL C
    .language_version:
      - 2
      - 0
    .max_flat_workgroup_size: 256
    .name:           _ZL29rocblas_internal_gemmt_kernelIlLi16ELi32ELi8ELc67ELc84ELc85ELb0ELb0EffPKfPfEviT_T9_T10_S3_lS5_S3_lS4_T11_S3_li
    .private_segment_fixed_size: 0
    .sgpr_count:     32
    .sgpr_spill_count: 0
    .symbol:         _ZL29rocblas_internal_gemmt_kernelIlLi16ELi32ELi8ELc67ELc84ELc85ELb0ELb0EffPKfPfEviT_T9_T10_S3_lS5_S3_lS4_T11_S3_li.kd
    .uniform_work_group_size: 1
    .uses_dynamic_stack: false
    .vgpr_count:     54
    .vgpr_spill_count: 0
    .wavefront_size: 32
  - .args:
      - .offset:         0
        .size:           4
        .value_kind:     by_value
      - .offset:         8
        .size:           8
        .value_kind:     by_value
      - .offset:         16
        .size:           4
        .value_kind:     by_value
      - .address_space:  global
        .offset:         24
        .size:           8
        .value_kind:     global_buffer
      - .offset:         32
        .size:           8
        .value_kind:     by_value
      - .offset:         40
        .size:           8
        .value_kind:     by_value
      - .address_space:  global
        .offset:         48
        .size:           8
        .value_kind:     global_buffer
      - .offset:         56
        .size:           8
        .value_kind:     by_value
      - .offset:         64
        .size:           8
        .value_kind:     by_value
      - .offset:         72
        .size:           4
        .value_kind:     by_value
      - .address_space:  global
        .offset:         80
        .size:           8
        .value_kind:     global_buffer
      - .offset:         88
        .size:           8
        .value_kind:     by_value
      - .offset:         96
        .size:           8
        .value_kind:     by_value
      - .offset:         104
        .size:           4
        .value_kind:     by_value
    .group_segment_fixed_size: 2048
    .kernarg_segment_align: 8
    .kernarg_segment_size: 108
    .language:       OpenCL C
    .language_version:
      - 2
      - 0
    .max_flat_workgroup_size: 256
    .name:           _ZL29rocblas_internal_gemmt_kernelIlLi16ELi32ELi8ELc67ELc67ELc85ELb0ELb0EffPKfPfEviT_T9_T10_S3_lS5_S3_lS4_T11_S3_li
    .private_segment_fixed_size: 0
    .sgpr_count:     32
    .sgpr_spill_count: 0
    .symbol:         _ZL29rocblas_internal_gemmt_kernelIlLi16ELi32ELi8ELc67ELc67ELc85ELb0ELb0EffPKfPfEviT_T9_T10_S3_lS5_S3_lS4_T11_S3_li.kd
    .uniform_work_group_size: 1
    .uses_dynamic_stack: false
    .vgpr_count:     54
    .vgpr_spill_count: 0
    .wavefront_size: 32
  - .args:
      - .offset:         0
        .size:           4
        .value_kind:     by_value
      - .offset:         8
        .size:           8
        .value_kind:     by_value
      - .offset:         16
        .size:           4
        .value_kind:     by_value
      - .address_space:  global
        .offset:         24
        .size:           8
        .value_kind:     global_buffer
      - .offset:         32
        .size:           8
        .value_kind:     by_value
      - .offset:         40
        .size:           8
        .value_kind:     by_value
      - .address_space:  global
        .offset:         48
        .size:           8
        .value_kind:     global_buffer
      - .offset:         56
        .size:           8
        .value_kind:     by_value
      - .offset:         64
        .size:           8
        .value_kind:     by_value
      - .offset:         72
        .size:           4
        .value_kind:     by_value
      - .address_space:  global
        .offset:         80
        .size:           8
        .value_kind:     global_buffer
      - .offset:         88
        .size:           8
        .value_kind:     by_value
      - .offset:         96
        .size:           8
        .value_kind:     by_value
      - .offset:         104
        .size:           4
        .value_kind:     by_value
    .group_segment_fixed_size: 2048
    .kernarg_segment_align: 8
    .kernarg_segment_size: 108
    .language:       OpenCL C
    .language_version:
      - 2
      - 0
    .max_flat_workgroup_size: 256
    .name:           _ZL29rocblas_internal_gemmt_kernelIlLi16ELi32ELi8ELc78ELc78ELc76ELb0ELb0EffPKfPfEviT_T9_T10_S3_lS5_S3_lS4_T11_S3_li
    .private_segment_fixed_size: 0
    .sgpr_count:     32
    .sgpr_spill_count: 0
    .symbol:         _ZL29rocblas_internal_gemmt_kernelIlLi16ELi32ELi8ELc78ELc78ELc76ELb0ELb0EffPKfPfEviT_T9_T10_S3_lS5_S3_lS4_T11_S3_li.kd
    .uniform_work_group_size: 1
    .uses_dynamic_stack: false
    .vgpr_count:     54
    .vgpr_spill_count: 0
    .wavefront_size: 32
  - .args:
      - .offset:         0
        .size:           4
        .value_kind:     by_value
      - .offset:         8
        .size:           8
        .value_kind:     by_value
      - .offset:         16
        .size:           4
        .value_kind:     by_value
      - .address_space:  global
        .offset:         24
        .size:           8
        .value_kind:     global_buffer
      - .offset:         32
        .size:           8
        .value_kind:     by_value
      - .offset:         40
        .size:           8
        .value_kind:     by_value
      - .address_space:  global
        .offset:         48
        .size:           8
        .value_kind:     global_buffer
      - .offset:         56
        .size:           8
        .value_kind:     by_value
      - .offset:         64
        .size:           8
        .value_kind:     by_value
      - .offset:         72
        .size:           4
        .value_kind:     by_value
      - .address_space:  global
        .offset:         80
        .size:           8
        .value_kind:     global_buffer
      - .offset:         88
        .size:           8
        .value_kind:     by_value
      - .offset:         96
        .size:           8
        .value_kind:     by_value
      - .offset:         104
        .size:           4
        .value_kind:     by_value
    .group_segment_fixed_size: 2048
    .kernarg_segment_align: 8
    .kernarg_segment_size: 108
    .language:       OpenCL C
    .language_version:
      - 2
      - 0
    .max_flat_workgroup_size: 256
    .name:           _ZL29rocblas_internal_gemmt_kernelIlLi16ELi32ELi8ELc78ELc84ELc76ELb0ELb0EffPKfPfEviT_T9_T10_S3_lS5_S3_lS4_T11_S3_li
    .private_segment_fixed_size: 0
    .sgpr_count:     34
    .sgpr_spill_count: 0
    .symbol:         _ZL29rocblas_internal_gemmt_kernelIlLi16ELi32ELi8ELc78ELc84ELc76ELb0ELb0EffPKfPfEviT_T9_T10_S3_lS5_S3_lS4_T11_S3_li.kd
    .uniform_work_group_size: 1
    .uses_dynamic_stack: false
    .vgpr_count:     54
    .vgpr_spill_count: 0
    .wavefront_size: 32
  - .args:
      - .offset:         0
        .size:           4
        .value_kind:     by_value
      - .offset:         8
        .size:           8
        .value_kind:     by_value
      - .offset:         16
        .size:           4
        .value_kind:     by_value
      - .address_space:  global
        .offset:         24
        .size:           8
        .value_kind:     global_buffer
      - .offset:         32
        .size:           8
        .value_kind:     by_value
      - .offset:         40
        .size:           8
        .value_kind:     by_value
      - .address_space:  global
        .offset:         48
        .size:           8
        .value_kind:     global_buffer
      - .offset:         56
        .size:           8
        .value_kind:     by_value
      - .offset:         64
        .size:           8
        .value_kind:     by_value
      - .offset:         72
        .size:           4
        .value_kind:     by_value
      - .address_space:  global
        .offset:         80
        .size:           8
        .value_kind:     global_buffer
      - .offset:         88
        .size:           8
        .value_kind:     by_value
      - .offset:         96
        .size:           8
        .value_kind:     by_value
      - .offset:         104
        .size:           4
        .value_kind:     by_value
    .group_segment_fixed_size: 2048
    .kernarg_segment_align: 8
    .kernarg_segment_size: 108
    .language:       OpenCL C
    .language_version:
      - 2
      - 0
    .max_flat_workgroup_size: 256
    .name:           _ZL29rocblas_internal_gemmt_kernelIlLi16ELi32ELi8ELc78ELc67ELc76ELb0ELb0EffPKfPfEviT_T9_T10_S3_lS5_S3_lS4_T11_S3_li
    .private_segment_fixed_size: 0
    .sgpr_count:     34
    .sgpr_spill_count: 0
    .symbol:         _ZL29rocblas_internal_gemmt_kernelIlLi16ELi32ELi8ELc78ELc67ELc76ELb0ELb0EffPKfPfEviT_T9_T10_S3_lS5_S3_lS4_T11_S3_li.kd
    .uniform_work_group_size: 1
    .uses_dynamic_stack: false
    .vgpr_count:     54
    .vgpr_spill_count: 0
    .wavefront_size: 32
  - .args:
      - .offset:         0
        .size:           4
        .value_kind:     by_value
      - .offset:         8
        .size:           8
        .value_kind:     by_value
      - .offset:         16
        .size:           4
        .value_kind:     by_value
      - .address_space:  global
        .offset:         24
        .size:           8
        .value_kind:     global_buffer
      - .offset:         32
        .size:           8
        .value_kind:     by_value
      - .offset:         40
        .size:           8
        .value_kind:     by_value
      - .address_space:  global
        .offset:         48
        .size:           8
        .value_kind:     global_buffer
      - .offset:         56
        .size:           8
        .value_kind:     by_value
      - .offset:         64
        .size:           8
        .value_kind:     by_value
      - .offset:         72
        .size:           4
        .value_kind:     by_value
      - .address_space:  global
        .offset:         80
        .size:           8
        .value_kind:     global_buffer
      - .offset:         88
        .size:           8
        .value_kind:     by_value
      - .offset:         96
        .size:           8
        .value_kind:     by_value
      - .offset:         104
        .size:           4
        .value_kind:     by_value
    .group_segment_fixed_size: 2048
    .kernarg_segment_align: 8
    .kernarg_segment_size: 108
    .language:       OpenCL C
    .language_version:
      - 2
      - 0
    .max_flat_workgroup_size: 256
    .name:           _ZL29rocblas_internal_gemmt_kernelIlLi16ELi32ELi8ELc84ELc78ELc76ELb0ELb0EffPKfPfEviT_T9_T10_S3_lS5_S3_lS4_T11_S3_li
    .private_segment_fixed_size: 0
    .sgpr_count:     29
    .sgpr_spill_count: 0
    .symbol:         _ZL29rocblas_internal_gemmt_kernelIlLi16ELi32ELi8ELc84ELc78ELc76ELb0ELb0EffPKfPfEviT_T9_T10_S3_lS5_S3_lS4_T11_S3_li.kd
    .uniform_work_group_size: 1
    .uses_dynamic_stack: false
    .vgpr_count:     54
    .vgpr_spill_count: 0
    .wavefront_size: 32
  - .args:
      - .offset:         0
        .size:           4
        .value_kind:     by_value
      - .offset:         8
        .size:           8
        .value_kind:     by_value
      - .offset:         16
        .size:           4
        .value_kind:     by_value
      - .address_space:  global
        .offset:         24
        .size:           8
        .value_kind:     global_buffer
      - .offset:         32
        .size:           8
        .value_kind:     by_value
      - .offset:         40
        .size:           8
        .value_kind:     by_value
      - .address_space:  global
        .offset:         48
        .size:           8
        .value_kind:     global_buffer
      - .offset:         56
        .size:           8
        .value_kind:     by_value
      - .offset:         64
        .size:           8
        .value_kind:     by_value
      - .offset:         72
        .size:           4
        .value_kind:     by_value
      - .address_space:  global
        .offset:         80
        .size:           8
        .value_kind:     global_buffer
      - .offset:         88
        .size:           8
        .value_kind:     by_value
      - .offset:         96
        .size:           8
        .value_kind:     by_value
      - .offset:         104
        .size:           4
        .value_kind:     by_value
    .group_segment_fixed_size: 2048
    .kernarg_segment_align: 8
    .kernarg_segment_size: 108
    .language:       OpenCL C
    .language_version:
      - 2
      - 0
    .max_flat_workgroup_size: 256
    .name:           _ZL29rocblas_internal_gemmt_kernelIlLi16ELi32ELi8ELc84ELc84ELc76ELb0ELb0EffPKfPfEviT_T9_T10_S3_lS5_S3_lS4_T11_S3_li
    .private_segment_fixed_size: 0
    .sgpr_count:     32
    .sgpr_spill_count: 0
    .symbol:         _ZL29rocblas_internal_gemmt_kernelIlLi16ELi32ELi8ELc84ELc84ELc76ELb0ELb0EffPKfPfEviT_T9_T10_S3_lS5_S3_lS4_T11_S3_li.kd
    .uniform_work_group_size: 1
    .uses_dynamic_stack: false
    .vgpr_count:     54
    .vgpr_spill_count: 0
    .wavefront_size: 32
  - .args:
      - .offset:         0
        .size:           4
        .value_kind:     by_value
      - .offset:         8
        .size:           8
        .value_kind:     by_value
      - .offset:         16
        .size:           4
        .value_kind:     by_value
      - .address_space:  global
        .offset:         24
        .size:           8
        .value_kind:     global_buffer
      - .offset:         32
        .size:           8
        .value_kind:     by_value
      - .offset:         40
        .size:           8
        .value_kind:     by_value
      - .address_space:  global
        .offset:         48
        .size:           8
        .value_kind:     global_buffer
      - .offset:         56
        .size:           8
        .value_kind:     by_value
      - .offset:         64
        .size:           8
        .value_kind:     by_value
      - .offset:         72
        .size:           4
        .value_kind:     by_value
      - .address_space:  global
        .offset:         80
        .size:           8
        .value_kind:     global_buffer
      - .offset:         88
        .size:           8
        .value_kind:     by_value
      - .offset:         96
        .size:           8
        .value_kind:     by_value
      - .offset:         104
        .size:           4
        .value_kind:     by_value
    .group_segment_fixed_size: 2048
    .kernarg_segment_align: 8
    .kernarg_segment_size: 108
    .language:       OpenCL C
    .language_version:
      - 2
      - 0
    .max_flat_workgroup_size: 256
    .name:           _ZL29rocblas_internal_gemmt_kernelIlLi16ELi32ELi8ELc84ELc67ELc76ELb0ELb0EffPKfPfEviT_T9_T10_S3_lS5_S3_lS4_T11_S3_li
    .private_segment_fixed_size: 0
    .sgpr_count:     32
    .sgpr_spill_count: 0
    .symbol:         _ZL29rocblas_internal_gemmt_kernelIlLi16ELi32ELi8ELc84ELc67ELc76ELb0ELb0EffPKfPfEviT_T9_T10_S3_lS5_S3_lS4_T11_S3_li.kd
    .uniform_work_group_size: 1
    .uses_dynamic_stack: false
    .vgpr_count:     54
    .vgpr_spill_count: 0
    .wavefront_size: 32
  - .args:
      - .offset:         0
        .size:           4
        .value_kind:     by_value
      - .offset:         8
        .size:           8
        .value_kind:     by_value
      - .offset:         16
        .size:           4
        .value_kind:     by_value
      - .address_space:  global
        .offset:         24
        .size:           8
        .value_kind:     global_buffer
      - .offset:         32
        .size:           8
        .value_kind:     by_value
      - .offset:         40
        .size:           8
        .value_kind:     by_value
      - .address_space:  global
        .offset:         48
        .size:           8
        .value_kind:     global_buffer
      - .offset:         56
        .size:           8
        .value_kind:     by_value
      - .offset:         64
        .size:           8
        .value_kind:     by_value
      - .offset:         72
        .size:           4
        .value_kind:     by_value
      - .address_space:  global
        .offset:         80
        .size:           8
        .value_kind:     global_buffer
      - .offset:         88
        .size:           8
        .value_kind:     by_value
      - .offset:         96
        .size:           8
        .value_kind:     by_value
      - .offset:         104
        .size:           4
        .value_kind:     by_value
    .group_segment_fixed_size: 2048
    .kernarg_segment_align: 8
    .kernarg_segment_size: 108
    .language:       OpenCL C
    .language_version:
      - 2
      - 0
    .max_flat_workgroup_size: 256
    .name:           _ZL29rocblas_internal_gemmt_kernelIlLi16ELi32ELi8ELc67ELc78ELc76ELb0ELb0EffPKfPfEviT_T9_T10_S3_lS5_S3_lS4_T11_S3_li
    .private_segment_fixed_size: 0
    .sgpr_count:     29
    .sgpr_spill_count: 0
    .symbol:         _ZL29rocblas_internal_gemmt_kernelIlLi16ELi32ELi8ELc67ELc78ELc76ELb0ELb0EffPKfPfEviT_T9_T10_S3_lS5_S3_lS4_T11_S3_li.kd
    .uniform_work_group_size: 1
    .uses_dynamic_stack: false
    .vgpr_count:     54
    .vgpr_spill_count: 0
    .wavefront_size: 32
  - .args:
      - .offset:         0
        .size:           4
        .value_kind:     by_value
      - .offset:         8
        .size:           8
        .value_kind:     by_value
      - .offset:         16
        .size:           4
        .value_kind:     by_value
      - .address_space:  global
        .offset:         24
        .size:           8
        .value_kind:     global_buffer
      - .offset:         32
        .size:           8
        .value_kind:     by_value
      - .offset:         40
        .size:           8
        .value_kind:     by_value
      - .address_space:  global
        .offset:         48
        .size:           8
        .value_kind:     global_buffer
      - .offset:         56
        .size:           8
        .value_kind:     by_value
      - .offset:         64
        .size:           8
        .value_kind:     by_value
      - .offset:         72
        .size:           4
        .value_kind:     by_value
      - .address_space:  global
        .offset:         80
        .size:           8
        .value_kind:     global_buffer
      - .offset:         88
        .size:           8
        .value_kind:     by_value
      - .offset:         96
        .size:           8
        .value_kind:     by_value
      - .offset:         104
        .size:           4
        .value_kind:     by_value
    .group_segment_fixed_size: 2048
    .kernarg_segment_align: 8
    .kernarg_segment_size: 108
    .language:       OpenCL C
    .language_version:
      - 2
      - 0
    .max_flat_workgroup_size: 256
    .name:           _ZL29rocblas_internal_gemmt_kernelIlLi16ELi32ELi8ELc67ELc84ELc76ELb0ELb0EffPKfPfEviT_T9_T10_S3_lS5_S3_lS4_T11_S3_li
    .private_segment_fixed_size: 0
    .sgpr_count:     32
    .sgpr_spill_count: 0
    .symbol:         _ZL29rocblas_internal_gemmt_kernelIlLi16ELi32ELi8ELc67ELc84ELc76ELb0ELb0EffPKfPfEviT_T9_T10_S3_lS5_S3_lS4_T11_S3_li.kd
    .uniform_work_group_size: 1
    .uses_dynamic_stack: false
    .vgpr_count:     54
    .vgpr_spill_count: 0
    .wavefront_size: 32
  - .args:
      - .offset:         0
        .size:           4
        .value_kind:     by_value
      - .offset:         8
        .size:           8
        .value_kind:     by_value
      - .offset:         16
        .size:           4
        .value_kind:     by_value
      - .address_space:  global
        .offset:         24
        .size:           8
        .value_kind:     global_buffer
      - .offset:         32
        .size:           8
        .value_kind:     by_value
      - .offset:         40
        .size:           8
        .value_kind:     by_value
      - .address_space:  global
        .offset:         48
        .size:           8
        .value_kind:     global_buffer
      - .offset:         56
        .size:           8
        .value_kind:     by_value
      - .offset:         64
        .size:           8
        .value_kind:     by_value
      - .offset:         72
        .size:           4
        .value_kind:     by_value
      - .address_space:  global
        .offset:         80
        .size:           8
        .value_kind:     global_buffer
      - .offset:         88
        .size:           8
        .value_kind:     by_value
      - .offset:         96
        .size:           8
        .value_kind:     by_value
      - .offset:         104
        .size:           4
        .value_kind:     by_value
    .group_segment_fixed_size: 2048
    .kernarg_segment_align: 8
    .kernarg_segment_size: 108
    .language:       OpenCL C
    .language_version:
      - 2
      - 0
    .max_flat_workgroup_size: 256
    .name:           _ZL29rocblas_internal_gemmt_kernelIlLi16ELi32ELi8ELc67ELc67ELc76ELb0ELb0EffPKfPfEviT_T9_T10_S3_lS5_S3_lS4_T11_S3_li
    .private_segment_fixed_size: 0
    .sgpr_count:     32
    .sgpr_spill_count: 0
    .symbol:         _ZL29rocblas_internal_gemmt_kernelIlLi16ELi32ELi8ELc67ELc67ELc76ELb0ELb0EffPKfPfEviT_T9_T10_S3_lS5_S3_lS4_T11_S3_li.kd
    .uniform_work_group_size: 1
    .uses_dynamic_stack: false
    .vgpr_count:     54
    .vgpr_spill_count: 0
    .wavefront_size: 32
  - .args:
      - .offset:         0
        .size:           4
        .value_kind:     by_value
      - .offset:         8
        .size:           8
        .value_kind:     by_value
      - .address_space:  global
        .offset:         16
        .size:           8
        .value_kind:     global_buffer
      - .address_space:  global
        .offset:         24
        .size:           8
        .value_kind:     global_buffer
      - .offset:         32
        .size:           8
        .value_kind:     by_value
      - .offset:         40
        .size:           8
        .value_kind:     by_value
      - .address_space:  global
        .offset:         48
        .size:           8
        .value_kind:     global_buffer
      - .offset:         56
        .size:           8
        .value_kind:     by_value
      - .offset:         64
        .size:           8
        .value_kind:     by_value
      - .address_space:  global
        .offset:         72
        .size:           8
        .value_kind:     global_buffer
      - .address_space:  global
        .offset:         80
        .size:           8
        .value_kind:     global_buffer
      - .offset:         88
        .size:           8
        .value_kind:     by_value
      - .offset:         96
        .size:           8
        .value_kind:     by_value
      - .offset:         104
        .size:           4
        .value_kind:     by_value
    .group_segment_fixed_size: 4096
    .kernarg_segment_align: 8
    .kernarg_segment_size: 108
    .language:       OpenCL C
    .language_version:
      - 2
      - 0
    .max_flat_workgroup_size: 256
    .name:           _ZL29rocblas_internal_gemmt_kernelIlLi16ELi32ELi8ELc78ELc78ELc85ELb0ELb0EdPKdS1_PdEviT_T9_T10_S3_lS5_S3_lS4_T11_S3_li
    .private_segment_fixed_size: 0
    .sgpr_count:     38
    .sgpr_spill_count: 0
    .symbol:         _ZL29rocblas_internal_gemmt_kernelIlLi16ELi32ELi8ELc78ELc78ELc85ELb0ELb0EdPKdS1_PdEviT_T9_T10_S3_lS5_S3_lS4_T11_S3_li.kd
    .uniform_work_group_size: 1
    .uses_dynamic_stack: false
    .vgpr_count:     52
    .vgpr_spill_count: 0
    .wavefront_size: 32
  - .args:
      - .offset:         0
        .size:           4
        .value_kind:     by_value
      - .offset:         8
        .size:           8
        .value_kind:     by_value
      - .address_space:  global
        .offset:         16
        .size:           8
        .value_kind:     global_buffer
      - .address_space:  global
        .offset:         24
        .size:           8
        .value_kind:     global_buffer
      - .offset:         32
        .size:           8
        .value_kind:     by_value
      - .offset:         40
        .size:           8
        .value_kind:     by_value
      - .address_space:  global
        .offset:         48
        .size:           8
        .value_kind:     global_buffer
      - .offset:         56
        .size:           8
        .value_kind:     by_value
      - .offset:         64
        .size:           8
        .value_kind:     by_value
      - .address_space:  global
        .offset:         72
        .size:           8
        .value_kind:     global_buffer
      - .address_space:  global
        .offset:         80
        .size:           8
        .value_kind:     global_buffer
      - .offset:         88
        .size:           8
        .value_kind:     by_value
      - .offset:         96
        .size:           8
        .value_kind:     by_value
      - .offset:         104
        .size:           4
        .value_kind:     by_value
    .group_segment_fixed_size: 4096
    .kernarg_segment_align: 8
    .kernarg_segment_size: 108
    .language:       OpenCL C
    .language_version:
      - 2
      - 0
    .max_flat_workgroup_size: 256
    .name:           _ZL29rocblas_internal_gemmt_kernelIlLi16ELi32ELi8ELc78ELc84ELc85ELb0ELb0EdPKdS1_PdEviT_T9_T10_S3_lS5_S3_lS4_T11_S3_li
    .private_segment_fixed_size: 0
    .sgpr_count:     38
    .sgpr_spill_count: 0
    .symbol:         _ZL29rocblas_internal_gemmt_kernelIlLi16ELi32ELi8ELc78ELc84ELc85ELb0ELb0EdPKdS1_PdEviT_T9_T10_S3_lS5_S3_lS4_T11_S3_li.kd
    .uniform_work_group_size: 1
    .uses_dynamic_stack: false
    .vgpr_count:     52
    .vgpr_spill_count: 0
    .wavefront_size: 32
  - .args:
      - .offset:         0
        .size:           4
        .value_kind:     by_value
      - .offset:         8
        .size:           8
        .value_kind:     by_value
      - .address_space:  global
        .offset:         16
        .size:           8
        .value_kind:     global_buffer
      - .address_space:  global
        .offset:         24
        .size:           8
        .value_kind:     global_buffer
      - .offset:         32
        .size:           8
        .value_kind:     by_value
      - .offset:         40
        .size:           8
        .value_kind:     by_value
      - .address_space:  global
        .offset:         48
        .size:           8
        .value_kind:     global_buffer
      - .offset:         56
        .size:           8
        .value_kind:     by_value
      - .offset:         64
        .size:           8
        .value_kind:     by_value
      - .address_space:  global
        .offset:         72
        .size:           8
        .value_kind:     global_buffer
      - .address_space:  global
        .offset:         80
        .size:           8
        .value_kind:     global_buffer
      - .offset:         88
        .size:           8
        .value_kind:     by_value
      - .offset:         96
        .size:           8
        .value_kind:     by_value
      - .offset:         104
        .size:           4
        .value_kind:     by_value
    .group_segment_fixed_size: 4096
    .kernarg_segment_align: 8
    .kernarg_segment_size: 108
    .language:       OpenCL C
    .language_version:
      - 2
      - 0
    .max_flat_workgroup_size: 256
    .name:           _ZL29rocblas_internal_gemmt_kernelIlLi16ELi32ELi8ELc78ELc67ELc85ELb0ELb0EdPKdS1_PdEviT_T9_T10_S3_lS5_S3_lS4_T11_S3_li
    .private_segment_fixed_size: 0
    .sgpr_count:     38
    .sgpr_spill_count: 0
    .symbol:         _ZL29rocblas_internal_gemmt_kernelIlLi16ELi32ELi8ELc78ELc67ELc85ELb0ELb0EdPKdS1_PdEviT_T9_T10_S3_lS5_S3_lS4_T11_S3_li.kd
    .uniform_work_group_size: 1
    .uses_dynamic_stack: false
    .vgpr_count:     52
    .vgpr_spill_count: 0
    .wavefront_size: 32
  - .args:
      - .offset:         0
        .size:           4
        .value_kind:     by_value
      - .offset:         8
        .size:           8
        .value_kind:     by_value
      - .address_space:  global
        .offset:         16
        .size:           8
        .value_kind:     global_buffer
      - .address_space:  global
        .offset:         24
        .size:           8
        .value_kind:     global_buffer
      - .offset:         32
        .size:           8
        .value_kind:     by_value
      - .offset:         40
        .size:           8
        .value_kind:     by_value
      - .address_space:  global
        .offset:         48
        .size:           8
        .value_kind:     global_buffer
      - .offset:         56
        .size:           8
        .value_kind:     by_value
      - .offset:         64
        .size:           8
        .value_kind:     by_value
      - .address_space:  global
        .offset:         72
        .size:           8
        .value_kind:     global_buffer
      - .address_space:  global
        .offset:         80
        .size:           8
        .value_kind:     global_buffer
      - .offset:         88
        .size:           8
        .value_kind:     by_value
      - .offset:         96
        .size:           8
        .value_kind:     by_value
      - .offset:         104
        .size:           4
        .value_kind:     by_value
    .group_segment_fixed_size: 4096
    .kernarg_segment_align: 8
    .kernarg_segment_size: 108
    .language:       OpenCL C
    .language_version:
      - 2
      - 0
    .max_flat_workgroup_size: 256
    .name:           _ZL29rocblas_internal_gemmt_kernelIlLi16ELi32ELi8ELc84ELc78ELc85ELb0ELb0EdPKdS1_PdEviT_T9_T10_S3_lS5_S3_lS4_T11_S3_li
    .private_segment_fixed_size: 0
    .sgpr_count:     38
    .sgpr_spill_count: 0
    .symbol:         _ZL29rocblas_internal_gemmt_kernelIlLi16ELi32ELi8ELc84ELc78ELc85ELb0ELb0EdPKdS1_PdEviT_T9_T10_S3_lS5_S3_lS4_T11_S3_li.kd
    .uniform_work_group_size: 1
    .uses_dynamic_stack: false
    .vgpr_count:     52
    .vgpr_spill_count: 0
    .wavefront_size: 32
  - .args:
      - .offset:         0
        .size:           4
        .value_kind:     by_value
      - .offset:         8
        .size:           8
        .value_kind:     by_value
      - .address_space:  global
        .offset:         16
        .size:           8
        .value_kind:     global_buffer
      - .address_space:  global
        .offset:         24
        .size:           8
        .value_kind:     global_buffer
      - .offset:         32
        .size:           8
        .value_kind:     by_value
      - .offset:         40
        .size:           8
        .value_kind:     by_value
      - .address_space:  global
        .offset:         48
        .size:           8
        .value_kind:     global_buffer
      - .offset:         56
        .size:           8
        .value_kind:     by_value
      - .offset:         64
        .size:           8
        .value_kind:     by_value
      - .address_space:  global
        .offset:         72
        .size:           8
        .value_kind:     global_buffer
      - .address_space:  global
        .offset:         80
        .size:           8
        .value_kind:     global_buffer
      - .offset:         88
        .size:           8
        .value_kind:     by_value
      - .offset:         96
        .size:           8
        .value_kind:     by_value
      - .offset:         104
        .size:           4
        .value_kind:     by_value
    .group_segment_fixed_size: 4096
    .kernarg_segment_align: 8
    .kernarg_segment_size: 108
    .language:       OpenCL C
    .language_version:
      - 2
      - 0
    .max_flat_workgroup_size: 256
    .name:           _ZL29rocblas_internal_gemmt_kernelIlLi16ELi32ELi8ELc84ELc84ELc85ELb0ELb0EdPKdS1_PdEviT_T9_T10_S3_lS5_S3_lS4_T11_S3_li
    .private_segment_fixed_size: 0
    .sgpr_count:     38
    .sgpr_spill_count: 0
    .symbol:         _ZL29rocblas_internal_gemmt_kernelIlLi16ELi32ELi8ELc84ELc84ELc85ELb0ELb0EdPKdS1_PdEviT_T9_T10_S3_lS5_S3_lS4_T11_S3_li.kd
    .uniform_work_group_size: 1
    .uses_dynamic_stack: false
    .vgpr_count:     52
    .vgpr_spill_count: 0
    .wavefront_size: 32
  - .args:
      - .offset:         0
        .size:           4
        .value_kind:     by_value
      - .offset:         8
        .size:           8
        .value_kind:     by_value
      - .address_space:  global
        .offset:         16
        .size:           8
        .value_kind:     global_buffer
      - .address_space:  global
        .offset:         24
        .size:           8
        .value_kind:     global_buffer
      - .offset:         32
        .size:           8
        .value_kind:     by_value
      - .offset:         40
        .size:           8
        .value_kind:     by_value
      - .address_space:  global
        .offset:         48
        .size:           8
        .value_kind:     global_buffer
      - .offset:         56
        .size:           8
        .value_kind:     by_value
      - .offset:         64
        .size:           8
        .value_kind:     by_value
      - .address_space:  global
        .offset:         72
        .size:           8
        .value_kind:     global_buffer
      - .address_space:  global
        .offset:         80
        .size:           8
        .value_kind:     global_buffer
      - .offset:         88
        .size:           8
        .value_kind:     by_value
      - .offset:         96
        .size:           8
        .value_kind:     by_value
      - .offset:         104
        .size:           4
        .value_kind:     by_value
    .group_segment_fixed_size: 4096
    .kernarg_segment_align: 8
    .kernarg_segment_size: 108
    .language:       OpenCL C
    .language_version:
      - 2
      - 0
    .max_flat_workgroup_size: 256
    .name:           _ZL29rocblas_internal_gemmt_kernelIlLi16ELi32ELi8ELc84ELc67ELc85ELb0ELb0EdPKdS1_PdEviT_T9_T10_S3_lS5_S3_lS4_T11_S3_li
    .private_segment_fixed_size: 0
    .sgpr_count:     38
    .sgpr_spill_count: 0
    .symbol:         _ZL29rocblas_internal_gemmt_kernelIlLi16ELi32ELi8ELc84ELc67ELc85ELb0ELb0EdPKdS1_PdEviT_T9_T10_S3_lS5_S3_lS4_T11_S3_li.kd
    .uniform_work_group_size: 1
    .uses_dynamic_stack: false
    .vgpr_count:     52
    .vgpr_spill_count: 0
    .wavefront_size: 32
  - .args:
      - .offset:         0
        .size:           4
        .value_kind:     by_value
      - .offset:         8
        .size:           8
        .value_kind:     by_value
      - .address_space:  global
        .offset:         16
        .size:           8
        .value_kind:     global_buffer
      - .address_space:  global
        .offset:         24
        .size:           8
        .value_kind:     global_buffer
      - .offset:         32
        .size:           8
        .value_kind:     by_value
      - .offset:         40
        .size:           8
        .value_kind:     by_value
      - .address_space:  global
        .offset:         48
        .size:           8
        .value_kind:     global_buffer
      - .offset:         56
        .size:           8
        .value_kind:     by_value
      - .offset:         64
        .size:           8
        .value_kind:     by_value
      - .address_space:  global
        .offset:         72
        .size:           8
        .value_kind:     global_buffer
      - .address_space:  global
        .offset:         80
        .size:           8
        .value_kind:     global_buffer
      - .offset:         88
        .size:           8
        .value_kind:     by_value
      - .offset:         96
        .size:           8
        .value_kind:     by_value
      - .offset:         104
        .size:           4
        .value_kind:     by_value
    .group_segment_fixed_size: 4096
    .kernarg_segment_align: 8
    .kernarg_segment_size: 108
    .language:       OpenCL C
    .language_version:
      - 2
      - 0
    .max_flat_workgroup_size: 256
    .name:           _ZL29rocblas_internal_gemmt_kernelIlLi16ELi32ELi8ELc67ELc78ELc85ELb0ELb0EdPKdS1_PdEviT_T9_T10_S3_lS5_S3_lS4_T11_S3_li
    .private_segment_fixed_size: 0
    .sgpr_count:     38
    .sgpr_spill_count: 0
    .symbol:         _ZL29rocblas_internal_gemmt_kernelIlLi16ELi32ELi8ELc67ELc78ELc85ELb0ELb0EdPKdS1_PdEviT_T9_T10_S3_lS5_S3_lS4_T11_S3_li.kd
    .uniform_work_group_size: 1
    .uses_dynamic_stack: false
    .vgpr_count:     52
    .vgpr_spill_count: 0
    .wavefront_size: 32
  - .args:
      - .offset:         0
        .size:           4
        .value_kind:     by_value
      - .offset:         8
        .size:           8
        .value_kind:     by_value
      - .address_space:  global
        .offset:         16
        .size:           8
        .value_kind:     global_buffer
      - .address_space:  global
        .offset:         24
        .size:           8
        .value_kind:     global_buffer
      - .offset:         32
        .size:           8
        .value_kind:     by_value
      - .offset:         40
        .size:           8
        .value_kind:     by_value
      - .address_space:  global
        .offset:         48
        .size:           8
        .value_kind:     global_buffer
      - .offset:         56
        .size:           8
        .value_kind:     by_value
      - .offset:         64
        .size:           8
        .value_kind:     by_value
      - .address_space:  global
        .offset:         72
        .size:           8
        .value_kind:     global_buffer
      - .address_space:  global
        .offset:         80
        .size:           8
        .value_kind:     global_buffer
      - .offset:         88
        .size:           8
        .value_kind:     by_value
      - .offset:         96
        .size:           8
        .value_kind:     by_value
      - .offset:         104
        .size:           4
        .value_kind:     by_value
    .group_segment_fixed_size: 4096
    .kernarg_segment_align: 8
    .kernarg_segment_size: 108
    .language:       OpenCL C
    .language_version:
      - 2
      - 0
    .max_flat_workgroup_size: 256
    .name:           _ZL29rocblas_internal_gemmt_kernelIlLi16ELi32ELi8ELc67ELc84ELc85ELb0ELb0EdPKdS1_PdEviT_T9_T10_S3_lS5_S3_lS4_T11_S3_li
    .private_segment_fixed_size: 0
    .sgpr_count:     38
    .sgpr_spill_count: 0
    .symbol:         _ZL29rocblas_internal_gemmt_kernelIlLi16ELi32ELi8ELc67ELc84ELc85ELb0ELb0EdPKdS1_PdEviT_T9_T10_S3_lS5_S3_lS4_T11_S3_li.kd
    .uniform_work_group_size: 1
    .uses_dynamic_stack: false
    .vgpr_count:     52
    .vgpr_spill_count: 0
    .wavefront_size: 32
  - .args:
      - .offset:         0
        .size:           4
        .value_kind:     by_value
      - .offset:         8
        .size:           8
        .value_kind:     by_value
      - .address_space:  global
        .offset:         16
        .size:           8
        .value_kind:     global_buffer
      - .address_space:  global
        .offset:         24
        .size:           8
        .value_kind:     global_buffer
      - .offset:         32
        .size:           8
        .value_kind:     by_value
      - .offset:         40
        .size:           8
        .value_kind:     by_value
      - .address_space:  global
        .offset:         48
        .size:           8
        .value_kind:     global_buffer
      - .offset:         56
        .size:           8
        .value_kind:     by_value
      - .offset:         64
        .size:           8
        .value_kind:     by_value
      - .address_space:  global
        .offset:         72
        .size:           8
        .value_kind:     global_buffer
      - .address_space:  global
        .offset:         80
        .size:           8
        .value_kind:     global_buffer
      - .offset:         88
        .size:           8
        .value_kind:     by_value
      - .offset:         96
        .size:           8
        .value_kind:     by_value
      - .offset:         104
        .size:           4
        .value_kind:     by_value
    .group_segment_fixed_size: 4096
    .kernarg_segment_align: 8
    .kernarg_segment_size: 108
    .language:       OpenCL C
    .language_version:
      - 2
      - 0
    .max_flat_workgroup_size: 256
    .name:           _ZL29rocblas_internal_gemmt_kernelIlLi16ELi32ELi8ELc67ELc67ELc85ELb0ELb0EdPKdS1_PdEviT_T9_T10_S3_lS5_S3_lS4_T11_S3_li
    .private_segment_fixed_size: 0
    .sgpr_count:     38
    .sgpr_spill_count: 0
    .symbol:         _ZL29rocblas_internal_gemmt_kernelIlLi16ELi32ELi8ELc67ELc67ELc85ELb0ELb0EdPKdS1_PdEviT_T9_T10_S3_lS5_S3_lS4_T11_S3_li.kd
    .uniform_work_group_size: 1
    .uses_dynamic_stack: false
    .vgpr_count:     52
    .vgpr_spill_count: 0
    .wavefront_size: 32
  - .args:
      - .offset:         0
        .size:           4
        .value_kind:     by_value
      - .offset:         8
        .size:           8
        .value_kind:     by_value
      - .address_space:  global
        .offset:         16
        .size:           8
        .value_kind:     global_buffer
      - .address_space:  global
        .offset:         24
        .size:           8
        .value_kind:     global_buffer
      - .offset:         32
        .size:           8
        .value_kind:     by_value
      - .offset:         40
        .size:           8
        .value_kind:     by_value
      - .address_space:  global
        .offset:         48
        .size:           8
        .value_kind:     global_buffer
      - .offset:         56
        .size:           8
        .value_kind:     by_value
      - .offset:         64
        .size:           8
        .value_kind:     by_value
      - .address_space:  global
        .offset:         72
        .size:           8
        .value_kind:     global_buffer
      - .address_space:  global
        .offset:         80
        .size:           8
        .value_kind:     global_buffer
      - .offset:         88
        .size:           8
        .value_kind:     by_value
      - .offset:         96
        .size:           8
        .value_kind:     by_value
      - .offset:         104
        .size:           4
        .value_kind:     by_value
    .group_segment_fixed_size: 4096
    .kernarg_segment_align: 8
    .kernarg_segment_size: 108
    .language:       OpenCL C
    .language_version:
      - 2
      - 0
    .max_flat_workgroup_size: 256
    .name:           _ZL29rocblas_internal_gemmt_kernelIlLi16ELi32ELi8ELc78ELc78ELc76ELb0ELb0EdPKdS1_PdEviT_T9_T10_S3_lS5_S3_lS4_T11_S3_li
    .private_segment_fixed_size: 0
    .sgpr_count:     38
    .sgpr_spill_count: 0
    .symbol:         _ZL29rocblas_internal_gemmt_kernelIlLi16ELi32ELi8ELc78ELc78ELc76ELb0ELb0EdPKdS1_PdEviT_T9_T10_S3_lS5_S3_lS4_T11_S3_li.kd
    .uniform_work_group_size: 1
    .uses_dynamic_stack: false
    .vgpr_count:     52
    .vgpr_spill_count: 0
    .wavefront_size: 32
  - .args:
      - .offset:         0
        .size:           4
        .value_kind:     by_value
      - .offset:         8
        .size:           8
        .value_kind:     by_value
      - .address_space:  global
        .offset:         16
        .size:           8
        .value_kind:     global_buffer
      - .address_space:  global
        .offset:         24
        .size:           8
        .value_kind:     global_buffer
      - .offset:         32
        .size:           8
        .value_kind:     by_value
      - .offset:         40
        .size:           8
        .value_kind:     by_value
      - .address_space:  global
        .offset:         48
        .size:           8
        .value_kind:     global_buffer
      - .offset:         56
        .size:           8
        .value_kind:     by_value
      - .offset:         64
        .size:           8
        .value_kind:     by_value
      - .address_space:  global
        .offset:         72
        .size:           8
        .value_kind:     global_buffer
      - .address_space:  global
        .offset:         80
        .size:           8
        .value_kind:     global_buffer
      - .offset:         88
        .size:           8
        .value_kind:     by_value
      - .offset:         96
        .size:           8
        .value_kind:     by_value
      - .offset:         104
        .size:           4
        .value_kind:     by_value
    .group_segment_fixed_size: 4096
    .kernarg_segment_align: 8
    .kernarg_segment_size: 108
    .language:       OpenCL C
    .language_version:
      - 2
      - 0
    .max_flat_workgroup_size: 256
    .name:           _ZL29rocblas_internal_gemmt_kernelIlLi16ELi32ELi8ELc78ELc84ELc76ELb0ELb0EdPKdS1_PdEviT_T9_T10_S3_lS5_S3_lS4_T11_S3_li
    .private_segment_fixed_size: 0
    .sgpr_count:     38
    .sgpr_spill_count: 0
    .symbol:         _ZL29rocblas_internal_gemmt_kernelIlLi16ELi32ELi8ELc78ELc84ELc76ELb0ELb0EdPKdS1_PdEviT_T9_T10_S3_lS5_S3_lS4_T11_S3_li.kd
    .uniform_work_group_size: 1
    .uses_dynamic_stack: false
    .vgpr_count:     52
    .vgpr_spill_count: 0
    .wavefront_size: 32
  - .args:
      - .offset:         0
        .size:           4
        .value_kind:     by_value
      - .offset:         8
        .size:           8
        .value_kind:     by_value
      - .address_space:  global
        .offset:         16
        .size:           8
        .value_kind:     global_buffer
      - .address_space:  global
        .offset:         24
        .size:           8
        .value_kind:     global_buffer
      - .offset:         32
        .size:           8
        .value_kind:     by_value
      - .offset:         40
        .size:           8
        .value_kind:     by_value
      - .address_space:  global
        .offset:         48
        .size:           8
        .value_kind:     global_buffer
      - .offset:         56
        .size:           8
        .value_kind:     by_value
      - .offset:         64
        .size:           8
        .value_kind:     by_value
      - .address_space:  global
        .offset:         72
        .size:           8
        .value_kind:     global_buffer
      - .address_space:  global
        .offset:         80
        .size:           8
        .value_kind:     global_buffer
      - .offset:         88
        .size:           8
        .value_kind:     by_value
      - .offset:         96
        .size:           8
        .value_kind:     by_value
      - .offset:         104
        .size:           4
        .value_kind:     by_value
    .group_segment_fixed_size: 4096
    .kernarg_segment_align: 8
    .kernarg_segment_size: 108
    .language:       OpenCL C
    .language_version:
      - 2
      - 0
    .max_flat_workgroup_size: 256
    .name:           _ZL29rocblas_internal_gemmt_kernelIlLi16ELi32ELi8ELc78ELc67ELc76ELb0ELb0EdPKdS1_PdEviT_T9_T10_S3_lS5_S3_lS4_T11_S3_li
    .private_segment_fixed_size: 0
    .sgpr_count:     38
    .sgpr_spill_count: 0
    .symbol:         _ZL29rocblas_internal_gemmt_kernelIlLi16ELi32ELi8ELc78ELc67ELc76ELb0ELb0EdPKdS1_PdEviT_T9_T10_S3_lS5_S3_lS4_T11_S3_li.kd
    .uniform_work_group_size: 1
    .uses_dynamic_stack: false
    .vgpr_count:     52
    .vgpr_spill_count: 0
    .wavefront_size: 32
  - .args:
      - .offset:         0
        .size:           4
        .value_kind:     by_value
      - .offset:         8
        .size:           8
        .value_kind:     by_value
      - .address_space:  global
        .offset:         16
        .size:           8
        .value_kind:     global_buffer
      - .address_space:  global
        .offset:         24
        .size:           8
        .value_kind:     global_buffer
      - .offset:         32
        .size:           8
        .value_kind:     by_value
      - .offset:         40
        .size:           8
        .value_kind:     by_value
      - .address_space:  global
        .offset:         48
        .size:           8
        .value_kind:     global_buffer
      - .offset:         56
        .size:           8
        .value_kind:     by_value
      - .offset:         64
        .size:           8
        .value_kind:     by_value
      - .address_space:  global
        .offset:         72
        .size:           8
        .value_kind:     global_buffer
      - .address_space:  global
        .offset:         80
        .size:           8
        .value_kind:     global_buffer
      - .offset:         88
        .size:           8
        .value_kind:     by_value
      - .offset:         96
        .size:           8
        .value_kind:     by_value
      - .offset:         104
        .size:           4
        .value_kind:     by_value
    .group_segment_fixed_size: 4096
    .kernarg_segment_align: 8
    .kernarg_segment_size: 108
    .language:       OpenCL C
    .language_version:
      - 2
      - 0
    .max_flat_workgroup_size: 256
    .name:           _ZL29rocblas_internal_gemmt_kernelIlLi16ELi32ELi8ELc84ELc78ELc76ELb0ELb0EdPKdS1_PdEviT_T9_T10_S3_lS5_S3_lS4_T11_S3_li
    .private_segment_fixed_size: 0
    .sgpr_count:     38
    .sgpr_spill_count: 0
    .symbol:         _ZL29rocblas_internal_gemmt_kernelIlLi16ELi32ELi8ELc84ELc78ELc76ELb0ELb0EdPKdS1_PdEviT_T9_T10_S3_lS5_S3_lS4_T11_S3_li.kd
    .uniform_work_group_size: 1
    .uses_dynamic_stack: false
    .vgpr_count:     52
    .vgpr_spill_count: 0
    .wavefront_size: 32
  - .args:
      - .offset:         0
        .size:           4
        .value_kind:     by_value
      - .offset:         8
        .size:           8
        .value_kind:     by_value
      - .address_space:  global
        .offset:         16
        .size:           8
        .value_kind:     global_buffer
      - .address_space:  global
        .offset:         24
        .size:           8
        .value_kind:     global_buffer
      - .offset:         32
        .size:           8
        .value_kind:     by_value
      - .offset:         40
        .size:           8
        .value_kind:     by_value
      - .address_space:  global
        .offset:         48
        .size:           8
        .value_kind:     global_buffer
      - .offset:         56
        .size:           8
        .value_kind:     by_value
      - .offset:         64
        .size:           8
        .value_kind:     by_value
      - .address_space:  global
        .offset:         72
        .size:           8
        .value_kind:     global_buffer
      - .address_space:  global
        .offset:         80
        .size:           8
        .value_kind:     global_buffer
      - .offset:         88
        .size:           8
        .value_kind:     by_value
      - .offset:         96
        .size:           8
        .value_kind:     by_value
      - .offset:         104
        .size:           4
        .value_kind:     by_value
    .group_segment_fixed_size: 4096
    .kernarg_segment_align: 8
    .kernarg_segment_size: 108
    .language:       OpenCL C
    .language_version:
      - 2
      - 0
    .max_flat_workgroup_size: 256
    .name:           _ZL29rocblas_internal_gemmt_kernelIlLi16ELi32ELi8ELc84ELc84ELc76ELb0ELb0EdPKdS1_PdEviT_T9_T10_S3_lS5_S3_lS4_T11_S3_li
    .private_segment_fixed_size: 0
    .sgpr_count:     38
    .sgpr_spill_count: 0
    .symbol:         _ZL29rocblas_internal_gemmt_kernelIlLi16ELi32ELi8ELc84ELc84ELc76ELb0ELb0EdPKdS1_PdEviT_T9_T10_S3_lS5_S3_lS4_T11_S3_li.kd
    .uniform_work_group_size: 1
    .uses_dynamic_stack: false
    .vgpr_count:     52
    .vgpr_spill_count: 0
    .wavefront_size: 32
  - .args:
      - .offset:         0
        .size:           4
        .value_kind:     by_value
      - .offset:         8
        .size:           8
        .value_kind:     by_value
      - .address_space:  global
        .offset:         16
        .size:           8
        .value_kind:     global_buffer
      - .address_space:  global
        .offset:         24
        .size:           8
        .value_kind:     global_buffer
      - .offset:         32
        .size:           8
        .value_kind:     by_value
      - .offset:         40
        .size:           8
        .value_kind:     by_value
      - .address_space:  global
        .offset:         48
        .size:           8
        .value_kind:     global_buffer
      - .offset:         56
        .size:           8
        .value_kind:     by_value
      - .offset:         64
        .size:           8
        .value_kind:     by_value
      - .address_space:  global
        .offset:         72
        .size:           8
        .value_kind:     global_buffer
      - .address_space:  global
        .offset:         80
        .size:           8
        .value_kind:     global_buffer
      - .offset:         88
        .size:           8
        .value_kind:     by_value
      - .offset:         96
        .size:           8
        .value_kind:     by_value
      - .offset:         104
        .size:           4
        .value_kind:     by_value
    .group_segment_fixed_size: 4096
    .kernarg_segment_align: 8
    .kernarg_segment_size: 108
    .language:       OpenCL C
    .language_version:
      - 2
      - 0
    .max_flat_workgroup_size: 256
    .name:           _ZL29rocblas_internal_gemmt_kernelIlLi16ELi32ELi8ELc84ELc67ELc76ELb0ELb0EdPKdS1_PdEviT_T9_T10_S3_lS5_S3_lS4_T11_S3_li
    .private_segment_fixed_size: 0
    .sgpr_count:     38
    .sgpr_spill_count: 0
    .symbol:         _ZL29rocblas_internal_gemmt_kernelIlLi16ELi32ELi8ELc84ELc67ELc76ELb0ELb0EdPKdS1_PdEviT_T9_T10_S3_lS5_S3_lS4_T11_S3_li.kd
    .uniform_work_group_size: 1
    .uses_dynamic_stack: false
    .vgpr_count:     52
    .vgpr_spill_count: 0
    .wavefront_size: 32
  - .args:
      - .offset:         0
        .size:           4
        .value_kind:     by_value
      - .offset:         8
        .size:           8
        .value_kind:     by_value
      - .address_space:  global
        .offset:         16
        .size:           8
        .value_kind:     global_buffer
      - .address_space:  global
        .offset:         24
        .size:           8
        .value_kind:     global_buffer
      - .offset:         32
        .size:           8
        .value_kind:     by_value
      - .offset:         40
        .size:           8
        .value_kind:     by_value
      - .address_space:  global
        .offset:         48
        .size:           8
        .value_kind:     global_buffer
      - .offset:         56
        .size:           8
        .value_kind:     by_value
      - .offset:         64
        .size:           8
        .value_kind:     by_value
      - .address_space:  global
        .offset:         72
        .size:           8
        .value_kind:     global_buffer
      - .address_space:  global
        .offset:         80
        .size:           8
        .value_kind:     global_buffer
      - .offset:         88
        .size:           8
        .value_kind:     by_value
      - .offset:         96
        .size:           8
        .value_kind:     by_value
      - .offset:         104
        .size:           4
        .value_kind:     by_value
    .group_segment_fixed_size: 4096
    .kernarg_segment_align: 8
    .kernarg_segment_size: 108
    .language:       OpenCL C
    .language_version:
      - 2
      - 0
    .max_flat_workgroup_size: 256
    .name:           _ZL29rocblas_internal_gemmt_kernelIlLi16ELi32ELi8ELc67ELc78ELc76ELb0ELb0EdPKdS1_PdEviT_T9_T10_S3_lS5_S3_lS4_T11_S3_li
    .private_segment_fixed_size: 0
    .sgpr_count:     38
    .sgpr_spill_count: 0
    .symbol:         _ZL29rocblas_internal_gemmt_kernelIlLi16ELi32ELi8ELc67ELc78ELc76ELb0ELb0EdPKdS1_PdEviT_T9_T10_S3_lS5_S3_lS4_T11_S3_li.kd
    .uniform_work_group_size: 1
    .uses_dynamic_stack: false
    .vgpr_count:     52
    .vgpr_spill_count: 0
    .wavefront_size: 32
  - .args:
      - .offset:         0
        .size:           4
        .value_kind:     by_value
      - .offset:         8
        .size:           8
        .value_kind:     by_value
      - .address_space:  global
        .offset:         16
        .size:           8
        .value_kind:     global_buffer
      - .address_space:  global
        .offset:         24
        .size:           8
        .value_kind:     global_buffer
      - .offset:         32
        .size:           8
        .value_kind:     by_value
      - .offset:         40
        .size:           8
        .value_kind:     by_value
      - .address_space:  global
        .offset:         48
        .size:           8
        .value_kind:     global_buffer
      - .offset:         56
        .size:           8
        .value_kind:     by_value
      - .offset:         64
        .size:           8
        .value_kind:     by_value
      - .address_space:  global
        .offset:         72
        .size:           8
        .value_kind:     global_buffer
      - .address_space:  global
        .offset:         80
        .size:           8
        .value_kind:     global_buffer
      - .offset:         88
        .size:           8
        .value_kind:     by_value
      - .offset:         96
        .size:           8
        .value_kind:     by_value
      - .offset:         104
        .size:           4
        .value_kind:     by_value
    .group_segment_fixed_size: 4096
    .kernarg_segment_align: 8
    .kernarg_segment_size: 108
    .language:       OpenCL C
    .language_version:
      - 2
      - 0
    .max_flat_workgroup_size: 256
    .name:           _ZL29rocblas_internal_gemmt_kernelIlLi16ELi32ELi8ELc67ELc84ELc76ELb0ELb0EdPKdS1_PdEviT_T9_T10_S3_lS5_S3_lS4_T11_S3_li
    .private_segment_fixed_size: 0
    .sgpr_count:     38
    .sgpr_spill_count: 0
    .symbol:         _ZL29rocblas_internal_gemmt_kernelIlLi16ELi32ELi8ELc67ELc84ELc76ELb0ELb0EdPKdS1_PdEviT_T9_T10_S3_lS5_S3_lS4_T11_S3_li.kd
    .uniform_work_group_size: 1
    .uses_dynamic_stack: false
    .vgpr_count:     52
    .vgpr_spill_count: 0
    .wavefront_size: 32
  - .args:
      - .offset:         0
        .size:           4
        .value_kind:     by_value
      - .offset:         8
        .size:           8
        .value_kind:     by_value
      - .address_space:  global
        .offset:         16
        .size:           8
        .value_kind:     global_buffer
      - .address_space:  global
        .offset:         24
        .size:           8
        .value_kind:     global_buffer
      - .offset:         32
        .size:           8
        .value_kind:     by_value
      - .offset:         40
        .size:           8
        .value_kind:     by_value
      - .address_space:  global
        .offset:         48
        .size:           8
        .value_kind:     global_buffer
      - .offset:         56
        .size:           8
        .value_kind:     by_value
      - .offset:         64
        .size:           8
        .value_kind:     by_value
      - .address_space:  global
        .offset:         72
        .size:           8
        .value_kind:     global_buffer
      - .address_space:  global
        .offset:         80
        .size:           8
        .value_kind:     global_buffer
      - .offset:         88
        .size:           8
        .value_kind:     by_value
      - .offset:         96
        .size:           8
        .value_kind:     by_value
      - .offset:         104
        .size:           4
        .value_kind:     by_value
    .group_segment_fixed_size: 4096
    .kernarg_segment_align: 8
    .kernarg_segment_size: 108
    .language:       OpenCL C
    .language_version:
      - 2
      - 0
    .max_flat_workgroup_size: 256
    .name:           _ZL29rocblas_internal_gemmt_kernelIlLi16ELi32ELi8ELc67ELc67ELc76ELb0ELb0EdPKdS1_PdEviT_T9_T10_S3_lS5_S3_lS4_T11_S3_li
    .private_segment_fixed_size: 0
    .sgpr_count:     38
    .sgpr_spill_count: 0
    .symbol:         _ZL29rocblas_internal_gemmt_kernelIlLi16ELi32ELi8ELc67ELc67ELc76ELb0ELb0EdPKdS1_PdEviT_T9_T10_S3_lS5_S3_lS4_T11_S3_li.kd
    .uniform_work_group_size: 1
    .uses_dynamic_stack: false
    .vgpr_count:     52
    .vgpr_spill_count: 0
    .wavefront_size: 32
  - .args:
      - .offset:         0
        .size:           4
        .value_kind:     by_value
      - .offset:         8
        .size:           8
        .value_kind:     by_value
      - .offset:         16
        .size:           8
        .value_kind:     by_value
      - .address_space:  global
        .offset:         24
        .size:           8
        .value_kind:     global_buffer
      - .offset:         32
        .size:           8
        .value_kind:     by_value
      - .offset:         40
        .size:           8
        .value_kind:     by_value
      - .address_space:  global
        .offset:         48
        .size:           8
        .value_kind:     global_buffer
      - .offset:         56
        .size:           8
        .value_kind:     by_value
      - .offset:         64
        .size:           8
        .value_kind:     by_value
      - .offset:         72
        .size:           8
        .value_kind:     by_value
      - .address_space:  global
        .offset:         80
        .size:           8
        .value_kind:     global_buffer
      - .offset:         88
        .size:           8
        .value_kind:     by_value
      - .offset:         96
        .size:           8
        .value_kind:     by_value
      - .offset:         104
        .size:           4
        .value_kind:     by_value
    .group_segment_fixed_size: 4096
    .kernarg_segment_align: 8
    .kernarg_segment_size: 108
    .language:       OpenCL C
    .language_version:
      - 2
      - 0
    .max_flat_workgroup_size: 256
    .name:           _ZL29rocblas_internal_gemmt_kernelIlLi16ELi32ELi8ELc78ELc78ELc85ELb0ELb0EddPKdPdEviT_T9_T10_S3_lS5_S3_lS4_T11_S3_li
    .private_segment_fixed_size: 0
    .sgpr_count:     38
    .sgpr_spill_count: 0
    .symbol:         _ZL29rocblas_internal_gemmt_kernelIlLi16ELi32ELi8ELc78ELc78ELc85ELb0ELb0EddPKdPdEviT_T9_T10_S3_lS5_S3_lS4_T11_S3_li.kd
    .uniform_work_group_size: 1
    .uses_dynamic_stack: false
    .vgpr_count:     52
    .vgpr_spill_count: 0
    .wavefront_size: 32
  - .args:
      - .offset:         0
        .size:           4
        .value_kind:     by_value
      - .offset:         8
        .size:           8
        .value_kind:     by_value
      - .offset:         16
        .size:           8
        .value_kind:     by_value
      - .address_space:  global
        .offset:         24
        .size:           8
        .value_kind:     global_buffer
      - .offset:         32
        .size:           8
        .value_kind:     by_value
      - .offset:         40
        .size:           8
        .value_kind:     by_value
      - .address_space:  global
        .offset:         48
        .size:           8
        .value_kind:     global_buffer
      - .offset:         56
        .size:           8
        .value_kind:     by_value
      - .offset:         64
        .size:           8
        .value_kind:     by_value
      - .offset:         72
        .size:           8
        .value_kind:     by_value
      - .address_space:  global
        .offset:         80
        .size:           8
        .value_kind:     global_buffer
      - .offset:         88
        .size:           8
        .value_kind:     by_value
      - .offset:         96
        .size:           8
        .value_kind:     by_value
      - .offset:         104
        .size:           4
        .value_kind:     by_value
    .group_segment_fixed_size: 4096
    .kernarg_segment_align: 8
    .kernarg_segment_size: 108
    .language:       OpenCL C
    .language_version:
      - 2
      - 0
    .max_flat_workgroup_size: 256
    .name:           _ZL29rocblas_internal_gemmt_kernelIlLi16ELi32ELi8ELc78ELc84ELc85ELb0ELb0EddPKdPdEviT_T9_T10_S3_lS5_S3_lS4_T11_S3_li
    .private_segment_fixed_size: 0
    .sgpr_count:     38
    .sgpr_spill_count: 0
    .symbol:         _ZL29rocblas_internal_gemmt_kernelIlLi16ELi32ELi8ELc78ELc84ELc85ELb0ELb0EddPKdPdEviT_T9_T10_S3_lS5_S3_lS4_T11_S3_li.kd
    .uniform_work_group_size: 1
    .uses_dynamic_stack: false
    .vgpr_count:     52
    .vgpr_spill_count: 0
    .wavefront_size: 32
  - .args:
      - .offset:         0
        .size:           4
        .value_kind:     by_value
      - .offset:         8
        .size:           8
        .value_kind:     by_value
      - .offset:         16
        .size:           8
        .value_kind:     by_value
      - .address_space:  global
        .offset:         24
        .size:           8
        .value_kind:     global_buffer
      - .offset:         32
        .size:           8
        .value_kind:     by_value
      - .offset:         40
        .size:           8
        .value_kind:     by_value
      - .address_space:  global
        .offset:         48
        .size:           8
        .value_kind:     global_buffer
      - .offset:         56
        .size:           8
        .value_kind:     by_value
      - .offset:         64
        .size:           8
        .value_kind:     by_value
      - .offset:         72
        .size:           8
        .value_kind:     by_value
      - .address_space:  global
        .offset:         80
        .size:           8
        .value_kind:     global_buffer
      - .offset:         88
        .size:           8
        .value_kind:     by_value
      - .offset:         96
        .size:           8
        .value_kind:     by_value
      - .offset:         104
        .size:           4
        .value_kind:     by_value
    .group_segment_fixed_size: 4096
    .kernarg_segment_align: 8
    .kernarg_segment_size: 108
    .language:       OpenCL C
    .language_version:
      - 2
      - 0
    .max_flat_workgroup_size: 256
    .name:           _ZL29rocblas_internal_gemmt_kernelIlLi16ELi32ELi8ELc78ELc67ELc85ELb0ELb0EddPKdPdEviT_T9_T10_S3_lS5_S3_lS4_T11_S3_li
    .private_segment_fixed_size: 0
    .sgpr_count:     38
    .sgpr_spill_count: 0
    .symbol:         _ZL29rocblas_internal_gemmt_kernelIlLi16ELi32ELi8ELc78ELc67ELc85ELb0ELb0EddPKdPdEviT_T9_T10_S3_lS5_S3_lS4_T11_S3_li.kd
    .uniform_work_group_size: 1
    .uses_dynamic_stack: false
    .vgpr_count:     52
    .vgpr_spill_count: 0
    .wavefront_size: 32
  - .args:
      - .offset:         0
        .size:           4
        .value_kind:     by_value
      - .offset:         8
        .size:           8
        .value_kind:     by_value
      - .offset:         16
        .size:           8
        .value_kind:     by_value
      - .address_space:  global
        .offset:         24
        .size:           8
        .value_kind:     global_buffer
      - .offset:         32
        .size:           8
        .value_kind:     by_value
      - .offset:         40
        .size:           8
        .value_kind:     by_value
      - .address_space:  global
        .offset:         48
        .size:           8
        .value_kind:     global_buffer
      - .offset:         56
        .size:           8
        .value_kind:     by_value
      - .offset:         64
        .size:           8
        .value_kind:     by_value
      - .offset:         72
        .size:           8
        .value_kind:     by_value
      - .address_space:  global
        .offset:         80
        .size:           8
        .value_kind:     global_buffer
      - .offset:         88
        .size:           8
        .value_kind:     by_value
      - .offset:         96
        .size:           8
        .value_kind:     by_value
      - .offset:         104
        .size:           4
        .value_kind:     by_value
    .group_segment_fixed_size: 4096
    .kernarg_segment_align: 8
    .kernarg_segment_size: 108
    .language:       OpenCL C
    .language_version:
      - 2
      - 0
    .max_flat_workgroup_size: 256
    .name:           _ZL29rocblas_internal_gemmt_kernelIlLi16ELi32ELi8ELc84ELc78ELc85ELb0ELb0EddPKdPdEviT_T9_T10_S3_lS5_S3_lS4_T11_S3_li
    .private_segment_fixed_size: 0
    .sgpr_count:     38
    .sgpr_spill_count: 0
    .symbol:         _ZL29rocblas_internal_gemmt_kernelIlLi16ELi32ELi8ELc84ELc78ELc85ELb0ELb0EddPKdPdEviT_T9_T10_S3_lS5_S3_lS4_T11_S3_li.kd
    .uniform_work_group_size: 1
    .uses_dynamic_stack: false
    .vgpr_count:     52
    .vgpr_spill_count: 0
    .wavefront_size: 32
  - .args:
      - .offset:         0
        .size:           4
        .value_kind:     by_value
      - .offset:         8
        .size:           8
        .value_kind:     by_value
      - .offset:         16
        .size:           8
        .value_kind:     by_value
      - .address_space:  global
        .offset:         24
        .size:           8
        .value_kind:     global_buffer
      - .offset:         32
        .size:           8
        .value_kind:     by_value
      - .offset:         40
        .size:           8
        .value_kind:     by_value
      - .address_space:  global
        .offset:         48
        .size:           8
        .value_kind:     global_buffer
      - .offset:         56
        .size:           8
        .value_kind:     by_value
      - .offset:         64
        .size:           8
        .value_kind:     by_value
      - .offset:         72
        .size:           8
        .value_kind:     by_value
      - .address_space:  global
        .offset:         80
        .size:           8
        .value_kind:     global_buffer
      - .offset:         88
        .size:           8
        .value_kind:     by_value
      - .offset:         96
        .size:           8
        .value_kind:     by_value
      - .offset:         104
        .size:           4
        .value_kind:     by_value
    .group_segment_fixed_size: 4096
    .kernarg_segment_align: 8
    .kernarg_segment_size: 108
    .language:       OpenCL C
    .language_version:
      - 2
      - 0
    .max_flat_workgroup_size: 256
    .name:           _ZL29rocblas_internal_gemmt_kernelIlLi16ELi32ELi8ELc84ELc84ELc85ELb0ELb0EddPKdPdEviT_T9_T10_S3_lS5_S3_lS4_T11_S3_li
    .private_segment_fixed_size: 0
    .sgpr_count:     38
    .sgpr_spill_count: 0
    .symbol:         _ZL29rocblas_internal_gemmt_kernelIlLi16ELi32ELi8ELc84ELc84ELc85ELb0ELb0EddPKdPdEviT_T9_T10_S3_lS5_S3_lS4_T11_S3_li.kd
    .uniform_work_group_size: 1
    .uses_dynamic_stack: false
    .vgpr_count:     52
    .vgpr_spill_count: 0
    .wavefront_size: 32
  - .args:
      - .offset:         0
        .size:           4
        .value_kind:     by_value
      - .offset:         8
        .size:           8
        .value_kind:     by_value
      - .offset:         16
        .size:           8
        .value_kind:     by_value
      - .address_space:  global
        .offset:         24
        .size:           8
        .value_kind:     global_buffer
      - .offset:         32
        .size:           8
        .value_kind:     by_value
      - .offset:         40
        .size:           8
        .value_kind:     by_value
      - .address_space:  global
        .offset:         48
        .size:           8
        .value_kind:     global_buffer
      - .offset:         56
        .size:           8
        .value_kind:     by_value
      - .offset:         64
        .size:           8
        .value_kind:     by_value
      - .offset:         72
        .size:           8
        .value_kind:     by_value
      - .address_space:  global
        .offset:         80
        .size:           8
        .value_kind:     global_buffer
      - .offset:         88
        .size:           8
        .value_kind:     by_value
      - .offset:         96
        .size:           8
        .value_kind:     by_value
      - .offset:         104
        .size:           4
        .value_kind:     by_value
    .group_segment_fixed_size: 4096
    .kernarg_segment_align: 8
    .kernarg_segment_size: 108
    .language:       OpenCL C
    .language_version:
      - 2
      - 0
    .max_flat_workgroup_size: 256
    .name:           _ZL29rocblas_internal_gemmt_kernelIlLi16ELi32ELi8ELc84ELc67ELc85ELb0ELb0EddPKdPdEviT_T9_T10_S3_lS5_S3_lS4_T11_S3_li
    .private_segment_fixed_size: 0
    .sgpr_count:     38
    .sgpr_spill_count: 0
    .symbol:         _ZL29rocblas_internal_gemmt_kernelIlLi16ELi32ELi8ELc84ELc67ELc85ELb0ELb0EddPKdPdEviT_T9_T10_S3_lS5_S3_lS4_T11_S3_li.kd
    .uniform_work_group_size: 1
    .uses_dynamic_stack: false
    .vgpr_count:     52
    .vgpr_spill_count: 0
    .wavefront_size: 32
  - .args:
      - .offset:         0
        .size:           4
        .value_kind:     by_value
      - .offset:         8
        .size:           8
        .value_kind:     by_value
      - .offset:         16
        .size:           8
        .value_kind:     by_value
      - .address_space:  global
        .offset:         24
        .size:           8
        .value_kind:     global_buffer
      - .offset:         32
        .size:           8
        .value_kind:     by_value
      - .offset:         40
        .size:           8
        .value_kind:     by_value
      - .address_space:  global
        .offset:         48
        .size:           8
        .value_kind:     global_buffer
      - .offset:         56
        .size:           8
        .value_kind:     by_value
      - .offset:         64
        .size:           8
        .value_kind:     by_value
      - .offset:         72
        .size:           8
        .value_kind:     by_value
      - .address_space:  global
        .offset:         80
        .size:           8
        .value_kind:     global_buffer
      - .offset:         88
        .size:           8
        .value_kind:     by_value
      - .offset:         96
        .size:           8
        .value_kind:     by_value
      - .offset:         104
        .size:           4
        .value_kind:     by_value
    .group_segment_fixed_size: 4096
    .kernarg_segment_align: 8
    .kernarg_segment_size: 108
    .language:       OpenCL C
    .language_version:
      - 2
      - 0
    .max_flat_workgroup_size: 256
    .name:           _ZL29rocblas_internal_gemmt_kernelIlLi16ELi32ELi8ELc67ELc78ELc85ELb0ELb0EddPKdPdEviT_T9_T10_S3_lS5_S3_lS4_T11_S3_li
    .private_segment_fixed_size: 0
    .sgpr_count:     38
    .sgpr_spill_count: 0
    .symbol:         _ZL29rocblas_internal_gemmt_kernelIlLi16ELi32ELi8ELc67ELc78ELc85ELb0ELb0EddPKdPdEviT_T9_T10_S3_lS5_S3_lS4_T11_S3_li.kd
    .uniform_work_group_size: 1
    .uses_dynamic_stack: false
    .vgpr_count:     52
    .vgpr_spill_count: 0
    .wavefront_size: 32
  - .args:
      - .offset:         0
        .size:           4
        .value_kind:     by_value
      - .offset:         8
        .size:           8
        .value_kind:     by_value
      - .offset:         16
        .size:           8
        .value_kind:     by_value
      - .address_space:  global
        .offset:         24
        .size:           8
        .value_kind:     global_buffer
      - .offset:         32
        .size:           8
        .value_kind:     by_value
      - .offset:         40
        .size:           8
        .value_kind:     by_value
      - .address_space:  global
        .offset:         48
        .size:           8
        .value_kind:     global_buffer
      - .offset:         56
        .size:           8
        .value_kind:     by_value
      - .offset:         64
        .size:           8
        .value_kind:     by_value
      - .offset:         72
        .size:           8
        .value_kind:     by_value
      - .address_space:  global
        .offset:         80
        .size:           8
        .value_kind:     global_buffer
      - .offset:         88
        .size:           8
        .value_kind:     by_value
      - .offset:         96
        .size:           8
        .value_kind:     by_value
      - .offset:         104
        .size:           4
        .value_kind:     by_value
    .group_segment_fixed_size: 4096
    .kernarg_segment_align: 8
    .kernarg_segment_size: 108
    .language:       OpenCL C
    .language_version:
      - 2
      - 0
    .max_flat_workgroup_size: 256
    .name:           _ZL29rocblas_internal_gemmt_kernelIlLi16ELi32ELi8ELc67ELc84ELc85ELb0ELb0EddPKdPdEviT_T9_T10_S3_lS5_S3_lS4_T11_S3_li
    .private_segment_fixed_size: 0
    .sgpr_count:     38
    .sgpr_spill_count: 0
    .symbol:         _ZL29rocblas_internal_gemmt_kernelIlLi16ELi32ELi8ELc67ELc84ELc85ELb0ELb0EddPKdPdEviT_T9_T10_S3_lS5_S3_lS4_T11_S3_li.kd
    .uniform_work_group_size: 1
    .uses_dynamic_stack: false
    .vgpr_count:     52
    .vgpr_spill_count: 0
    .wavefront_size: 32
  - .args:
      - .offset:         0
        .size:           4
        .value_kind:     by_value
      - .offset:         8
        .size:           8
        .value_kind:     by_value
      - .offset:         16
        .size:           8
        .value_kind:     by_value
      - .address_space:  global
        .offset:         24
        .size:           8
        .value_kind:     global_buffer
      - .offset:         32
        .size:           8
        .value_kind:     by_value
      - .offset:         40
        .size:           8
        .value_kind:     by_value
      - .address_space:  global
        .offset:         48
        .size:           8
        .value_kind:     global_buffer
      - .offset:         56
        .size:           8
        .value_kind:     by_value
      - .offset:         64
        .size:           8
        .value_kind:     by_value
      - .offset:         72
        .size:           8
        .value_kind:     by_value
      - .address_space:  global
        .offset:         80
        .size:           8
        .value_kind:     global_buffer
      - .offset:         88
        .size:           8
        .value_kind:     by_value
      - .offset:         96
        .size:           8
        .value_kind:     by_value
      - .offset:         104
        .size:           4
        .value_kind:     by_value
    .group_segment_fixed_size: 4096
    .kernarg_segment_align: 8
    .kernarg_segment_size: 108
    .language:       OpenCL C
    .language_version:
      - 2
      - 0
    .max_flat_workgroup_size: 256
    .name:           _ZL29rocblas_internal_gemmt_kernelIlLi16ELi32ELi8ELc67ELc67ELc85ELb0ELb0EddPKdPdEviT_T9_T10_S3_lS5_S3_lS4_T11_S3_li
    .private_segment_fixed_size: 0
    .sgpr_count:     38
    .sgpr_spill_count: 0
    .symbol:         _ZL29rocblas_internal_gemmt_kernelIlLi16ELi32ELi8ELc67ELc67ELc85ELb0ELb0EddPKdPdEviT_T9_T10_S3_lS5_S3_lS4_T11_S3_li.kd
    .uniform_work_group_size: 1
    .uses_dynamic_stack: false
    .vgpr_count:     52
    .vgpr_spill_count: 0
    .wavefront_size: 32
  - .args:
      - .offset:         0
        .size:           4
        .value_kind:     by_value
      - .offset:         8
        .size:           8
        .value_kind:     by_value
      - .offset:         16
        .size:           8
        .value_kind:     by_value
      - .address_space:  global
        .offset:         24
        .size:           8
        .value_kind:     global_buffer
      - .offset:         32
        .size:           8
        .value_kind:     by_value
      - .offset:         40
        .size:           8
        .value_kind:     by_value
      - .address_space:  global
        .offset:         48
        .size:           8
        .value_kind:     global_buffer
      - .offset:         56
        .size:           8
        .value_kind:     by_value
      - .offset:         64
        .size:           8
        .value_kind:     by_value
      - .offset:         72
        .size:           8
        .value_kind:     by_value
      - .address_space:  global
        .offset:         80
        .size:           8
        .value_kind:     global_buffer
      - .offset:         88
        .size:           8
        .value_kind:     by_value
      - .offset:         96
        .size:           8
        .value_kind:     by_value
      - .offset:         104
        .size:           4
        .value_kind:     by_value
    .group_segment_fixed_size: 4096
    .kernarg_segment_align: 8
    .kernarg_segment_size: 108
    .language:       OpenCL C
    .language_version:
      - 2
      - 0
    .max_flat_workgroup_size: 256
    .name:           _ZL29rocblas_internal_gemmt_kernelIlLi16ELi32ELi8ELc78ELc78ELc76ELb0ELb0EddPKdPdEviT_T9_T10_S3_lS5_S3_lS4_T11_S3_li
    .private_segment_fixed_size: 0
    .sgpr_count:     38
    .sgpr_spill_count: 0
    .symbol:         _ZL29rocblas_internal_gemmt_kernelIlLi16ELi32ELi8ELc78ELc78ELc76ELb0ELb0EddPKdPdEviT_T9_T10_S3_lS5_S3_lS4_T11_S3_li.kd
    .uniform_work_group_size: 1
    .uses_dynamic_stack: false
    .vgpr_count:     52
    .vgpr_spill_count: 0
    .wavefront_size: 32
  - .args:
      - .offset:         0
        .size:           4
        .value_kind:     by_value
      - .offset:         8
        .size:           8
        .value_kind:     by_value
      - .offset:         16
        .size:           8
        .value_kind:     by_value
      - .address_space:  global
        .offset:         24
        .size:           8
        .value_kind:     global_buffer
      - .offset:         32
        .size:           8
        .value_kind:     by_value
      - .offset:         40
        .size:           8
        .value_kind:     by_value
      - .address_space:  global
        .offset:         48
        .size:           8
        .value_kind:     global_buffer
      - .offset:         56
        .size:           8
        .value_kind:     by_value
      - .offset:         64
        .size:           8
        .value_kind:     by_value
      - .offset:         72
        .size:           8
        .value_kind:     by_value
      - .address_space:  global
        .offset:         80
        .size:           8
        .value_kind:     global_buffer
      - .offset:         88
        .size:           8
        .value_kind:     by_value
      - .offset:         96
        .size:           8
        .value_kind:     by_value
      - .offset:         104
        .size:           4
        .value_kind:     by_value
    .group_segment_fixed_size: 4096
    .kernarg_segment_align: 8
    .kernarg_segment_size: 108
    .language:       OpenCL C
    .language_version:
      - 2
      - 0
    .max_flat_workgroup_size: 256
    .name:           _ZL29rocblas_internal_gemmt_kernelIlLi16ELi32ELi8ELc78ELc84ELc76ELb0ELb0EddPKdPdEviT_T9_T10_S3_lS5_S3_lS4_T11_S3_li
    .private_segment_fixed_size: 0
    .sgpr_count:     38
    .sgpr_spill_count: 0
    .symbol:         _ZL29rocblas_internal_gemmt_kernelIlLi16ELi32ELi8ELc78ELc84ELc76ELb0ELb0EddPKdPdEviT_T9_T10_S3_lS5_S3_lS4_T11_S3_li.kd
    .uniform_work_group_size: 1
    .uses_dynamic_stack: false
    .vgpr_count:     52
    .vgpr_spill_count: 0
    .wavefront_size: 32
  - .args:
      - .offset:         0
        .size:           4
        .value_kind:     by_value
      - .offset:         8
        .size:           8
        .value_kind:     by_value
      - .offset:         16
        .size:           8
        .value_kind:     by_value
      - .address_space:  global
        .offset:         24
        .size:           8
        .value_kind:     global_buffer
      - .offset:         32
        .size:           8
        .value_kind:     by_value
      - .offset:         40
        .size:           8
        .value_kind:     by_value
      - .address_space:  global
        .offset:         48
        .size:           8
        .value_kind:     global_buffer
      - .offset:         56
        .size:           8
        .value_kind:     by_value
      - .offset:         64
        .size:           8
        .value_kind:     by_value
      - .offset:         72
        .size:           8
        .value_kind:     by_value
      - .address_space:  global
        .offset:         80
        .size:           8
        .value_kind:     global_buffer
      - .offset:         88
        .size:           8
        .value_kind:     by_value
      - .offset:         96
        .size:           8
        .value_kind:     by_value
      - .offset:         104
        .size:           4
        .value_kind:     by_value
    .group_segment_fixed_size: 4096
    .kernarg_segment_align: 8
    .kernarg_segment_size: 108
    .language:       OpenCL C
    .language_version:
      - 2
      - 0
    .max_flat_workgroup_size: 256
    .name:           _ZL29rocblas_internal_gemmt_kernelIlLi16ELi32ELi8ELc78ELc67ELc76ELb0ELb0EddPKdPdEviT_T9_T10_S3_lS5_S3_lS4_T11_S3_li
    .private_segment_fixed_size: 0
    .sgpr_count:     38
    .sgpr_spill_count: 0
    .symbol:         _ZL29rocblas_internal_gemmt_kernelIlLi16ELi32ELi8ELc78ELc67ELc76ELb0ELb0EddPKdPdEviT_T9_T10_S3_lS5_S3_lS4_T11_S3_li.kd
    .uniform_work_group_size: 1
    .uses_dynamic_stack: false
    .vgpr_count:     52
    .vgpr_spill_count: 0
    .wavefront_size: 32
  - .args:
      - .offset:         0
        .size:           4
        .value_kind:     by_value
      - .offset:         8
        .size:           8
        .value_kind:     by_value
      - .offset:         16
        .size:           8
        .value_kind:     by_value
      - .address_space:  global
        .offset:         24
        .size:           8
        .value_kind:     global_buffer
      - .offset:         32
        .size:           8
        .value_kind:     by_value
      - .offset:         40
        .size:           8
        .value_kind:     by_value
      - .address_space:  global
        .offset:         48
        .size:           8
        .value_kind:     global_buffer
      - .offset:         56
        .size:           8
        .value_kind:     by_value
      - .offset:         64
        .size:           8
        .value_kind:     by_value
      - .offset:         72
        .size:           8
        .value_kind:     by_value
      - .address_space:  global
        .offset:         80
        .size:           8
        .value_kind:     global_buffer
      - .offset:         88
        .size:           8
        .value_kind:     by_value
      - .offset:         96
        .size:           8
        .value_kind:     by_value
      - .offset:         104
        .size:           4
        .value_kind:     by_value
    .group_segment_fixed_size: 4096
    .kernarg_segment_align: 8
    .kernarg_segment_size: 108
    .language:       OpenCL C
    .language_version:
      - 2
      - 0
    .max_flat_workgroup_size: 256
    .name:           _ZL29rocblas_internal_gemmt_kernelIlLi16ELi32ELi8ELc84ELc78ELc76ELb0ELb0EddPKdPdEviT_T9_T10_S3_lS5_S3_lS4_T11_S3_li
    .private_segment_fixed_size: 0
    .sgpr_count:     38
    .sgpr_spill_count: 0
    .symbol:         _ZL29rocblas_internal_gemmt_kernelIlLi16ELi32ELi8ELc84ELc78ELc76ELb0ELb0EddPKdPdEviT_T9_T10_S3_lS5_S3_lS4_T11_S3_li.kd
    .uniform_work_group_size: 1
    .uses_dynamic_stack: false
    .vgpr_count:     52
    .vgpr_spill_count: 0
    .wavefront_size: 32
  - .args:
      - .offset:         0
        .size:           4
        .value_kind:     by_value
      - .offset:         8
        .size:           8
        .value_kind:     by_value
      - .offset:         16
        .size:           8
        .value_kind:     by_value
      - .address_space:  global
        .offset:         24
        .size:           8
        .value_kind:     global_buffer
      - .offset:         32
        .size:           8
        .value_kind:     by_value
      - .offset:         40
        .size:           8
        .value_kind:     by_value
      - .address_space:  global
        .offset:         48
        .size:           8
        .value_kind:     global_buffer
      - .offset:         56
        .size:           8
        .value_kind:     by_value
      - .offset:         64
        .size:           8
        .value_kind:     by_value
      - .offset:         72
        .size:           8
        .value_kind:     by_value
      - .address_space:  global
        .offset:         80
        .size:           8
        .value_kind:     global_buffer
      - .offset:         88
        .size:           8
        .value_kind:     by_value
      - .offset:         96
        .size:           8
        .value_kind:     by_value
      - .offset:         104
        .size:           4
        .value_kind:     by_value
    .group_segment_fixed_size: 4096
    .kernarg_segment_align: 8
    .kernarg_segment_size: 108
    .language:       OpenCL C
    .language_version:
      - 2
      - 0
    .max_flat_workgroup_size: 256
    .name:           _ZL29rocblas_internal_gemmt_kernelIlLi16ELi32ELi8ELc84ELc84ELc76ELb0ELb0EddPKdPdEviT_T9_T10_S3_lS5_S3_lS4_T11_S3_li
    .private_segment_fixed_size: 0
    .sgpr_count:     38
    .sgpr_spill_count: 0
    .symbol:         _ZL29rocblas_internal_gemmt_kernelIlLi16ELi32ELi8ELc84ELc84ELc76ELb0ELb0EddPKdPdEviT_T9_T10_S3_lS5_S3_lS4_T11_S3_li.kd
    .uniform_work_group_size: 1
    .uses_dynamic_stack: false
    .vgpr_count:     52
    .vgpr_spill_count: 0
    .wavefront_size: 32
  - .args:
      - .offset:         0
        .size:           4
        .value_kind:     by_value
      - .offset:         8
        .size:           8
        .value_kind:     by_value
      - .offset:         16
        .size:           8
        .value_kind:     by_value
      - .address_space:  global
        .offset:         24
        .size:           8
        .value_kind:     global_buffer
      - .offset:         32
        .size:           8
        .value_kind:     by_value
      - .offset:         40
        .size:           8
        .value_kind:     by_value
      - .address_space:  global
        .offset:         48
        .size:           8
        .value_kind:     global_buffer
      - .offset:         56
        .size:           8
        .value_kind:     by_value
      - .offset:         64
        .size:           8
        .value_kind:     by_value
      - .offset:         72
        .size:           8
        .value_kind:     by_value
      - .address_space:  global
        .offset:         80
        .size:           8
        .value_kind:     global_buffer
      - .offset:         88
        .size:           8
        .value_kind:     by_value
      - .offset:         96
        .size:           8
        .value_kind:     by_value
      - .offset:         104
        .size:           4
        .value_kind:     by_value
    .group_segment_fixed_size: 4096
    .kernarg_segment_align: 8
    .kernarg_segment_size: 108
    .language:       OpenCL C
    .language_version:
      - 2
      - 0
    .max_flat_workgroup_size: 256
    .name:           _ZL29rocblas_internal_gemmt_kernelIlLi16ELi32ELi8ELc84ELc67ELc76ELb0ELb0EddPKdPdEviT_T9_T10_S3_lS5_S3_lS4_T11_S3_li
    .private_segment_fixed_size: 0
    .sgpr_count:     38
    .sgpr_spill_count: 0
    .symbol:         _ZL29rocblas_internal_gemmt_kernelIlLi16ELi32ELi8ELc84ELc67ELc76ELb0ELb0EddPKdPdEviT_T9_T10_S3_lS5_S3_lS4_T11_S3_li.kd
    .uniform_work_group_size: 1
    .uses_dynamic_stack: false
    .vgpr_count:     52
    .vgpr_spill_count: 0
    .wavefront_size: 32
  - .args:
      - .offset:         0
        .size:           4
        .value_kind:     by_value
      - .offset:         8
        .size:           8
        .value_kind:     by_value
      - .offset:         16
        .size:           8
        .value_kind:     by_value
      - .address_space:  global
        .offset:         24
        .size:           8
        .value_kind:     global_buffer
      - .offset:         32
        .size:           8
        .value_kind:     by_value
      - .offset:         40
        .size:           8
        .value_kind:     by_value
      - .address_space:  global
        .offset:         48
        .size:           8
        .value_kind:     global_buffer
      - .offset:         56
        .size:           8
        .value_kind:     by_value
      - .offset:         64
        .size:           8
        .value_kind:     by_value
      - .offset:         72
        .size:           8
        .value_kind:     by_value
      - .address_space:  global
        .offset:         80
        .size:           8
        .value_kind:     global_buffer
      - .offset:         88
        .size:           8
        .value_kind:     by_value
      - .offset:         96
        .size:           8
        .value_kind:     by_value
      - .offset:         104
        .size:           4
        .value_kind:     by_value
    .group_segment_fixed_size: 4096
    .kernarg_segment_align: 8
    .kernarg_segment_size: 108
    .language:       OpenCL C
    .language_version:
      - 2
      - 0
    .max_flat_workgroup_size: 256
    .name:           _ZL29rocblas_internal_gemmt_kernelIlLi16ELi32ELi8ELc67ELc78ELc76ELb0ELb0EddPKdPdEviT_T9_T10_S3_lS5_S3_lS4_T11_S3_li
    .private_segment_fixed_size: 0
    .sgpr_count:     38
    .sgpr_spill_count: 0
    .symbol:         _ZL29rocblas_internal_gemmt_kernelIlLi16ELi32ELi8ELc67ELc78ELc76ELb0ELb0EddPKdPdEviT_T9_T10_S3_lS5_S3_lS4_T11_S3_li.kd
    .uniform_work_group_size: 1
    .uses_dynamic_stack: false
    .vgpr_count:     52
    .vgpr_spill_count: 0
    .wavefront_size: 32
  - .args:
      - .offset:         0
        .size:           4
        .value_kind:     by_value
      - .offset:         8
        .size:           8
        .value_kind:     by_value
      - .offset:         16
        .size:           8
        .value_kind:     by_value
      - .address_space:  global
        .offset:         24
        .size:           8
        .value_kind:     global_buffer
      - .offset:         32
        .size:           8
        .value_kind:     by_value
      - .offset:         40
        .size:           8
        .value_kind:     by_value
      - .address_space:  global
        .offset:         48
        .size:           8
        .value_kind:     global_buffer
      - .offset:         56
        .size:           8
        .value_kind:     by_value
      - .offset:         64
        .size:           8
        .value_kind:     by_value
      - .offset:         72
        .size:           8
        .value_kind:     by_value
      - .address_space:  global
        .offset:         80
        .size:           8
        .value_kind:     global_buffer
      - .offset:         88
        .size:           8
        .value_kind:     by_value
      - .offset:         96
        .size:           8
        .value_kind:     by_value
      - .offset:         104
        .size:           4
        .value_kind:     by_value
    .group_segment_fixed_size: 4096
    .kernarg_segment_align: 8
    .kernarg_segment_size: 108
    .language:       OpenCL C
    .language_version:
      - 2
      - 0
    .max_flat_workgroup_size: 256
    .name:           _ZL29rocblas_internal_gemmt_kernelIlLi16ELi32ELi8ELc67ELc84ELc76ELb0ELb0EddPKdPdEviT_T9_T10_S3_lS5_S3_lS4_T11_S3_li
    .private_segment_fixed_size: 0
    .sgpr_count:     38
    .sgpr_spill_count: 0
    .symbol:         _ZL29rocblas_internal_gemmt_kernelIlLi16ELi32ELi8ELc67ELc84ELc76ELb0ELb0EddPKdPdEviT_T9_T10_S3_lS5_S3_lS4_T11_S3_li.kd
    .uniform_work_group_size: 1
    .uses_dynamic_stack: false
    .vgpr_count:     52
    .vgpr_spill_count: 0
    .wavefront_size: 32
  - .args:
      - .offset:         0
        .size:           4
        .value_kind:     by_value
      - .offset:         8
        .size:           8
        .value_kind:     by_value
      - .offset:         16
        .size:           8
        .value_kind:     by_value
      - .address_space:  global
        .offset:         24
        .size:           8
        .value_kind:     global_buffer
      - .offset:         32
        .size:           8
        .value_kind:     by_value
      - .offset:         40
        .size:           8
        .value_kind:     by_value
      - .address_space:  global
        .offset:         48
        .size:           8
        .value_kind:     global_buffer
      - .offset:         56
        .size:           8
        .value_kind:     by_value
      - .offset:         64
        .size:           8
        .value_kind:     by_value
      - .offset:         72
        .size:           8
        .value_kind:     by_value
      - .address_space:  global
        .offset:         80
        .size:           8
        .value_kind:     global_buffer
      - .offset:         88
        .size:           8
        .value_kind:     by_value
      - .offset:         96
        .size:           8
        .value_kind:     by_value
      - .offset:         104
        .size:           4
        .value_kind:     by_value
    .group_segment_fixed_size: 4096
    .kernarg_segment_align: 8
    .kernarg_segment_size: 108
    .language:       OpenCL C
    .language_version:
      - 2
      - 0
    .max_flat_workgroup_size: 256
    .name:           _ZL29rocblas_internal_gemmt_kernelIlLi16ELi32ELi8ELc67ELc67ELc76ELb0ELb0EddPKdPdEviT_T9_T10_S3_lS5_S3_lS4_T11_S3_li
    .private_segment_fixed_size: 0
    .sgpr_count:     38
    .sgpr_spill_count: 0
    .symbol:         _ZL29rocblas_internal_gemmt_kernelIlLi16ELi32ELi8ELc67ELc67ELc76ELb0ELb0EddPKdPdEviT_T9_T10_S3_lS5_S3_lS4_T11_S3_li.kd
    .uniform_work_group_size: 1
    .uses_dynamic_stack: false
    .vgpr_count:     52
    .vgpr_spill_count: 0
    .wavefront_size: 32
  - .args:
      - .offset:         0
        .size:           4
        .value_kind:     by_value
      - .offset:         8
        .size:           8
        .value_kind:     by_value
      - .address_space:  global
        .offset:         16
        .size:           8
        .value_kind:     global_buffer
      - .address_space:  global
        .offset:         24
        .size:           8
        .value_kind:     global_buffer
      - .offset:         32
        .size:           8
        .value_kind:     by_value
      - .offset:         40
        .size:           8
        .value_kind:     by_value
      - .address_space:  global
        .offset:         48
        .size:           8
        .value_kind:     global_buffer
      - .offset:         56
        .size:           8
        .value_kind:     by_value
      - .offset:         64
        .size:           8
        .value_kind:     by_value
      - .address_space:  global
        .offset:         72
        .size:           8
        .value_kind:     global_buffer
      - .address_space:  global
        .offset:         80
        .size:           8
        .value_kind:     global_buffer
      - .offset:         88
        .size:           8
        .value_kind:     by_value
      - .offset:         96
        .size:           8
        .value_kind:     by_value
      - .offset:         104
        .size:           4
        .value_kind:     by_value
    .group_segment_fixed_size: 4096
    .kernarg_segment_align: 8
    .kernarg_segment_size: 108
    .language:       OpenCL C
    .language_version:
      - 2
      - 0
    .max_flat_workgroup_size: 256
    .name:           _ZL29rocblas_internal_gemmt_kernelIlLi16ELi32ELi8ELc78ELc78ELc85ELb0ELb0E19rocblas_complex_numIfEPKS1_S3_PS1_EviT_T9_T10_S5_lS7_S5_lS6_T11_S5_li
    .private_segment_fixed_size: 0
    .sgpr_count:     39
    .sgpr_spill_count: 0
    .symbol:         _ZL29rocblas_internal_gemmt_kernelIlLi16ELi32ELi8ELc78ELc78ELc85ELb0ELb0E19rocblas_complex_numIfEPKS1_S3_PS1_EviT_T9_T10_S5_lS7_S5_lS6_T11_S5_li.kd
    .uniform_work_group_size: 1
    .uses_dynamic_stack: false
    .vgpr_count:     58
    .vgpr_spill_count: 0
    .wavefront_size: 32
  - .args:
      - .offset:         0
        .size:           4
        .value_kind:     by_value
      - .offset:         8
        .size:           8
        .value_kind:     by_value
      - .address_space:  global
        .offset:         16
        .size:           8
        .value_kind:     global_buffer
      - .address_space:  global
        .offset:         24
        .size:           8
        .value_kind:     global_buffer
      - .offset:         32
        .size:           8
        .value_kind:     by_value
      - .offset:         40
        .size:           8
        .value_kind:     by_value
      - .address_space:  global
        .offset:         48
        .size:           8
        .value_kind:     global_buffer
      - .offset:         56
        .size:           8
        .value_kind:     by_value
      - .offset:         64
        .size:           8
        .value_kind:     by_value
      - .address_space:  global
        .offset:         72
        .size:           8
        .value_kind:     global_buffer
      - .address_space:  global
        .offset:         80
        .size:           8
        .value_kind:     global_buffer
      - .offset:         88
        .size:           8
        .value_kind:     by_value
      - .offset:         96
        .size:           8
        .value_kind:     by_value
      - .offset:         104
        .size:           4
        .value_kind:     by_value
    .group_segment_fixed_size: 4096
    .kernarg_segment_align: 8
    .kernarg_segment_size: 108
    .language:       OpenCL C
    .language_version:
      - 2
      - 0
    .max_flat_workgroup_size: 256
    .name:           _ZL29rocblas_internal_gemmt_kernelIlLi16ELi32ELi8ELc78ELc84ELc85ELb0ELb0E19rocblas_complex_numIfEPKS1_S3_PS1_EviT_T9_T10_S5_lS7_S5_lS6_T11_S5_li
    .private_segment_fixed_size: 0
    .sgpr_count:     40
    .sgpr_spill_count: 0
    .symbol:         _ZL29rocblas_internal_gemmt_kernelIlLi16ELi32ELi8ELc78ELc84ELc85ELb0ELb0E19rocblas_complex_numIfEPKS1_S3_PS1_EviT_T9_T10_S5_lS7_S5_lS6_T11_S5_li.kd
    .uniform_work_group_size: 1
    .uses_dynamic_stack: false
    .vgpr_count:     58
    .vgpr_spill_count: 0
    .wavefront_size: 32
  - .args:
      - .offset:         0
        .size:           4
        .value_kind:     by_value
      - .offset:         8
        .size:           8
        .value_kind:     by_value
      - .address_space:  global
        .offset:         16
        .size:           8
        .value_kind:     global_buffer
      - .address_space:  global
        .offset:         24
        .size:           8
        .value_kind:     global_buffer
      - .offset:         32
        .size:           8
        .value_kind:     by_value
      - .offset:         40
        .size:           8
        .value_kind:     by_value
      - .address_space:  global
        .offset:         48
        .size:           8
        .value_kind:     global_buffer
      - .offset:         56
        .size:           8
        .value_kind:     by_value
      - .offset:         64
        .size:           8
        .value_kind:     by_value
      - .address_space:  global
        .offset:         72
        .size:           8
        .value_kind:     global_buffer
      - .address_space:  global
        .offset:         80
        .size:           8
        .value_kind:     global_buffer
      - .offset:         88
        .size:           8
        .value_kind:     by_value
      - .offset:         96
        .size:           8
        .value_kind:     by_value
      - .offset:         104
        .size:           4
        .value_kind:     by_value
    .group_segment_fixed_size: 4096
    .kernarg_segment_align: 8
    .kernarg_segment_size: 108
    .language:       OpenCL C
    .language_version:
      - 2
      - 0
    .max_flat_workgroup_size: 256
    .name:           _ZL29rocblas_internal_gemmt_kernelIlLi16ELi32ELi8ELc78ELc67ELc85ELb0ELb1E19rocblas_complex_numIfEPKS1_S3_PS1_EviT_T9_T10_S5_lS7_S5_lS6_T11_S5_li
    .private_segment_fixed_size: 0
    .sgpr_count:     40
    .sgpr_spill_count: 0
    .symbol:         _ZL29rocblas_internal_gemmt_kernelIlLi16ELi32ELi8ELc78ELc67ELc85ELb0ELb1E19rocblas_complex_numIfEPKS1_S3_PS1_EviT_T9_T10_S5_lS7_S5_lS6_T11_S5_li.kd
    .uniform_work_group_size: 1
    .uses_dynamic_stack: false
    .vgpr_count:     58
    .vgpr_spill_count: 0
    .wavefront_size: 32
  - .args:
      - .offset:         0
        .size:           4
        .value_kind:     by_value
      - .offset:         8
        .size:           8
        .value_kind:     by_value
      - .address_space:  global
        .offset:         16
        .size:           8
        .value_kind:     global_buffer
      - .address_space:  global
        .offset:         24
        .size:           8
        .value_kind:     global_buffer
      - .offset:         32
        .size:           8
        .value_kind:     by_value
      - .offset:         40
        .size:           8
        .value_kind:     by_value
      - .address_space:  global
        .offset:         48
        .size:           8
        .value_kind:     global_buffer
      - .offset:         56
        .size:           8
        .value_kind:     by_value
      - .offset:         64
        .size:           8
        .value_kind:     by_value
      - .address_space:  global
        .offset:         72
        .size:           8
        .value_kind:     global_buffer
      - .address_space:  global
        .offset:         80
        .size:           8
        .value_kind:     global_buffer
      - .offset:         88
        .size:           8
        .value_kind:     by_value
      - .offset:         96
        .size:           8
        .value_kind:     by_value
      - .offset:         104
        .size:           4
        .value_kind:     by_value
    .group_segment_fixed_size: 4096
    .kernarg_segment_align: 8
    .kernarg_segment_size: 108
    .language:       OpenCL C
    .language_version:
      - 2
      - 0
    .max_flat_workgroup_size: 256
    .name:           _ZL29rocblas_internal_gemmt_kernelIlLi16ELi32ELi8ELc84ELc78ELc85ELb0ELb0E19rocblas_complex_numIfEPKS1_S3_PS1_EviT_T9_T10_S5_lS7_S5_lS6_T11_S5_li
    .private_segment_fixed_size: 0
    .sgpr_count:     39
    .sgpr_spill_count: 0
    .symbol:         _ZL29rocblas_internal_gemmt_kernelIlLi16ELi32ELi8ELc84ELc78ELc85ELb0ELb0E19rocblas_complex_numIfEPKS1_S3_PS1_EviT_T9_T10_S5_lS7_S5_lS6_T11_S5_li.kd
    .uniform_work_group_size: 1
    .uses_dynamic_stack: false
    .vgpr_count:     58
    .vgpr_spill_count: 0
    .wavefront_size: 32
  - .args:
      - .offset:         0
        .size:           4
        .value_kind:     by_value
      - .offset:         8
        .size:           8
        .value_kind:     by_value
      - .address_space:  global
        .offset:         16
        .size:           8
        .value_kind:     global_buffer
      - .address_space:  global
        .offset:         24
        .size:           8
        .value_kind:     global_buffer
      - .offset:         32
        .size:           8
        .value_kind:     by_value
      - .offset:         40
        .size:           8
        .value_kind:     by_value
      - .address_space:  global
        .offset:         48
        .size:           8
        .value_kind:     global_buffer
      - .offset:         56
        .size:           8
        .value_kind:     by_value
      - .offset:         64
        .size:           8
        .value_kind:     by_value
      - .address_space:  global
        .offset:         72
        .size:           8
        .value_kind:     global_buffer
      - .address_space:  global
        .offset:         80
        .size:           8
        .value_kind:     global_buffer
      - .offset:         88
        .size:           8
        .value_kind:     by_value
      - .offset:         96
        .size:           8
        .value_kind:     by_value
      - .offset:         104
        .size:           4
        .value_kind:     by_value
    .group_segment_fixed_size: 4096
    .kernarg_segment_align: 8
    .kernarg_segment_size: 108
    .language:       OpenCL C
    .language_version:
      - 2
      - 0
    .max_flat_workgroup_size: 256
    .name:           _ZL29rocblas_internal_gemmt_kernelIlLi16ELi32ELi8ELc84ELc84ELc85ELb0ELb0E19rocblas_complex_numIfEPKS1_S3_PS1_EviT_T9_T10_S5_lS7_S5_lS6_T11_S5_li
    .private_segment_fixed_size: 0
    .sgpr_count:     39
    .sgpr_spill_count: 0
    .symbol:         _ZL29rocblas_internal_gemmt_kernelIlLi16ELi32ELi8ELc84ELc84ELc85ELb0ELb0E19rocblas_complex_numIfEPKS1_S3_PS1_EviT_T9_T10_S5_lS7_S5_lS6_T11_S5_li.kd
    .uniform_work_group_size: 1
    .uses_dynamic_stack: false
    .vgpr_count:     58
    .vgpr_spill_count: 0
    .wavefront_size: 32
  - .args:
      - .offset:         0
        .size:           4
        .value_kind:     by_value
      - .offset:         8
        .size:           8
        .value_kind:     by_value
      - .address_space:  global
        .offset:         16
        .size:           8
        .value_kind:     global_buffer
      - .address_space:  global
        .offset:         24
        .size:           8
        .value_kind:     global_buffer
      - .offset:         32
        .size:           8
        .value_kind:     by_value
      - .offset:         40
        .size:           8
        .value_kind:     by_value
      - .address_space:  global
        .offset:         48
        .size:           8
        .value_kind:     global_buffer
      - .offset:         56
        .size:           8
        .value_kind:     by_value
      - .offset:         64
        .size:           8
        .value_kind:     by_value
      - .address_space:  global
        .offset:         72
        .size:           8
        .value_kind:     global_buffer
      - .address_space:  global
        .offset:         80
        .size:           8
        .value_kind:     global_buffer
      - .offset:         88
        .size:           8
        .value_kind:     by_value
      - .offset:         96
        .size:           8
        .value_kind:     by_value
      - .offset:         104
        .size:           4
        .value_kind:     by_value
    .group_segment_fixed_size: 4096
    .kernarg_segment_align: 8
    .kernarg_segment_size: 108
    .language:       OpenCL C
    .language_version:
      - 2
      - 0
    .max_flat_workgroup_size: 256
    .name:           _ZL29rocblas_internal_gemmt_kernelIlLi16ELi32ELi8ELc84ELc67ELc85ELb0ELb1E19rocblas_complex_numIfEPKS1_S3_PS1_EviT_T9_T10_S5_lS7_S5_lS6_T11_S5_li
    .private_segment_fixed_size: 0
    .sgpr_count:     39
    .sgpr_spill_count: 0
    .symbol:         _ZL29rocblas_internal_gemmt_kernelIlLi16ELi32ELi8ELc84ELc67ELc85ELb0ELb1E19rocblas_complex_numIfEPKS1_S3_PS1_EviT_T9_T10_S5_lS7_S5_lS6_T11_S5_li.kd
    .uniform_work_group_size: 1
    .uses_dynamic_stack: false
    .vgpr_count:     58
    .vgpr_spill_count: 0
    .wavefront_size: 32
  - .args:
      - .offset:         0
        .size:           4
        .value_kind:     by_value
      - .offset:         8
        .size:           8
        .value_kind:     by_value
      - .address_space:  global
        .offset:         16
        .size:           8
        .value_kind:     global_buffer
      - .address_space:  global
        .offset:         24
        .size:           8
        .value_kind:     global_buffer
      - .offset:         32
        .size:           8
        .value_kind:     by_value
      - .offset:         40
        .size:           8
        .value_kind:     by_value
      - .address_space:  global
        .offset:         48
        .size:           8
        .value_kind:     global_buffer
      - .offset:         56
        .size:           8
        .value_kind:     by_value
      - .offset:         64
        .size:           8
        .value_kind:     by_value
      - .address_space:  global
        .offset:         72
        .size:           8
        .value_kind:     global_buffer
      - .address_space:  global
        .offset:         80
        .size:           8
        .value_kind:     global_buffer
      - .offset:         88
        .size:           8
        .value_kind:     by_value
      - .offset:         96
        .size:           8
        .value_kind:     by_value
      - .offset:         104
        .size:           4
        .value_kind:     by_value
    .group_segment_fixed_size: 4096
    .kernarg_segment_align: 8
    .kernarg_segment_size: 108
    .language:       OpenCL C
    .language_version:
      - 2
      - 0
    .max_flat_workgroup_size: 256
    .name:           _ZL29rocblas_internal_gemmt_kernelIlLi16ELi32ELi8ELc67ELc78ELc85ELb1ELb0E19rocblas_complex_numIfEPKS1_S3_PS1_EviT_T9_T10_S5_lS7_S5_lS6_T11_S5_li
    .private_segment_fixed_size: 0
    .sgpr_count:     39
    .sgpr_spill_count: 0
    .symbol:         _ZL29rocblas_internal_gemmt_kernelIlLi16ELi32ELi8ELc67ELc78ELc85ELb1ELb0E19rocblas_complex_numIfEPKS1_S3_PS1_EviT_T9_T10_S5_lS7_S5_lS6_T11_S5_li.kd
    .uniform_work_group_size: 1
    .uses_dynamic_stack: false
    .vgpr_count:     60
    .vgpr_spill_count: 0
    .wavefront_size: 32
  - .args:
      - .offset:         0
        .size:           4
        .value_kind:     by_value
      - .offset:         8
        .size:           8
        .value_kind:     by_value
      - .address_space:  global
        .offset:         16
        .size:           8
        .value_kind:     global_buffer
      - .address_space:  global
        .offset:         24
        .size:           8
        .value_kind:     global_buffer
      - .offset:         32
        .size:           8
        .value_kind:     by_value
      - .offset:         40
        .size:           8
        .value_kind:     by_value
      - .address_space:  global
        .offset:         48
        .size:           8
        .value_kind:     global_buffer
      - .offset:         56
        .size:           8
        .value_kind:     by_value
      - .offset:         64
        .size:           8
        .value_kind:     by_value
      - .address_space:  global
        .offset:         72
        .size:           8
        .value_kind:     global_buffer
      - .address_space:  global
        .offset:         80
        .size:           8
        .value_kind:     global_buffer
      - .offset:         88
        .size:           8
        .value_kind:     by_value
      - .offset:         96
        .size:           8
        .value_kind:     by_value
      - .offset:         104
        .size:           4
        .value_kind:     by_value
    .group_segment_fixed_size: 4096
    .kernarg_segment_align: 8
    .kernarg_segment_size: 108
    .language:       OpenCL C
    .language_version:
      - 2
      - 0
    .max_flat_workgroup_size: 256
    .name:           _ZL29rocblas_internal_gemmt_kernelIlLi16ELi32ELi8ELc67ELc84ELc85ELb1ELb0E19rocblas_complex_numIfEPKS1_S3_PS1_EviT_T9_T10_S5_lS7_S5_lS6_T11_S5_li
    .private_segment_fixed_size: 0
    .sgpr_count:     41
    .sgpr_spill_count: 0
    .symbol:         _ZL29rocblas_internal_gemmt_kernelIlLi16ELi32ELi8ELc67ELc84ELc85ELb1ELb0E19rocblas_complex_numIfEPKS1_S3_PS1_EviT_T9_T10_S5_lS7_S5_lS6_T11_S5_li.kd
    .uniform_work_group_size: 1
    .uses_dynamic_stack: false
    .vgpr_count:     60
    .vgpr_spill_count: 0
    .wavefront_size: 32
  - .args:
      - .offset:         0
        .size:           4
        .value_kind:     by_value
      - .offset:         8
        .size:           8
        .value_kind:     by_value
      - .address_space:  global
        .offset:         16
        .size:           8
        .value_kind:     global_buffer
      - .address_space:  global
        .offset:         24
        .size:           8
        .value_kind:     global_buffer
      - .offset:         32
        .size:           8
        .value_kind:     by_value
      - .offset:         40
        .size:           8
        .value_kind:     by_value
      - .address_space:  global
        .offset:         48
        .size:           8
        .value_kind:     global_buffer
      - .offset:         56
        .size:           8
        .value_kind:     by_value
      - .offset:         64
        .size:           8
        .value_kind:     by_value
      - .address_space:  global
        .offset:         72
        .size:           8
        .value_kind:     global_buffer
      - .address_space:  global
        .offset:         80
        .size:           8
        .value_kind:     global_buffer
      - .offset:         88
        .size:           8
        .value_kind:     by_value
      - .offset:         96
        .size:           8
        .value_kind:     by_value
      - .offset:         104
        .size:           4
        .value_kind:     by_value
    .group_segment_fixed_size: 4096
    .kernarg_segment_align: 8
    .kernarg_segment_size: 108
    .language:       OpenCL C
    .language_version:
      - 2
      - 0
    .max_flat_workgroup_size: 256
    .name:           _ZL29rocblas_internal_gemmt_kernelIlLi16ELi32ELi8ELc67ELc67ELc85ELb1ELb1E19rocblas_complex_numIfEPKS1_S3_PS1_EviT_T9_T10_S5_lS7_S5_lS6_T11_S5_li
    .private_segment_fixed_size: 0
    .sgpr_count:     41
    .sgpr_spill_count: 0
    .symbol:         _ZL29rocblas_internal_gemmt_kernelIlLi16ELi32ELi8ELc67ELc67ELc85ELb1ELb1E19rocblas_complex_numIfEPKS1_S3_PS1_EviT_T9_T10_S5_lS7_S5_lS6_T11_S5_li.kd
    .uniform_work_group_size: 1
    .uses_dynamic_stack: false
    .vgpr_count:     60
    .vgpr_spill_count: 0
    .wavefront_size: 32
  - .args:
      - .offset:         0
        .size:           4
        .value_kind:     by_value
      - .offset:         8
        .size:           8
        .value_kind:     by_value
      - .address_space:  global
        .offset:         16
        .size:           8
        .value_kind:     global_buffer
      - .address_space:  global
        .offset:         24
        .size:           8
        .value_kind:     global_buffer
      - .offset:         32
        .size:           8
        .value_kind:     by_value
      - .offset:         40
        .size:           8
        .value_kind:     by_value
      - .address_space:  global
        .offset:         48
        .size:           8
        .value_kind:     global_buffer
      - .offset:         56
        .size:           8
        .value_kind:     by_value
      - .offset:         64
        .size:           8
        .value_kind:     by_value
      - .address_space:  global
        .offset:         72
        .size:           8
        .value_kind:     global_buffer
      - .address_space:  global
        .offset:         80
        .size:           8
        .value_kind:     global_buffer
      - .offset:         88
        .size:           8
        .value_kind:     by_value
      - .offset:         96
        .size:           8
        .value_kind:     by_value
      - .offset:         104
        .size:           4
        .value_kind:     by_value
    .group_segment_fixed_size: 4096
    .kernarg_segment_align: 8
    .kernarg_segment_size: 108
    .language:       OpenCL C
    .language_version:
      - 2
      - 0
    .max_flat_workgroup_size: 256
    .name:           _ZL29rocblas_internal_gemmt_kernelIlLi16ELi32ELi8ELc78ELc78ELc76ELb0ELb0E19rocblas_complex_numIfEPKS1_S3_PS1_EviT_T9_T10_S5_lS7_S5_lS6_T11_S5_li
    .private_segment_fixed_size: 0
    .sgpr_count:     39
    .sgpr_spill_count: 0
    .symbol:         _ZL29rocblas_internal_gemmt_kernelIlLi16ELi32ELi8ELc78ELc78ELc76ELb0ELb0E19rocblas_complex_numIfEPKS1_S3_PS1_EviT_T9_T10_S5_lS7_S5_lS6_T11_S5_li.kd
    .uniform_work_group_size: 1
    .uses_dynamic_stack: false
    .vgpr_count:     58
    .vgpr_spill_count: 0
    .wavefront_size: 32
  - .args:
      - .offset:         0
        .size:           4
        .value_kind:     by_value
      - .offset:         8
        .size:           8
        .value_kind:     by_value
      - .address_space:  global
        .offset:         16
        .size:           8
        .value_kind:     global_buffer
      - .address_space:  global
        .offset:         24
        .size:           8
        .value_kind:     global_buffer
      - .offset:         32
        .size:           8
        .value_kind:     by_value
      - .offset:         40
        .size:           8
        .value_kind:     by_value
      - .address_space:  global
        .offset:         48
        .size:           8
        .value_kind:     global_buffer
      - .offset:         56
        .size:           8
        .value_kind:     by_value
      - .offset:         64
        .size:           8
        .value_kind:     by_value
      - .address_space:  global
        .offset:         72
        .size:           8
        .value_kind:     global_buffer
      - .address_space:  global
        .offset:         80
        .size:           8
        .value_kind:     global_buffer
      - .offset:         88
        .size:           8
        .value_kind:     by_value
      - .offset:         96
        .size:           8
        .value_kind:     by_value
      - .offset:         104
        .size:           4
        .value_kind:     by_value
    .group_segment_fixed_size: 4096
    .kernarg_segment_align: 8
    .kernarg_segment_size: 108
    .language:       OpenCL C
    .language_version:
      - 2
      - 0
    .max_flat_workgroup_size: 256
    .name:           _ZL29rocblas_internal_gemmt_kernelIlLi16ELi32ELi8ELc78ELc84ELc76ELb0ELb0E19rocblas_complex_numIfEPKS1_S3_PS1_EviT_T9_T10_S5_lS7_S5_lS6_T11_S5_li
    .private_segment_fixed_size: 0
    .sgpr_count:     40
    .sgpr_spill_count: 0
    .symbol:         _ZL29rocblas_internal_gemmt_kernelIlLi16ELi32ELi8ELc78ELc84ELc76ELb0ELb0E19rocblas_complex_numIfEPKS1_S3_PS1_EviT_T9_T10_S5_lS7_S5_lS6_T11_S5_li.kd
    .uniform_work_group_size: 1
    .uses_dynamic_stack: false
    .vgpr_count:     58
    .vgpr_spill_count: 0
    .wavefront_size: 32
  - .args:
      - .offset:         0
        .size:           4
        .value_kind:     by_value
      - .offset:         8
        .size:           8
        .value_kind:     by_value
      - .address_space:  global
        .offset:         16
        .size:           8
        .value_kind:     global_buffer
      - .address_space:  global
        .offset:         24
        .size:           8
        .value_kind:     global_buffer
      - .offset:         32
        .size:           8
        .value_kind:     by_value
      - .offset:         40
        .size:           8
        .value_kind:     by_value
      - .address_space:  global
        .offset:         48
        .size:           8
        .value_kind:     global_buffer
      - .offset:         56
        .size:           8
        .value_kind:     by_value
      - .offset:         64
        .size:           8
        .value_kind:     by_value
      - .address_space:  global
        .offset:         72
        .size:           8
        .value_kind:     global_buffer
      - .address_space:  global
        .offset:         80
        .size:           8
        .value_kind:     global_buffer
      - .offset:         88
        .size:           8
        .value_kind:     by_value
      - .offset:         96
        .size:           8
        .value_kind:     by_value
      - .offset:         104
        .size:           4
        .value_kind:     by_value
    .group_segment_fixed_size: 4096
    .kernarg_segment_align: 8
    .kernarg_segment_size: 108
    .language:       OpenCL C
    .language_version:
      - 2
      - 0
    .max_flat_workgroup_size: 256
    .name:           _ZL29rocblas_internal_gemmt_kernelIlLi16ELi32ELi8ELc78ELc67ELc76ELb0ELb1E19rocblas_complex_numIfEPKS1_S3_PS1_EviT_T9_T10_S5_lS7_S5_lS6_T11_S5_li
    .private_segment_fixed_size: 0
    .sgpr_count:     40
    .sgpr_spill_count: 0
    .symbol:         _ZL29rocblas_internal_gemmt_kernelIlLi16ELi32ELi8ELc78ELc67ELc76ELb0ELb1E19rocblas_complex_numIfEPKS1_S3_PS1_EviT_T9_T10_S5_lS7_S5_lS6_T11_S5_li.kd
    .uniform_work_group_size: 1
    .uses_dynamic_stack: false
    .vgpr_count:     58
    .vgpr_spill_count: 0
    .wavefront_size: 32
  - .args:
      - .offset:         0
        .size:           4
        .value_kind:     by_value
      - .offset:         8
        .size:           8
        .value_kind:     by_value
      - .address_space:  global
        .offset:         16
        .size:           8
        .value_kind:     global_buffer
      - .address_space:  global
        .offset:         24
        .size:           8
        .value_kind:     global_buffer
      - .offset:         32
        .size:           8
        .value_kind:     by_value
      - .offset:         40
        .size:           8
        .value_kind:     by_value
      - .address_space:  global
        .offset:         48
        .size:           8
        .value_kind:     global_buffer
      - .offset:         56
        .size:           8
        .value_kind:     by_value
      - .offset:         64
        .size:           8
        .value_kind:     by_value
      - .address_space:  global
        .offset:         72
        .size:           8
        .value_kind:     global_buffer
      - .address_space:  global
        .offset:         80
        .size:           8
        .value_kind:     global_buffer
      - .offset:         88
        .size:           8
        .value_kind:     by_value
      - .offset:         96
        .size:           8
        .value_kind:     by_value
      - .offset:         104
        .size:           4
        .value_kind:     by_value
    .group_segment_fixed_size: 4096
    .kernarg_segment_align: 8
    .kernarg_segment_size: 108
    .language:       OpenCL C
    .language_version:
      - 2
      - 0
    .max_flat_workgroup_size: 256
    .name:           _ZL29rocblas_internal_gemmt_kernelIlLi16ELi32ELi8ELc84ELc78ELc76ELb0ELb0E19rocblas_complex_numIfEPKS1_S3_PS1_EviT_T9_T10_S5_lS7_S5_lS6_T11_S5_li
    .private_segment_fixed_size: 0
    .sgpr_count:     39
    .sgpr_spill_count: 0
    .symbol:         _ZL29rocblas_internal_gemmt_kernelIlLi16ELi32ELi8ELc84ELc78ELc76ELb0ELb0E19rocblas_complex_numIfEPKS1_S3_PS1_EviT_T9_T10_S5_lS7_S5_lS6_T11_S5_li.kd
    .uniform_work_group_size: 1
    .uses_dynamic_stack: false
    .vgpr_count:     58
    .vgpr_spill_count: 0
    .wavefront_size: 32
  - .args:
      - .offset:         0
        .size:           4
        .value_kind:     by_value
      - .offset:         8
        .size:           8
        .value_kind:     by_value
      - .address_space:  global
        .offset:         16
        .size:           8
        .value_kind:     global_buffer
      - .address_space:  global
        .offset:         24
        .size:           8
        .value_kind:     global_buffer
      - .offset:         32
        .size:           8
        .value_kind:     by_value
      - .offset:         40
        .size:           8
        .value_kind:     by_value
      - .address_space:  global
        .offset:         48
        .size:           8
        .value_kind:     global_buffer
      - .offset:         56
        .size:           8
        .value_kind:     by_value
      - .offset:         64
        .size:           8
        .value_kind:     by_value
      - .address_space:  global
        .offset:         72
        .size:           8
        .value_kind:     global_buffer
      - .address_space:  global
        .offset:         80
        .size:           8
        .value_kind:     global_buffer
      - .offset:         88
        .size:           8
        .value_kind:     by_value
      - .offset:         96
        .size:           8
        .value_kind:     by_value
      - .offset:         104
        .size:           4
        .value_kind:     by_value
    .group_segment_fixed_size: 4096
    .kernarg_segment_align: 8
    .kernarg_segment_size: 108
    .language:       OpenCL C
    .language_version:
      - 2
      - 0
    .max_flat_workgroup_size: 256
    .name:           _ZL29rocblas_internal_gemmt_kernelIlLi16ELi32ELi8ELc84ELc84ELc76ELb0ELb0E19rocblas_complex_numIfEPKS1_S3_PS1_EviT_T9_T10_S5_lS7_S5_lS6_T11_S5_li
    .private_segment_fixed_size: 0
    .sgpr_count:     39
    .sgpr_spill_count: 0
    .symbol:         _ZL29rocblas_internal_gemmt_kernelIlLi16ELi32ELi8ELc84ELc84ELc76ELb0ELb0E19rocblas_complex_numIfEPKS1_S3_PS1_EviT_T9_T10_S5_lS7_S5_lS6_T11_S5_li.kd
    .uniform_work_group_size: 1
    .uses_dynamic_stack: false
    .vgpr_count:     58
    .vgpr_spill_count: 0
    .wavefront_size: 32
  - .args:
      - .offset:         0
        .size:           4
        .value_kind:     by_value
      - .offset:         8
        .size:           8
        .value_kind:     by_value
      - .address_space:  global
        .offset:         16
        .size:           8
        .value_kind:     global_buffer
      - .address_space:  global
        .offset:         24
        .size:           8
        .value_kind:     global_buffer
      - .offset:         32
        .size:           8
        .value_kind:     by_value
      - .offset:         40
        .size:           8
        .value_kind:     by_value
      - .address_space:  global
        .offset:         48
        .size:           8
        .value_kind:     global_buffer
      - .offset:         56
        .size:           8
        .value_kind:     by_value
      - .offset:         64
        .size:           8
        .value_kind:     by_value
      - .address_space:  global
        .offset:         72
        .size:           8
        .value_kind:     global_buffer
      - .address_space:  global
        .offset:         80
        .size:           8
        .value_kind:     global_buffer
      - .offset:         88
        .size:           8
        .value_kind:     by_value
      - .offset:         96
        .size:           8
        .value_kind:     by_value
      - .offset:         104
        .size:           4
        .value_kind:     by_value
    .group_segment_fixed_size: 4096
    .kernarg_segment_align: 8
    .kernarg_segment_size: 108
    .language:       OpenCL C
    .language_version:
      - 2
      - 0
    .max_flat_workgroup_size: 256
    .name:           _ZL29rocblas_internal_gemmt_kernelIlLi16ELi32ELi8ELc84ELc67ELc76ELb0ELb1E19rocblas_complex_numIfEPKS1_S3_PS1_EviT_T9_T10_S5_lS7_S5_lS6_T11_S5_li
    .private_segment_fixed_size: 0
    .sgpr_count:     39
    .sgpr_spill_count: 0
    .symbol:         _ZL29rocblas_internal_gemmt_kernelIlLi16ELi32ELi8ELc84ELc67ELc76ELb0ELb1E19rocblas_complex_numIfEPKS1_S3_PS1_EviT_T9_T10_S5_lS7_S5_lS6_T11_S5_li.kd
    .uniform_work_group_size: 1
    .uses_dynamic_stack: false
    .vgpr_count:     58
    .vgpr_spill_count: 0
    .wavefront_size: 32
  - .args:
      - .offset:         0
        .size:           4
        .value_kind:     by_value
      - .offset:         8
        .size:           8
        .value_kind:     by_value
      - .address_space:  global
        .offset:         16
        .size:           8
        .value_kind:     global_buffer
      - .address_space:  global
        .offset:         24
        .size:           8
        .value_kind:     global_buffer
      - .offset:         32
        .size:           8
        .value_kind:     by_value
      - .offset:         40
        .size:           8
        .value_kind:     by_value
      - .address_space:  global
        .offset:         48
        .size:           8
        .value_kind:     global_buffer
      - .offset:         56
        .size:           8
        .value_kind:     by_value
      - .offset:         64
        .size:           8
        .value_kind:     by_value
      - .address_space:  global
        .offset:         72
        .size:           8
        .value_kind:     global_buffer
      - .address_space:  global
        .offset:         80
        .size:           8
        .value_kind:     global_buffer
      - .offset:         88
        .size:           8
        .value_kind:     by_value
      - .offset:         96
        .size:           8
        .value_kind:     by_value
      - .offset:         104
        .size:           4
        .value_kind:     by_value
    .group_segment_fixed_size: 4096
    .kernarg_segment_align: 8
    .kernarg_segment_size: 108
    .language:       OpenCL C
    .language_version:
      - 2
      - 0
    .max_flat_workgroup_size: 256
    .name:           _ZL29rocblas_internal_gemmt_kernelIlLi16ELi32ELi8ELc67ELc78ELc76ELb1ELb0E19rocblas_complex_numIfEPKS1_S3_PS1_EviT_T9_T10_S5_lS7_S5_lS6_T11_S5_li
    .private_segment_fixed_size: 0
    .sgpr_count:     39
    .sgpr_spill_count: 0
    .symbol:         _ZL29rocblas_internal_gemmt_kernelIlLi16ELi32ELi8ELc67ELc78ELc76ELb1ELb0E19rocblas_complex_numIfEPKS1_S3_PS1_EviT_T9_T10_S5_lS7_S5_lS6_T11_S5_li.kd
    .uniform_work_group_size: 1
    .uses_dynamic_stack: false
    .vgpr_count:     60
    .vgpr_spill_count: 0
    .wavefront_size: 32
  - .args:
      - .offset:         0
        .size:           4
        .value_kind:     by_value
      - .offset:         8
        .size:           8
        .value_kind:     by_value
      - .address_space:  global
        .offset:         16
        .size:           8
        .value_kind:     global_buffer
      - .address_space:  global
        .offset:         24
        .size:           8
        .value_kind:     global_buffer
      - .offset:         32
        .size:           8
        .value_kind:     by_value
      - .offset:         40
        .size:           8
        .value_kind:     by_value
      - .address_space:  global
        .offset:         48
        .size:           8
        .value_kind:     global_buffer
      - .offset:         56
        .size:           8
        .value_kind:     by_value
      - .offset:         64
        .size:           8
        .value_kind:     by_value
      - .address_space:  global
        .offset:         72
        .size:           8
        .value_kind:     global_buffer
      - .address_space:  global
        .offset:         80
        .size:           8
        .value_kind:     global_buffer
      - .offset:         88
        .size:           8
        .value_kind:     by_value
      - .offset:         96
        .size:           8
        .value_kind:     by_value
      - .offset:         104
        .size:           4
        .value_kind:     by_value
    .group_segment_fixed_size: 4096
    .kernarg_segment_align: 8
    .kernarg_segment_size: 108
    .language:       OpenCL C
    .language_version:
      - 2
      - 0
    .max_flat_workgroup_size: 256
    .name:           _ZL29rocblas_internal_gemmt_kernelIlLi16ELi32ELi8ELc67ELc84ELc76ELb1ELb0E19rocblas_complex_numIfEPKS1_S3_PS1_EviT_T9_T10_S5_lS7_S5_lS6_T11_S5_li
    .private_segment_fixed_size: 0
    .sgpr_count:     41
    .sgpr_spill_count: 0
    .symbol:         _ZL29rocblas_internal_gemmt_kernelIlLi16ELi32ELi8ELc67ELc84ELc76ELb1ELb0E19rocblas_complex_numIfEPKS1_S3_PS1_EviT_T9_T10_S5_lS7_S5_lS6_T11_S5_li.kd
    .uniform_work_group_size: 1
    .uses_dynamic_stack: false
    .vgpr_count:     60
    .vgpr_spill_count: 0
    .wavefront_size: 32
  - .args:
      - .offset:         0
        .size:           4
        .value_kind:     by_value
      - .offset:         8
        .size:           8
        .value_kind:     by_value
      - .address_space:  global
        .offset:         16
        .size:           8
        .value_kind:     global_buffer
      - .address_space:  global
        .offset:         24
        .size:           8
        .value_kind:     global_buffer
      - .offset:         32
        .size:           8
        .value_kind:     by_value
      - .offset:         40
        .size:           8
        .value_kind:     by_value
      - .address_space:  global
        .offset:         48
        .size:           8
        .value_kind:     global_buffer
      - .offset:         56
        .size:           8
        .value_kind:     by_value
      - .offset:         64
        .size:           8
        .value_kind:     by_value
      - .address_space:  global
        .offset:         72
        .size:           8
        .value_kind:     global_buffer
      - .address_space:  global
        .offset:         80
        .size:           8
        .value_kind:     global_buffer
      - .offset:         88
        .size:           8
        .value_kind:     by_value
      - .offset:         96
        .size:           8
        .value_kind:     by_value
      - .offset:         104
        .size:           4
        .value_kind:     by_value
    .group_segment_fixed_size: 4096
    .kernarg_segment_align: 8
    .kernarg_segment_size: 108
    .language:       OpenCL C
    .language_version:
      - 2
      - 0
    .max_flat_workgroup_size: 256
    .name:           _ZL29rocblas_internal_gemmt_kernelIlLi16ELi32ELi8ELc67ELc67ELc76ELb1ELb1E19rocblas_complex_numIfEPKS1_S3_PS1_EviT_T9_T10_S5_lS7_S5_lS6_T11_S5_li
    .private_segment_fixed_size: 0
    .sgpr_count:     41
    .sgpr_spill_count: 0
    .symbol:         _ZL29rocblas_internal_gemmt_kernelIlLi16ELi32ELi8ELc67ELc67ELc76ELb1ELb1E19rocblas_complex_numIfEPKS1_S3_PS1_EviT_T9_T10_S5_lS7_S5_lS6_T11_S5_li.kd
    .uniform_work_group_size: 1
    .uses_dynamic_stack: false
    .vgpr_count:     60
    .vgpr_spill_count: 0
    .wavefront_size: 32
  - .args:
      - .offset:         0
        .size:           4
        .value_kind:     by_value
      - .offset:         8
        .size:           8
        .value_kind:     by_value
      - .offset:         16
        .size:           8
        .value_kind:     by_value
      - .address_space:  global
        .offset:         24
        .size:           8
        .value_kind:     global_buffer
      - .offset:         32
        .size:           8
        .value_kind:     by_value
      - .offset:         40
        .size:           8
        .value_kind:     by_value
      - .address_space:  global
        .offset:         48
        .size:           8
        .value_kind:     global_buffer
      - .offset:         56
        .size:           8
        .value_kind:     by_value
      - .offset:         64
        .size:           8
        .value_kind:     by_value
      - .offset:         72
        .size:           8
        .value_kind:     by_value
      - .address_space:  global
        .offset:         80
        .size:           8
        .value_kind:     global_buffer
      - .offset:         88
        .size:           8
        .value_kind:     by_value
      - .offset:         96
        .size:           8
        .value_kind:     by_value
      - .offset:         104
        .size:           4
        .value_kind:     by_value
    .group_segment_fixed_size: 4096
    .kernarg_segment_align: 8
    .kernarg_segment_size: 108
    .language:       OpenCL C
    .language_version:
      - 2
      - 0
    .max_flat_workgroup_size: 256
    .name:           _ZL29rocblas_internal_gemmt_kernelIlLi16ELi32ELi8ELc78ELc78ELc85ELb0ELb0E19rocblas_complex_numIfES1_PKS1_PS1_EviT_T9_T10_S5_lS7_S5_lS6_T11_S5_li
    .private_segment_fixed_size: 0
    .sgpr_count:     38
    .sgpr_spill_count: 0
    .symbol:         _ZL29rocblas_internal_gemmt_kernelIlLi16ELi32ELi8ELc78ELc78ELc85ELb0ELb0E19rocblas_complex_numIfES1_PKS1_PS1_EviT_T9_T10_S5_lS7_S5_lS6_T11_S5_li.kd
    .uniform_work_group_size: 1
    .uses_dynamic_stack: false
    .vgpr_count:     58
    .vgpr_spill_count: 0
    .wavefront_size: 32
  - .args:
      - .offset:         0
        .size:           4
        .value_kind:     by_value
      - .offset:         8
        .size:           8
        .value_kind:     by_value
      - .offset:         16
        .size:           8
        .value_kind:     by_value
      - .address_space:  global
        .offset:         24
        .size:           8
        .value_kind:     global_buffer
      - .offset:         32
        .size:           8
        .value_kind:     by_value
      - .offset:         40
        .size:           8
        .value_kind:     by_value
      - .address_space:  global
        .offset:         48
        .size:           8
        .value_kind:     global_buffer
      - .offset:         56
        .size:           8
        .value_kind:     by_value
      - .offset:         64
        .size:           8
        .value_kind:     by_value
      - .offset:         72
        .size:           8
        .value_kind:     by_value
      - .address_space:  global
        .offset:         80
        .size:           8
        .value_kind:     global_buffer
      - .offset:         88
        .size:           8
        .value_kind:     by_value
      - .offset:         96
        .size:           8
        .value_kind:     by_value
      - .offset:         104
        .size:           4
        .value_kind:     by_value
    .group_segment_fixed_size: 4096
    .kernarg_segment_align: 8
    .kernarg_segment_size: 108
    .language:       OpenCL C
    .language_version:
      - 2
      - 0
    .max_flat_workgroup_size: 256
    .name:           _ZL29rocblas_internal_gemmt_kernelIlLi16ELi32ELi8ELc78ELc84ELc85ELb0ELb0E19rocblas_complex_numIfES1_PKS1_PS1_EviT_T9_T10_S5_lS7_S5_lS6_T11_S5_li
    .private_segment_fixed_size: 0
    .sgpr_count:     40
    .sgpr_spill_count: 0
    .symbol:         _ZL29rocblas_internal_gemmt_kernelIlLi16ELi32ELi8ELc78ELc84ELc85ELb0ELb0E19rocblas_complex_numIfES1_PKS1_PS1_EviT_T9_T10_S5_lS7_S5_lS6_T11_S5_li.kd
    .uniform_work_group_size: 1
    .uses_dynamic_stack: false
    .vgpr_count:     58
    .vgpr_spill_count: 0
    .wavefront_size: 32
  - .args:
      - .offset:         0
        .size:           4
        .value_kind:     by_value
      - .offset:         8
        .size:           8
        .value_kind:     by_value
      - .offset:         16
        .size:           8
        .value_kind:     by_value
      - .address_space:  global
        .offset:         24
        .size:           8
        .value_kind:     global_buffer
      - .offset:         32
        .size:           8
        .value_kind:     by_value
      - .offset:         40
        .size:           8
        .value_kind:     by_value
      - .address_space:  global
        .offset:         48
        .size:           8
        .value_kind:     global_buffer
      - .offset:         56
        .size:           8
        .value_kind:     by_value
      - .offset:         64
        .size:           8
        .value_kind:     by_value
      - .offset:         72
        .size:           8
        .value_kind:     by_value
      - .address_space:  global
        .offset:         80
        .size:           8
        .value_kind:     global_buffer
      - .offset:         88
        .size:           8
        .value_kind:     by_value
      - .offset:         96
        .size:           8
        .value_kind:     by_value
      - .offset:         104
        .size:           4
        .value_kind:     by_value
    .group_segment_fixed_size: 4096
    .kernarg_segment_align: 8
    .kernarg_segment_size: 108
    .language:       OpenCL C
    .language_version:
      - 2
      - 0
    .max_flat_workgroup_size: 256
    .name:           _ZL29rocblas_internal_gemmt_kernelIlLi16ELi32ELi8ELc78ELc67ELc85ELb0ELb1E19rocblas_complex_numIfES1_PKS1_PS1_EviT_T9_T10_S5_lS7_S5_lS6_T11_S5_li
    .private_segment_fixed_size: 0
    .sgpr_count:     40
    .sgpr_spill_count: 0
    .symbol:         _ZL29rocblas_internal_gemmt_kernelIlLi16ELi32ELi8ELc78ELc67ELc85ELb0ELb1E19rocblas_complex_numIfES1_PKS1_PS1_EviT_T9_T10_S5_lS7_S5_lS6_T11_S5_li.kd
    .uniform_work_group_size: 1
    .uses_dynamic_stack: false
    .vgpr_count:     58
    .vgpr_spill_count: 0
    .wavefront_size: 32
  - .args:
      - .offset:         0
        .size:           4
        .value_kind:     by_value
      - .offset:         8
        .size:           8
        .value_kind:     by_value
      - .offset:         16
        .size:           8
        .value_kind:     by_value
      - .address_space:  global
        .offset:         24
        .size:           8
        .value_kind:     global_buffer
      - .offset:         32
        .size:           8
        .value_kind:     by_value
      - .offset:         40
        .size:           8
        .value_kind:     by_value
      - .address_space:  global
        .offset:         48
        .size:           8
        .value_kind:     global_buffer
      - .offset:         56
        .size:           8
        .value_kind:     by_value
      - .offset:         64
        .size:           8
        .value_kind:     by_value
      - .offset:         72
        .size:           8
        .value_kind:     by_value
      - .address_space:  global
        .offset:         80
        .size:           8
        .value_kind:     global_buffer
      - .offset:         88
        .size:           8
        .value_kind:     by_value
      - .offset:         96
        .size:           8
        .value_kind:     by_value
      - .offset:         104
        .size:           4
        .value_kind:     by_value
    .group_segment_fixed_size: 4096
    .kernarg_segment_align: 8
    .kernarg_segment_size: 108
    .language:       OpenCL C
    .language_version:
      - 2
      - 0
    .max_flat_workgroup_size: 256
    .name:           _ZL29rocblas_internal_gemmt_kernelIlLi16ELi32ELi8ELc84ELc78ELc85ELb0ELb0E19rocblas_complex_numIfES1_PKS1_PS1_EviT_T9_T10_S5_lS7_S5_lS6_T11_S5_li
    .private_segment_fixed_size: 0
    .sgpr_count:     38
    .sgpr_spill_count: 0
    .symbol:         _ZL29rocblas_internal_gemmt_kernelIlLi16ELi32ELi8ELc84ELc78ELc85ELb0ELb0E19rocblas_complex_numIfES1_PKS1_PS1_EviT_T9_T10_S5_lS7_S5_lS6_T11_S5_li.kd
    .uniform_work_group_size: 1
    .uses_dynamic_stack: false
    .vgpr_count:     58
    .vgpr_spill_count: 0
    .wavefront_size: 32
  - .args:
      - .offset:         0
        .size:           4
        .value_kind:     by_value
      - .offset:         8
        .size:           8
        .value_kind:     by_value
      - .offset:         16
        .size:           8
        .value_kind:     by_value
      - .address_space:  global
        .offset:         24
        .size:           8
        .value_kind:     global_buffer
      - .offset:         32
        .size:           8
        .value_kind:     by_value
      - .offset:         40
        .size:           8
        .value_kind:     by_value
      - .address_space:  global
        .offset:         48
        .size:           8
        .value_kind:     global_buffer
      - .offset:         56
        .size:           8
        .value_kind:     by_value
      - .offset:         64
        .size:           8
        .value_kind:     by_value
      - .offset:         72
        .size:           8
        .value_kind:     by_value
      - .address_space:  global
        .offset:         80
        .size:           8
        .value_kind:     global_buffer
      - .offset:         88
        .size:           8
        .value_kind:     by_value
      - .offset:         96
        .size:           8
        .value_kind:     by_value
      - .offset:         104
        .size:           4
        .value_kind:     by_value
    .group_segment_fixed_size: 4096
    .kernarg_segment_align: 8
    .kernarg_segment_size: 108
    .language:       OpenCL C
    .language_version:
      - 2
      - 0
    .max_flat_workgroup_size: 256
    .name:           _ZL29rocblas_internal_gemmt_kernelIlLi16ELi32ELi8ELc84ELc84ELc85ELb0ELb0E19rocblas_complex_numIfES1_PKS1_PS1_EviT_T9_T10_S5_lS7_S5_lS6_T11_S5_li
    .private_segment_fixed_size: 0
    .sgpr_count:     38
    .sgpr_spill_count: 0
    .symbol:         _ZL29rocblas_internal_gemmt_kernelIlLi16ELi32ELi8ELc84ELc84ELc85ELb0ELb0E19rocblas_complex_numIfES1_PKS1_PS1_EviT_T9_T10_S5_lS7_S5_lS6_T11_S5_li.kd
    .uniform_work_group_size: 1
    .uses_dynamic_stack: false
    .vgpr_count:     58
    .vgpr_spill_count: 0
    .wavefront_size: 32
  - .args:
      - .offset:         0
        .size:           4
        .value_kind:     by_value
      - .offset:         8
        .size:           8
        .value_kind:     by_value
      - .offset:         16
        .size:           8
        .value_kind:     by_value
      - .address_space:  global
        .offset:         24
        .size:           8
        .value_kind:     global_buffer
      - .offset:         32
        .size:           8
        .value_kind:     by_value
      - .offset:         40
        .size:           8
        .value_kind:     by_value
      - .address_space:  global
        .offset:         48
        .size:           8
        .value_kind:     global_buffer
      - .offset:         56
        .size:           8
        .value_kind:     by_value
      - .offset:         64
        .size:           8
        .value_kind:     by_value
      - .offset:         72
        .size:           8
        .value_kind:     by_value
      - .address_space:  global
        .offset:         80
        .size:           8
        .value_kind:     global_buffer
      - .offset:         88
        .size:           8
        .value_kind:     by_value
      - .offset:         96
        .size:           8
        .value_kind:     by_value
      - .offset:         104
        .size:           4
        .value_kind:     by_value
    .group_segment_fixed_size: 4096
    .kernarg_segment_align: 8
    .kernarg_segment_size: 108
    .language:       OpenCL C
    .language_version:
      - 2
      - 0
    .max_flat_workgroup_size: 256
    .name:           _ZL29rocblas_internal_gemmt_kernelIlLi16ELi32ELi8ELc84ELc67ELc85ELb0ELb1E19rocblas_complex_numIfES1_PKS1_PS1_EviT_T9_T10_S5_lS7_S5_lS6_T11_S5_li
    .private_segment_fixed_size: 0
    .sgpr_count:     38
    .sgpr_spill_count: 0
    .symbol:         _ZL29rocblas_internal_gemmt_kernelIlLi16ELi32ELi8ELc84ELc67ELc85ELb0ELb1E19rocblas_complex_numIfES1_PKS1_PS1_EviT_T9_T10_S5_lS7_S5_lS6_T11_S5_li.kd
    .uniform_work_group_size: 1
    .uses_dynamic_stack: false
    .vgpr_count:     58
    .vgpr_spill_count: 0
    .wavefront_size: 32
  - .args:
      - .offset:         0
        .size:           4
        .value_kind:     by_value
      - .offset:         8
        .size:           8
        .value_kind:     by_value
      - .offset:         16
        .size:           8
        .value_kind:     by_value
      - .address_space:  global
        .offset:         24
        .size:           8
        .value_kind:     global_buffer
      - .offset:         32
        .size:           8
        .value_kind:     by_value
      - .offset:         40
        .size:           8
        .value_kind:     by_value
      - .address_space:  global
        .offset:         48
        .size:           8
        .value_kind:     global_buffer
      - .offset:         56
        .size:           8
        .value_kind:     by_value
      - .offset:         64
        .size:           8
        .value_kind:     by_value
      - .offset:         72
        .size:           8
        .value_kind:     by_value
      - .address_space:  global
        .offset:         80
        .size:           8
        .value_kind:     global_buffer
      - .offset:         88
        .size:           8
        .value_kind:     by_value
      - .offset:         96
        .size:           8
        .value_kind:     by_value
      - .offset:         104
        .size:           4
        .value_kind:     by_value
    .group_segment_fixed_size: 4096
    .kernarg_segment_align: 8
    .kernarg_segment_size: 108
    .language:       OpenCL C
    .language_version:
      - 2
      - 0
    .max_flat_workgroup_size: 256
    .name:           _ZL29rocblas_internal_gemmt_kernelIlLi16ELi32ELi8ELc67ELc78ELc85ELb1ELb0E19rocblas_complex_numIfES1_PKS1_PS1_EviT_T9_T10_S5_lS7_S5_lS6_T11_S5_li
    .private_segment_fixed_size: 0
    .sgpr_count:     39
    .sgpr_spill_count: 0
    .symbol:         _ZL29rocblas_internal_gemmt_kernelIlLi16ELi32ELi8ELc67ELc78ELc85ELb1ELb0E19rocblas_complex_numIfES1_PKS1_PS1_EviT_T9_T10_S5_lS7_S5_lS6_T11_S5_li.kd
    .uniform_work_group_size: 1
    .uses_dynamic_stack: false
    .vgpr_count:     60
    .vgpr_spill_count: 0
    .wavefront_size: 32
  - .args:
      - .offset:         0
        .size:           4
        .value_kind:     by_value
      - .offset:         8
        .size:           8
        .value_kind:     by_value
      - .offset:         16
        .size:           8
        .value_kind:     by_value
      - .address_space:  global
        .offset:         24
        .size:           8
        .value_kind:     global_buffer
      - .offset:         32
        .size:           8
        .value_kind:     by_value
      - .offset:         40
        .size:           8
        .value_kind:     by_value
      - .address_space:  global
        .offset:         48
        .size:           8
        .value_kind:     global_buffer
      - .offset:         56
        .size:           8
        .value_kind:     by_value
      - .offset:         64
        .size:           8
        .value_kind:     by_value
      - .offset:         72
        .size:           8
        .value_kind:     by_value
      - .address_space:  global
        .offset:         80
        .size:           8
        .value_kind:     global_buffer
      - .offset:         88
        .size:           8
        .value_kind:     by_value
      - .offset:         96
        .size:           8
        .value_kind:     by_value
      - .offset:         104
        .size:           4
        .value_kind:     by_value
    .group_segment_fixed_size: 4096
    .kernarg_segment_align: 8
    .kernarg_segment_size: 108
    .language:       OpenCL C
    .language_version:
      - 2
      - 0
    .max_flat_workgroup_size: 256
    .name:           _ZL29rocblas_internal_gemmt_kernelIlLi16ELi32ELi8ELc67ELc84ELc85ELb1ELb0E19rocblas_complex_numIfES1_PKS1_PS1_EviT_T9_T10_S5_lS7_S5_lS6_T11_S5_li
    .private_segment_fixed_size: 0
    .sgpr_count:     41
    .sgpr_spill_count: 0
    .symbol:         _ZL29rocblas_internal_gemmt_kernelIlLi16ELi32ELi8ELc67ELc84ELc85ELb1ELb0E19rocblas_complex_numIfES1_PKS1_PS1_EviT_T9_T10_S5_lS7_S5_lS6_T11_S5_li.kd
    .uniform_work_group_size: 1
    .uses_dynamic_stack: false
    .vgpr_count:     60
    .vgpr_spill_count: 0
    .wavefront_size: 32
  - .args:
      - .offset:         0
        .size:           4
        .value_kind:     by_value
      - .offset:         8
        .size:           8
        .value_kind:     by_value
      - .offset:         16
        .size:           8
        .value_kind:     by_value
      - .address_space:  global
        .offset:         24
        .size:           8
        .value_kind:     global_buffer
      - .offset:         32
        .size:           8
        .value_kind:     by_value
      - .offset:         40
        .size:           8
        .value_kind:     by_value
      - .address_space:  global
        .offset:         48
        .size:           8
        .value_kind:     global_buffer
      - .offset:         56
        .size:           8
        .value_kind:     by_value
      - .offset:         64
        .size:           8
        .value_kind:     by_value
      - .offset:         72
        .size:           8
        .value_kind:     by_value
      - .address_space:  global
        .offset:         80
        .size:           8
        .value_kind:     global_buffer
      - .offset:         88
        .size:           8
        .value_kind:     by_value
      - .offset:         96
        .size:           8
        .value_kind:     by_value
      - .offset:         104
        .size:           4
        .value_kind:     by_value
    .group_segment_fixed_size: 4096
    .kernarg_segment_align: 8
    .kernarg_segment_size: 108
    .language:       OpenCL C
    .language_version:
      - 2
      - 0
    .max_flat_workgroup_size: 256
    .name:           _ZL29rocblas_internal_gemmt_kernelIlLi16ELi32ELi8ELc67ELc67ELc85ELb1ELb1E19rocblas_complex_numIfES1_PKS1_PS1_EviT_T9_T10_S5_lS7_S5_lS6_T11_S5_li
    .private_segment_fixed_size: 0
    .sgpr_count:     41
    .sgpr_spill_count: 0
    .symbol:         _ZL29rocblas_internal_gemmt_kernelIlLi16ELi32ELi8ELc67ELc67ELc85ELb1ELb1E19rocblas_complex_numIfES1_PKS1_PS1_EviT_T9_T10_S5_lS7_S5_lS6_T11_S5_li.kd
    .uniform_work_group_size: 1
    .uses_dynamic_stack: false
    .vgpr_count:     60
    .vgpr_spill_count: 0
    .wavefront_size: 32
  - .args:
      - .offset:         0
        .size:           4
        .value_kind:     by_value
      - .offset:         8
        .size:           8
        .value_kind:     by_value
      - .offset:         16
        .size:           8
        .value_kind:     by_value
      - .address_space:  global
        .offset:         24
        .size:           8
        .value_kind:     global_buffer
      - .offset:         32
        .size:           8
        .value_kind:     by_value
      - .offset:         40
        .size:           8
        .value_kind:     by_value
      - .address_space:  global
        .offset:         48
        .size:           8
        .value_kind:     global_buffer
      - .offset:         56
        .size:           8
        .value_kind:     by_value
      - .offset:         64
        .size:           8
        .value_kind:     by_value
      - .offset:         72
        .size:           8
        .value_kind:     by_value
      - .address_space:  global
        .offset:         80
        .size:           8
        .value_kind:     global_buffer
      - .offset:         88
        .size:           8
        .value_kind:     by_value
      - .offset:         96
        .size:           8
        .value_kind:     by_value
      - .offset:         104
        .size:           4
        .value_kind:     by_value
    .group_segment_fixed_size: 4096
    .kernarg_segment_align: 8
    .kernarg_segment_size: 108
    .language:       OpenCL C
    .language_version:
      - 2
      - 0
    .max_flat_workgroup_size: 256
    .name:           _ZL29rocblas_internal_gemmt_kernelIlLi16ELi32ELi8ELc78ELc78ELc76ELb0ELb0E19rocblas_complex_numIfES1_PKS1_PS1_EviT_T9_T10_S5_lS7_S5_lS6_T11_S5_li
    .private_segment_fixed_size: 0
    .sgpr_count:     38
    .sgpr_spill_count: 0
    .symbol:         _ZL29rocblas_internal_gemmt_kernelIlLi16ELi32ELi8ELc78ELc78ELc76ELb0ELb0E19rocblas_complex_numIfES1_PKS1_PS1_EviT_T9_T10_S5_lS7_S5_lS6_T11_S5_li.kd
    .uniform_work_group_size: 1
    .uses_dynamic_stack: false
    .vgpr_count:     58
    .vgpr_spill_count: 0
    .wavefront_size: 32
  - .args:
      - .offset:         0
        .size:           4
        .value_kind:     by_value
      - .offset:         8
        .size:           8
        .value_kind:     by_value
      - .offset:         16
        .size:           8
        .value_kind:     by_value
      - .address_space:  global
        .offset:         24
        .size:           8
        .value_kind:     global_buffer
      - .offset:         32
        .size:           8
        .value_kind:     by_value
      - .offset:         40
        .size:           8
        .value_kind:     by_value
      - .address_space:  global
        .offset:         48
        .size:           8
        .value_kind:     global_buffer
      - .offset:         56
        .size:           8
        .value_kind:     by_value
      - .offset:         64
        .size:           8
        .value_kind:     by_value
      - .offset:         72
        .size:           8
        .value_kind:     by_value
      - .address_space:  global
        .offset:         80
        .size:           8
        .value_kind:     global_buffer
      - .offset:         88
        .size:           8
        .value_kind:     by_value
      - .offset:         96
        .size:           8
        .value_kind:     by_value
      - .offset:         104
        .size:           4
        .value_kind:     by_value
    .group_segment_fixed_size: 4096
    .kernarg_segment_align: 8
    .kernarg_segment_size: 108
    .language:       OpenCL C
    .language_version:
      - 2
      - 0
    .max_flat_workgroup_size: 256
    .name:           _ZL29rocblas_internal_gemmt_kernelIlLi16ELi32ELi8ELc78ELc84ELc76ELb0ELb0E19rocblas_complex_numIfES1_PKS1_PS1_EviT_T9_T10_S5_lS7_S5_lS6_T11_S5_li
    .private_segment_fixed_size: 0
    .sgpr_count:     40
    .sgpr_spill_count: 0
    .symbol:         _ZL29rocblas_internal_gemmt_kernelIlLi16ELi32ELi8ELc78ELc84ELc76ELb0ELb0E19rocblas_complex_numIfES1_PKS1_PS1_EviT_T9_T10_S5_lS7_S5_lS6_T11_S5_li.kd
    .uniform_work_group_size: 1
    .uses_dynamic_stack: false
    .vgpr_count:     58
    .vgpr_spill_count: 0
    .wavefront_size: 32
  - .args:
      - .offset:         0
        .size:           4
        .value_kind:     by_value
      - .offset:         8
        .size:           8
        .value_kind:     by_value
      - .offset:         16
        .size:           8
        .value_kind:     by_value
      - .address_space:  global
        .offset:         24
        .size:           8
        .value_kind:     global_buffer
      - .offset:         32
        .size:           8
        .value_kind:     by_value
      - .offset:         40
        .size:           8
        .value_kind:     by_value
      - .address_space:  global
        .offset:         48
        .size:           8
        .value_kind:     global_buffer
      - .offset:         56
        .size:           8
        .value_kind:     by_value
      - .offset:         64
        .size:           8
        .value_kind:     by_value
      - .offset:         72
        .size:           8
        .value_kind:     by_value
      - .address_space:  global
        .offset:         80
        .size:           8
        .value_kind:     global_buffer
      - .offset:         88
        .size:           8
        .value_kind:     by_value
      - .offset:         96
        .size:           8
        .value_kind:     by_value
      - .offset:         104
        .size:           4
        .value_kind:     by_value
    .group_segment_fixed_size: 4096
    .kernarg_segment_align: 8
    .kernarg_segment_size: 108
    .language:       OpenCL C
    .language_version:
      - 2
      - 0
    .max_flat_workgroup_size: 256
    .name:           _ZL29rocblas_internal_gemmt_kernelIlLi16ELi32ELi8ELc78ELc67ELc76ELb0ELb1E19rocblas_complex_numIfES1_PKS1_PS1_EviT_T9_T10_S5_lS7_S5_lS6_T11_S5_li
    .private_segment_fixed_size: 0
    .sgpr_count:     40
    .sgpr_spill_count: 0
    .symbol:         _ZL29rocblas_internal_gemmt_kernelIlLi16ELi32ELi8ELc78ELc67ELc76ELb0ELb1E19rocblas_complex_numIfES1_PKS1_PS1_EviT_T9_T10_S5_lS7_S5_lS6_T11_S5_li.kd
    .uniform_work_group_size: 1
    .uses_dynamic_stack: false
    .vgpr_count:     58
    .vgpr_spill_count: 0
    .wavefront_size: 32
  - .args:
      - .offset:         0
        .size:           4
        .value_kind:     by_value
      - .offset:         8
        .size:           8
        .value_kind:     by_value
      - .offset:         16
        .size:           8
        .value_kind:     by_value
      - .address_space:  global
        .offset:         24
        .size:           8
        .value_kind:     global_buffer
      - .offset:         32
        .size:           8
        .value_kind:     by_value
      - .offset:         40
        .size:           8
        .value_kind:     by_value
      - .address_space:  global
        .offset:         48
        .size:           8
        .value_kind:     global_buffer
      - .offset:         56
        .size:           8
        .value_kind:     by_value
      - .offset:         64
        .size:           8
        .value_kind:     by_value
      - .offset:         72
        .size:           8
        .value_kind:     by_value
      - .address_space:  global
        .offset:         80
        .size:           8
        .value_kind:     global_buffer
      - .offset:         88
        .size:           8
        .value_kind:     by_value
      - .offset:         96
        .size:           8
        .value_kind:     by_value
      - .offset:         104
        .size:           4
        .value_kind:     by_value
    .group_segment_fixed_size: 4096
    .kernarg_segment_align: 8
    .kernarg_segment_size: 108
    .language:       OpenCL C
    .language_version:
      - 2
      - 0
    .max_flat_workgroup_size: 256
    .name:           _ZL29rocblas_internal_gemmt_kernelIlLi16ELi32ELi8ELc84ELc78ELc76ELb0ELb0E19rocblas_complex_numIfES1_PKS1_PS1_EviT_T9_T10_S5_lS7_S5_lS6_T11_S5_li
    .private_segment_fixed_size: 0
    .sgpr_count:     38
    .sgpr_spill_count: 0
    .symbol:         _ZL29rocblas_internal_gemmt_kernelIlLi16ELi32ELi8ELc84ELc78ELc76ELb0ELb0E19rocblas_complex_numIfES1_PKS1_PS1_EviT_T9_T10_S5_lS7_S5_lS6_T11_S5_li.kd
    .uniform_work_group_size: 1
    .uses_dynamic_stack: false
    .vgpr_count:     58
    .vgpr_spill_count: 0
    .wavefront_size: 32
  - .args:
      - .offset:         0
        .size:           4
        .value_kind:     by_value
      - .offset:         8
        .size:           8
        .value_kind:     by_value
      - .offset:         16
        .size:           8
        .value_kind:     by_value
      - .address_space:  global
        .offset:         24
        .size:           8
        .value_kind:     global_buffer
      - .offset:         32
        .size:           8
        .value_kind:     by_value
      - .offset:         40
        .size:           8
        .value_kind:     by_value
      - .address_space:  global
        .offset:         48
        .size:           8
        .value_kind:     global_buffer
      - .offset:         56
        .size:           8
        .value_kind:     by_value
      - .offset:         64
        .size:           8
        .value_kind:     by_value
      - .offset:         72
        .size:           8
        .value_kind:     by_value
      - .address_space:  global
        .offset:         80
        .size:           8
        .value_kind:     global_buffer
      - .offset:         88
        .size:           8
        .value_kind:     by_value
      - .offset:         96
        .size:           8
        .value_kind:     by_value
      - .offset:         104
        .size:           4
        .value_kind:     by_value
    .group_segment_fixed_size: 4096
    .kernarg_segment_align: 8
    .kernarg_segment_size: 108
    .language:       OpenCL C
    .language_version:
      - 2
      - 0
    .max_flat_workgroup_size: 256
    .name:           _ZL29rocblas_internal_gemmt_kernelIlLi16ELi32ELi8ELc84ELc84ELc76ELb0ELb0E19rocblas_complex_numIfES1_PKS1_PS1_EviT_T9_T10_S5_lS7_S5_lS6_T11_S5_li
    .private_segment_fixed_size: 0
    .sgpr_count:     38
    .sgpr_spill_count: 0
    .symbol:         _ZL29rocblas_internal_gemmt_kernelIlLi16ELi32ELi8ELc84ELc84ELc76ELb0ELb0E19rocblas_complex_numIfES1_PKS1_PS1_EviT_T9_T10_S5_lS7_S5_lS6_T11_S5_li.kd
    .uniform_work_group_size: 1
    .uses_dynamic_stack: false
    .vgpr_count:     58
    .vgpr_spill_count: 0
    .wavefront_size: 32
  - .args:
      - .offset:         0
        .size:           4
        .value_kind:     by_value
      - .offset:         8
        .size:           8
        .value_kind:     by_value
      - .offset:         16
        .size:           8
        .value_kind:     by_value
      - .address_space:  global
        .offset:         24
        .size:           8
        .value_kind:     global_buffer
      - .offset:         32
        .size:           8
        .value_kind:     by_value
      - .offset:         40
        .size:           8
        .value_kind:     by_value
      - .address_space:  global
        .offset:         48
        .size:           8
        .value_kind:     global_buffer
      - .offset:         56
        .size:           8
        .value_kind:     by_value
      - .offset:         64
        .size:           8
        .value_kind:     by_value
      - .offset:         72
        .size:           8
        .value_kind:     by_value
      - .address_space:  global
        .offset:         80
        .size:           8
        .value_kind:     global_buffer
      - .offset:         88
        .size:           8
        .value_kind:     by_value
      - .offset:         96
        .size:           8
        .value_kind:     by_value
      - .offset:         104
        .size:           4
        .value_kind:     by_value
    .group_segment_fixed_size: 4096
    .kernarg_segment_align: 8
    .kernarg_segment_size: 108
    .language:       OpenCL C
    .language_version:
      - 2
      - 0
    .max_flat_workgroup_size: 256
    .name:           _ZL29rocblas_internal_gemmt_kernelIlLi16ELi32ELi8ELc84ELc67ELc76ELb0ELb1E19rocblas_complex_numIfES1_PKS1_PS1_EviT_T9_T10_S5_lS7_S5_lS6_T11_S5_li
    .private_segment_fixed_size: 0
    .sgpr_count:     38
    .sgpr_spill_count: 0
    .symbol:         _ZL29rocblas_internal_gemmt_kernelIlLi16ELi32ELi8ELc84ELc67ELc76ELb0ELb1E19rocblas_complex_numIfES1_PKS1_PS1_EviT_T9_T10_S5_lS7_S5_lS6_T11_S5_li.kd
    .uniform_work_group_size: 1
    .uses_dynamic_stack: false
    .vgpr_count:     58
    .vgpr_spill_count: 0
    .wavefront_size: 32
  - .args:
      - .offset:         0
        .size:           4
        .value_kind:     by_value
      - .offset:         8
        .size:           8
        .value_kind:     by_value
      - .offset:         16
        .size:           8
        .value_kind:     by_value
      - .address_space:  global
        .offset:         24
        .size:           8
        .value_kind:     global_buffer
      - .offset:         32
        .size:           8
        .value_kind:     by_value
      - .offset:         40
        .size:           8
        .value_kind:     by_value
      - .address_space:  global
        .offset:         48
        .size:           8
        .value_kind:     global_buffer
      - .offset:         56
        .size:           8
        .value_kind:     by_value
      - .offset:         64
        .size:           8
        .value_kind:     by_value
      - .offset:         72
        .size:           8
        .value_kind:     by_value
      - .address_space:  global
        .offset:         80
        .size:           8
        .value_kind:     global_buffer
      - .offset:         88
        .size:           8
        .value_kind:     by_value
      - .offset:         96
        .size:           8
        .value_kind:     by_value
      - .offset:         104
        .size:           4
        .value_kind:     by_value
    .group_segment_fixed_size: 4096
    .kernarg_segment_align: 8
    .kernarg_segment_size: 108
    .language:       OpenCL C
    .language_version:
      - 2
      - 0
    .max_flat_workgroup_size: 256
    .name:           _ZL29rocblas_internal_gemmt_kernelIlLi16ELi32ELi8ELc67ELc78ELc76ELb1ELb0E19rocblas_complex_numIfES1_PKS1_PS1_EviT_T9_T10_S5_lS7_S5_lS6_T11_S5_li
    .private_segment_fixed_size: 0
    .sgpr_count:     39
    .sgpr_spill_count: 0
    .symbol:         _ZL29rocblas_internal_gemmt_kernelIlLi16ELi32ELi8ELc67ELc78ELc76ELb1ELb0E19rocblas_complex_numIfES1_PKS1_PS1_EviT_T9_T10_S5_lS7_S5_lS6_T11_S5_li.kd
    .uniform_work_group_size: 1
    .uses_dynamic_stack: false
    .vgpr_count:     60
    .vgpr_spill_count: 0
    .wavefront_size: 32
  - .args:
      - .offset:         0
        .size:           4
        .value_kind:     by_value
      - .offset:         8
        .size:           8
        .value_kind:     by_value
      - .offset:         16
        .size:           8
        .value_kind:     by_value
      - .address_space:  global
        .offset:         24
        .size:           8
        .value_kind:     global_buffer
      - .offset:         32
        .size:           8
        .value_kind:     by_value
      - .offset:         40
        .size:           8
        .value_kind:     by_value
      - .address_space:  global
        .offset:         48
        .size:           8
        .value_kind:     global_buffer
      - .offset:         56
        .size:           8
        .value_kind:     by_value
      - .offset:         64
        .size:           8
        .value_kind:     by_value
      - .offset:         72
        .size:           8
        .value_kind:     by_value
      - .address_space:  global
        .offset:         80
        .size:           8
        .value_kind:     global_buffer
      - .offset:         88
        .size:           8
        .value_kind:     by_value
      - .offset:         96
        .size:           8
        .value_kind:     by_value
      - .offset:         104
        .size:           4
        .value_kind:     by_value
    .group_segment_fixed_size: 4096
    .kernarg_segment_align: 8
    .kernarg_segment_size: 108
    .language:       OpenCL C
    .language_version:
      - 2
      - 0
    .max_flat_workgroup_size: 256
    .name:           _ZL29rocblas_internal_gemmt_kernelIlLi16ELi32ELi8ELc67ELc84ELc76ELb1ELb0E19rocblas_complex_numIfES1_PKS1_PS1_EviT_T9_T10_S5_lS7_S5_lS6_T11_S5_li
    .private_segment_fixed_size: 0
    .sgpr_count:     41
    .sgpr_spill_count: 0
    .symbol:         _ZL29rocblas_internal_gemmt_kernelIlLi16ELi32ELi8ELc67ELc84ELc76ELb1ELb0E19rocblas_complex_numIfES1_PKS1_PS1_EviT_T9_T10_S5_lS7_S5_lS6_T11_S5_li.kd
    .uniform_work_group_size: 1
    .uses_dynamic_stack: false
    .vgpr_count:     60
    .vgpr_spill_count: 0
    .wavefront_size: 32
  - .args:
      - .offset:         0
        .size:           4
        .value_kind:     by_value
      - .offset:         8
        .size:           8
        .value_kind:     by_value
      - .offset:         16
        .size:           8
        .value_kind:     by_value
      - .address_space:  global
        .offset:         24
        .size:           8
        .value_kind:     global_buffer
      - .offset:         32
        .size:           8
        .value_kind:     by_value
      - .offset:         40
        .size:           8
        .value_kind:     by_value
      - .address_space:  global
        .offset:         48
        .size:           8
        .value_kind:     global_buffer
      - .offset:         56
        .size:           8
        .value_kind:     by_value
      - .offset:         64
        .size:           8
        .value_kind:     by_value
      - .offset:         72
        .size:           8
        .value_kind:     by_value
      - .address_space:  global
        .offset:         80
        .size:           8
        .value_kind:     global_buffer
      - .offset:         88
        .size:           8
        .value_kind:     by_value
      - .offset:         96
        .size:           8
        .value_kind:     by_value
      - .offset:         104
        .size:           4
        .value_kind:     by_value
    .group_segment_fixed_size: 4096
    .kernarg_segment_align: 8
    .kernarg_segment_size: 108
    .language:       OpenCL C
    .language_version:
      - 2
      - 0
    .max_flat_workgroup_size: 256
    .name:           _ZL29rocblas_internal_gemmt_kernelIlLi16ELi32ELi8ELc67ELc67ELc76ELb1ELb1E19rocblas_complex_numIfES1_PKS1_PS1_EviT_T9_T10_S5_lS7_S5_lS6_T11_S5_li
    .private_segment_fixed_size: 0
    .sgpr_count:     41
    .sgpr_spill_count: 0
    .symbol:         _ZL29rocblas_internal_gemmt_kernelIlLi16ELi32ELi8ELc67ELc67ELc76ELb1ELb1E19rocblas_complex_numIfES1_PKS1_PS1_EviT_T9_T10_S5_lS7_S5_lS6_T11_S5_li.kd
    .uniform_work_group_size: 1
    .uses_dynamic_stack: false
    .vgpr_count:     60
    .vgpr_spill_count: 0
    .wavefront_size: 32
  - .args:
      - .offset:         0
        .size:           4
        .value_kind:     by_value
      - .offset:         8
        .size:           8
        .value_kind:     by_value
      - .address_space:  global
        .offset:         16
        .size:           8
        .value_kind:     global_buffer
      - .address_space:  global
        .offset:         24
        .size:           8
        .value_kind:     global_buffer
      - .offset:         32
        .size:           8
        .value_kind:     by_value
      - .offset:         40
        .size:           8
        .value_kind:     by_value
      - .address_space:  global
        .offset:         48
        .size:           8
        .value_kind:     global_buffer
      - .offset:         56
        .size:           8
        .value_kind:     by_value
      - .offset:         64
        .size:           8
        .value_kind:     by_value
      - .address_space:  global
        .offset:         72
        .size:           8
        .value_kind:     global_buffer
      - .address_space:  global
        .offset:         80
        .size:           8
        .value_kind:     global_buffer
      - .offset:         88
        .size:           8
        .value_kind:     by_value
      - .offset:         96
        .size:           8
        .value_kind:     by_value
      - .offset:         104
        .size:           4
        .value_kind:     by_value
    .group_segment_fixed_size: 8192
    .kernarg_segment_align: 8
    .kernarg_segment_size: 108
    .language:       OpenCL C
    .language_version:
      - 2
      - 0
    .max_flat_workgroup_size: 256
    .name:           _ZL29rocblas_internal_gemmt_kernelIlLi16ELi32ELi8ELc78ELc78ELc85ELb0ELb0E19rocblas_complex_numIdEPKS1_S3_PS1_EviT_T9_T10_S5_lS7_S5_lS6_T11_S5_li
    .private_segment_fixed_size: 0
    .sgpr_count:     44
    .sgpr_spill_count: 0
    .symbol:         _ZL29rocblas_internal_gemmt_kernelIlLi16ELi32ELi8ELc78ELc78ELc85ELb0ELb0E19rocblas_complex_numIdEPKS1_S3_PS1_EviT_T9_T10_S5_lS7_S5_lS6_T11_S5_li.kd
    .uniform_work_group_size: 1
    .uses_dynamic_stack: false
    .vgpr_count:     68
    .vgpr_spill_count: 0
    .wavefront_size: 32
  - .args:
      - .offset:         0
        .size:           4
        .value_kind:     by_value
      - .offset:         8
        .size:           8
        .value_kind:     by_value
      - .address_space:  global
        .offset:         16
        .size:           8
        .value_kind:     global_buffer
      - .address_space:  global
        .offset:         24
        .size:           8
        .value_kind:     global_buffer
      - .offset:         32
        .size:           8
        .value_kind:     by_value
      - .offset:         40
        .size:           8
        .value_kind:     by_value
      - .address_space:  global
        .offset:         48
        .size:           8
        .value_kind:     global_buffer
      - .offset:         56
        .size:           8
        .value_kind:     by_value
      - .offset:         64
        .size:           8
        .value_kind:     by_value
      - .address_space:  global
        .offset:         72
        .size:           8
        .value_kind:     global_buffer
      - .address_space:  global
        .offset:         80
        .size:           8
        .value_kind:     global_buffer
      - .offset:         88
        .size:           8
        .value_kind:     by_value
      - .offset:         96
        .size:           8
        .value_kind:     by_value
      - .offset:         104
        .size:           4
        .value_kind:     by_value
    .group_segment_fixed_size: 8192
    .kernarg_segment_align: 8
    .kernarg_segment_size: 108
    .language:       OpenCL C
    .language_version:
      - 2
      - 0
    .max_flat_workgroup_size: 256
    .name:           _ZL29rocblas_internal_gemmt_kernelIlLi16ELi32ELi8ELc78ELc84ELc85ELb0ELb0E19rocblas_complex_numIdEPKS1_S3_PS1_EviT_T9_T10_S5_lS7_S5_lS6_T11_S5_li
    .private_segment_fixed_size: 0
    .sgpr_count:     44
    .sgpr_spill_count: 0
    .symbol:         _ZL29rocblas_internal_gemmt_kernelIlLi16ELi32ELi8ELc78ELc84ELc85ELb0ELb0E19rocblas_complex_numIdEPKS1_S3_PS1_EviT_T9_T10_S5_lS7_S5_lS6_T11_S5_li.kd
    .uniform_work_group_size: 1
    .uses_dynamic_stack: false
    .vgpr_count:     68
    .vgpr_spill_count: 0
    .wavefront_size: 32
  - .args:
      - .offset:         0
        .size:           4
        .value_kind:     by_value
      - .offset:         8
        .size:           8
        .value_kind:     by_value
      - .address_space:  global
        .offset:         16
        .size:           8
        .value_kind:     global_buffer
      - .address_space:  global
        .offset:         24
        .size:           8
        .value_kind:     global_buffer
      - .offset:         32
        .size:           8
        .value_kind:     by_value
      - .offset:         40
        .size:           8
        .value_kind:     by_value
      - .address_space:  global
        .offset:         48
        .size:           8
        .value_kind:     global_buffer
      - .offset:         56
        .size:           8
        .value_kind:     by_value
      - .offset:         64
        .size:           8
        .value_kind:     by_value
      - .address_space:  global
        .offset:         72
        .size:           8
        .value_kind:     global_buffer
      - .address_space:  global
        .offset:         80
        .size:           8
        .value_kind:     global_buffer
      - .offset:         88
        .size:           8
        .value_kind:     by_value
      - .offset:         96
        .size:           8
        .value_kind:     by_value
      - .offset:         104
        .size:           4
        .value_kind:     by_value
    .group_segment_fixed_size: 8192
    .kernarg_segment_align: 8
    .kernarg_segment_size: 108
    .language:       OpenCL C
    .language_version:
      - 2
      - 0
    .max_flat_workgroup_size: 256
    .name:           _ZL29rocblas_internal_gemmt_kernelIlLi16ELi32ELi8ELc78ELc67ELc85ELb0ELb1E19rocblas_complex_numIdEPKS1_S3_PS1_EviT_T9_T10_S5_lS7_S5_lS6_T11_S5_li
    .private_segment_fixed_size: 0
    .sgpr_count:     46
    .sgpr_spill_count: 0
    .symbol:         _ZL29rocblas_internal_gemmt_kernelIlLi16ELi32ELi8ELc78ELc67ELc85ELb0ELb1E19rocblas_complex_numIdEPKS1_S3_PS1_EviT_T9_T10_S5_lS7_S5_lS6_T11_S5_li.kd
    .uniform_work_group_size: 1
    .uses_dynamic_stack: false
    .vgpr_count:     132
    .vgpr_spill_count: 0
    .wavefront_size: 32
  - .args:
      - .offset:         0
        .size:           4
        .value_kind:     by_value
      - .offset:         8
        .size:           8
        .value_kind:     by_value
      - .address_space:  global
        .offset:         16
        .size:           8
        .value_kind:     global_buffer
      - .address_space:  global
        .offset:         24
        .size:           8
        .value_kind:     global_buffer
      - .offset:         32
        .size:           8
        .value_kind:     by_value
      - .offset:         40
        .size:           8
        .value_kind:     by_value
      - .address_space:  global
        .offset:         48
        .size:           8
        .value_kind:     global_buffer
      - .offset:         56
        .size:           8
        .value_kind:     by_value
      - .offset:         64
        .size:           8
        .value_kind:     by_value
      - .address_space:  global
        .offset:         72
        .size:           8
        .value_kind:     global_buffer
      - .address_space:  global
        .offset:         80
        .size:           8
        .value_kind:     global_buffer
      - .offset:         88
        .size:           8
        .value_kind:     by_value
      - .offset:         96
        .size:           8
        .value_kind:     by_value
      - .offset:         104
        .size:           4
        .value_kind:     by_value
    .group_segment_fixed_size: 8192
    .kernarg_segment_align: 8
    .kernarg_segment_size: 108
    .language:       OpenCL C
    .language_version:
      - 2
      - 0
    .max_flat_workgroup_size: 256
    .name:           _ZL29rocblas_internal_gemmt_kernelIlLi16ELi32ELi8ELc84ELc78ELc85ELb0ELb0E19rocblas_complex_numIdEPKS1_S3_PS1_EviT_T9_T10_S5_lS7_S5_lS6_T11_S5_li
    .private_segment_fixed_size: 0
    .sgpr_count:     43
    .sgpr_spill_count: 0
    .symbol:         _ZL29rocblas_internal_gemmt_kernelIlLi16ELi32ELi8ELc84ELc78ELc85ELb0ELb0E19rocblas_complex_numIdEPKS1_S3_PS1_EviT_T9_T10_S5_lS7_S5_lS6_T11_S5_li.kd
    .uniform_work_group_size: 1
    .uses_dynamic_stack: false
    .vgpr_count:     68
    .vgpr_spill_count: 0
    .wavefront_size: 32
  - .args:
      - .offset:         0
        .size:           4
        .value_kind:     by_value
      - .offset:         8
        .size:           8
        .value_kind:     by_value
      - .address_space:  global
        .offset:         16
        .size:           8
        .value_kind:     global_buffer
      - .address_space:  global
        .offset:         24
        .size:           8
        .value_kind:     global_buffer
      - .offset:         32
        .size:           8
        .value_kind:     by_value
      - .offset:         40
        .size:           8
        .value_kind:     by_value
      - .address_space:  global
        .offset:         48
        .size:           8
        .value_kind:     global_buffer
      - .offset:         56
        .size:           8
        .value_kind:     by_value
      - .offset:         64
        .size:           8
        .value_kind:     by_value
      - .address_space:  global
        .offset:         72
        .size:           8
        .value_kind:     global_buffer
      - .address_space:  global
        .offset:         80
        .size:           8
        .value_kind:     global_buffer
      - .offset:         88
        .size:           8
        .value_kind:     by_value
      - .offset:         96
        .size:           8
        .value_kind:     by_value
      - .offset:         104
        .size:           4
        .value_kind:     by_value
    .group_segment_fixed_size: 8192
    .kernarg_segment_align: 8
    .kernarg_segment_size: 108
    .language:       OpenCL C
    .language_version:
      - 2
      - 0
    .max_flat_workgroup_size: 256
    .name:           _ZL29rocblas_internal_gemmt_kernelIlLi16ELi32ELi8ELc84ELc84ELc85ELb0ELb0E19rocblas_complex_numIdEPKS1_S3_PS1_EviT_T9_T10_S5_lS7_S5_lS6_T11_S5_li
    .private_segment_fixed_size: 0
    .sgpr_count:     44
    .sgpr_spill_count: 0
    .symbol:         _ZL29rocblas_internal_gemmt_kernelIlLi16ELi32ELi8ELc84ELc84ELc85ELb0ELb0E19rocblas_complex_numIdEPKS1_S3_PS1_EviT_T9_T10_S5_lS7_S5_lS6_T11_S5_li.kd
    .uniform_work_group_size: 1
    .uses_dynamic_stack: false
    .vgpr_count:     68
    .vgpr_spill_count: 0
    .wavefront_size: 32
  - .args:
      - .offset:         0
        .size:           4
        .value_kind:     by_value
      - .offset:         8
        .size:           8
        .value_kind:     by_value
      - .address_space:  global
        .offset:         16
        .size:           8
        .value_kind:     global_buffer
      - .address_space:  global
        .offset:         24
        .size:           8
        .value_kind:     global_buffer
      - .offset:         32
        .size:           8
        .value_kind:     by_value
      - .offset:         40
        .size:           8
        .value_kind:     by_value
      - .address_space:  global
        .offset:         48
        .size:           8
        .value_kind:     global_buffer
      - .offset:         56
        .size:           8
        .value_kind:     by_value
      - .offset:         64
        .size:           8
        .value_kind:     by_value
      - .address_space:  global
        .offset:         72
        .size:           8
        .value_kind:     global_buffer
      - .address_space:  global
        .offset:         80
        .size:           8
        .value_kind:     global_buffer
      - .offset:         88
        .size:           8
        .value_kind:     by_value
      - .offset:         96
        .size:           8
        .value_kind:     by_value
      - .offset:         104
        .size:           4
        .value_kind:     by_value
    .group_segment_fixed_size: 8192
    .kernarg_segment_align: 8
    .kernarg_segment_size: 108
    .language:       OpenCL C
    .language_version:
      - 2
      - 0
    .max_flat_workgroup_size: 256
    .name:           _ZL29rocblas_internal_gemmt_kernelIlLi16ELi32ELi8ELc84ELc67ELc85ELb0ELb1E19rocblas_complex_numIdEPKS1_S3_PS1_EviT_T9_T10_S5_lS7_S5_lS6_T11_S5_li
    .private_segment_fixed_size: 0
    .sgpr_count:     46
    .sgpr_spill_count: 0
    .symbol:         _ZL29rocblas_internal_gemmt_kernelIlLi16ELi32ELi8ELc84ELc67ELc85ELb0ELb1E19rocblas_complex_numIdEPKS1_S3_PS1_EviT_T9_T10_S5_lS7_S5_lS6_T11_S5_li.kd
    .uniform_work_group_size: 1
    .uses_dynamic_stack: false
    .vgpr_count:     132
    .vgpr_spill_count: 0
    .wavefront_size: 32
  - .args:
      - .offset:         0
        .size:           4
        .value_kind:     by_value
      - .offset:         8
        .size:           8
        .value_kind:     by_value
      - .address_space:  global
        .offset:         16
        .size:           8
        .value_kind:     global_buffer
      - .address_space:  global
        .offset:         24
        .size:           8
        .value_kind:     global_buffer
      - .offset:         32
        .size:           8
        .value_kind:     by_value
      - .offset:         40
        .size:           8
        .value_kind:     by_value
      - .address_space:  global
        .offset:         48
        .size:           8
        .value_kind:     global_buffer
      - .offset:         56
        .size:           8
        .value_kind:     by_value
      - .offset:         64
        .size:           8
        .value_kind:     by_value
      - .address_space:  global
        .offset:         72
        .size:           8
        .value_kind:     global_buffer
      - .address_space:  global
        .offset:         80
        .size:           8
        .value_kind:     global_buffer
      - .offset:         88
        .size:           8
        .value_kind:     by_value
      - .offset:         96
        .size:           8
        .value_kind:     by_value
      - .offset:         104
        .size:           4
        .value_kind:     by_value
    .group_segment_fixed_size: 8192
    .kernarg_segment_align: 8
    .kernarg_segment_size: 108
    .language:       OpenCL C
    .language_version:
      - 2
      - 0
    .max_flat_workgroup_size: 256
    .name:           _ZL29rocblas_internal_gemmt_kernelIlLi16ELi32ELi8ELc67ELc78ELc85ELb1ELb0E19rocblas_complex_numIdEPKS1_S3_PS1_EviT_T9_T10_S5_lS7_S5_lS6_T11_S5_li
    .private_segment_fixed_size: 0
    .sgpr_count:     43
    .sgpr_spill_count: 0
    .symbol:         _ZL29rocblas_internal_gemmt_kernelIlLi16ELi32ELi8ELc67ELc78ELc85ELb1ELb0E19rocblas_complex_numIdEPKS1_S3_PS1_EviT_T9_T10_S5_lS7_S5_lS6_T11_S5_li.kd
    .uniform_work_group_size: 1
    .uses_dynamic_stack: false
    .vgpr_count:     130
    .vgpr_spill_count: 0
    .wavefront_size: 32
  - .args:
      - .offset:         0
        .size:           4
        .value_kind:     by_value
      - .offset:         8
        .size:           8
        .value_kind:     by_value
      - .address_space:  global
        .offset:         16
        .size:           8
        .value_kind:     global_buffer
      - .address_space:  global
        .offset:         24
        .size:           8
        .value_kind:     global_buffer
      - .offset:         32
        .size:           8
        .value_kind:     by_value
      - .offset:         40
        .size:           8
        .value_kind:     by_value
      - .address_space:  global
        .offset:         48
        .size:           8
        .value_kind:     global_buffer
      - .offset:         56
        .size:           8
        .value_kind:     by_value
      - .offset:         64
        .size:           8
        .value_kind:     by_value
      - .address_space:  global
        .offset:         72
        .size:           8
        .value_kind:     global_buffer
      - .address_space:  global
        .offset:         80
        .size:           8
        .value_kind:     global_buffer
      - .offset:         88
        .size:           8
        .value_kind:     by_value
      - .offset:         96
        .size:           8
        .value_kind:     by_value
      - .offset:         104
        .size:           4
        .value_kind:     by_value
    .group_segment_fixed_size: 8192
    .kernarg_segment_align: 8
    .kernarg_segment_size: 108
    .language:       OpenCL C
    .language_version:
      - 2
      - 0
    .max_flat_workgroup_size: 256
    .name:           _ZL29rocblas_internal_gemmt_kernelIlLi16ELi32ELi8ELc67ELc84ELc85ELb1ELb0E19rocblas_complex_numIdEPKS1_S3_PS1_EviT_T9_T10_S5_lS7_S5_lS6_T11_S5_li
    .private_segment_fixed_size: 0
    .sgpr_count:     43
    .sgpr_spill_count: 0
    .symbol:         _ZL29rocblas_internal_gemmt_kernelIlLi16ELi32ELi8ELc67ELc84ELc85ELb1ELb0E19rocblas_complex_numIdEPKS1_S3_PS1_EviT_T9_T10_S5_lS7_S5_lS6_T11_S5_li.kd
    .uniform_work_group_size: 1
    .uses_dynamic_stack: false
    .vgpr_count:     130
    .vgpr_spill_count: 0
    .wavefront_size: 32
  - .args:
      - .offset:         0
        .size:           4
        .value_kind:     by_value
      - .offset:         8
        .size:           8
        .value_kind:     by_value
      - .address_space:  global
        .offset:         16
        .size:           8
        .value_kind:     global_buffer
      - .address_space:  global
        .offset:         24
        .size:           8
        .value_kind:     global_buffer
      - .offset:         32
        .size:           8
        .value_kind:     by_value
      - .offset:         40
        .size:           8
        .value_kind:     by_value
      - .address_space:  global
        .offset:         48
        .size:           8
        .value_kind:     global_buffer
      - .offset:         56
        .size:           8
        .value_kind:     by_value
      - .offset:         64
        .size:           8
        .value_kind:     by_value
      - .address_space:  global
        .offset:         72
        .size:           8
        .value_kind:     global_buffer
      - .address_space:  global
        .offset:         80
        .size:           8
        .value_kind:     global_buffer
      - .offset:         88
        .size:           8
        .value_kind:     by_value
      - .offset:         96
        .size:           8
        .value_kind:     by_value
      - .offset:         104
        .size:           4
        .value_kind:     by_value
    .group_segment_fixed_size: 8192
    .kernarg_segment_align: 8
    .kernarg_segment_size: 108
    .language:       OpenCL C
    .language_version:
      - 2
      - 0
    .max_flat_workgroup_size: 256
    .name:           _ZL29rocblas_internal_gemmt_kernelIlLi16ELi32ELi8ELc67ELc67ELc85ELb1ELb1E19rocblas_complex_numIdEPKS1_S3_PS1_EviT_T9_T10_S5_lS7_S5_lS6_T11_S5_li
    .private_segment_fixed_size: 0
    .sgpr_count:     46
    .sgpr_spill_count: 0
    .symbol:         _ZL29rocblas_internal_gemmt_kernelIlLi16ELi32ELi8ELc67ELc67ELc85ELb1ELb1E19rocblas_complex_numIdEPKS1_S3_PS1_EviT_T9_T10_S5_lS7_S5_lS6_T11_S5_li.kd
    .uniform_work_group_size: 1
    .uses_dynamic_stack: false
    .vgpr_count:     130
    .vgpr_spill_count: 0
    .wavefront_size: 32
  - .args:
      - .offset:         0
        .size:           4
        .value_kind:     by_value
      - .offset:         8
        .size:           8
        .value_kind:     by_value
      - .address_space:  global
        .offset:         16
        .size:           8
        .value_kind:     global_buffer
      - .address_space:  global
        .offset:         24
        .size:           8
        .value_kind:     global_buffer
      - .offset:         32
        .size:           8
        .value_kind:     by_value
      - .offset:         40
        .size:           8
        .value_kind:     by_value
      - .address_space:  global
        .offset:         48
        .size:           8
        .value_kind:     global_buffer
      - .offset:         56
        .size:           8
        .value_kind:     by_value
      - .offset:         64
        .size:           8
        .value_kind:     by_value
      - .address_space:  global
        .offset:         72
        .size:           8
        .value_kind:     global_buffer
      - .address_space:  global
        .offset:         80
        .size:           8
        .value_kind:     global_buffer
      - .offset:         88
        .size:           8
        .value_kind:     by_value
      - .offset:         96
        .size:           8
        .value_kind:     by_value
      - .offset:         104
        .size:           4
        .value_kind:     by_value
    .group_segment_fixed_size: 8192
    .kernarg_segment_align: 8
    .kernarg_segment_size: 108
    .language:       OpenCL C
    .language_version:
      - 2
      - 0
    .max_flat_workgroup_size: 256
    .name:           _ZL29rocblas_internal_gemmt_kernelIlLi16ELi32ELi8ELc78ELc78ELc76ELb0ELb0E19rocblas_complex_numIdEPKS1_S3_PS1_EviT_T9_T10_S5_lS7_S5_lS6_T11_S5_li
    .private_segment_fixed_size: 0
    .sgpr_count:     46
    .sgpr_spill_count: 0
    .symbol:         _ZL29rocblas_internal_gemmt_kernelIlLi16ELi32ELi8ELc78ELc78ELc76ELb0ELb0E19rocblas_complex_numIdEPKS1_S3_PS1_EviT_T9_T10_S5_lS7_S5_lS6_T11_S5_li.kd
    .uniform_work_group_size: 1
    .uses_dynamic_stack: false
    .vgpr_count:     68
    .vgpr_spill_count: 0
    .wavefront_size: 32
  - .args:
      - .offset:         0
        .size:           4
        .value_kind:     by_value
      - .offset:         8
        .size:           8
        .value_kind:     by_value
      - .address_space:  global
        .offset:         16
        .size:           8
        .value_kind:     global_buffer
      - .address_space:  global
        .offset:         24
        .size:           8
        .value_kind:     global_buffer
      - .offset:         32
        .size:           8
        .value_kind:     by_value
      - .offset:         40
        .size:           8
        .value_kind:     by_value
      - .address_space:  global
        .offset:         48
        .size:           8
        .value_kind:     global_buffer
      - .offset:         56
        .size:           8
        .value_kind:     by_value
      - .offset:         64
        .size:           8
        .value_kind:     by_value
      - .address_space:  global
        .offset:         72
        .size:           8
        .value_kind:     global_buffer
      - .address_space:  global
        .offset:         80
        .size:           8
        .value_kind:     global_buffer
      - .offset:         88
        .size:           8
        .value_kind:     by_value
      - .offset:         96
        .size:           8
        .value_kind:     by_value
      - .offset:         104
        .size:           4
        .value_kind:     by_value
    .group_segment_fixed_size: 8192
    .kernarg_segment_align: 8
    .kernarg_segment_size: 108
    .language:       OpenCL C
    .language_version:
      - 2
      - 0
    .max_flat_workgroup_size: 256
    .name:           _ZL29rocblas_internal_gemmt_kernelIlLi16ELi32ELi8ELc78ELc84ELc76ELb0ELb0E19rocblas_complex_numIdEPKS1_S3_PS1_EviT_T9_T10_S5_lS7_S5_lS6_T11_S5_li
    .private_segment_fixed_size: 0
    .sgpr_count:     46
    .sgpr_spill_count: 0
    .symbol:         _ZL29rocblas_internal_gemmt_kernelIlLi16ELi32ELi8ELc78ELc84ELc76ELb0ELb0E19rocblas_complex_numIdEPKS1_S3_PS1_EviT_T9_T10_S5_lS7_S5_lS6_T11_S5_li.kd
    .uniform_work_group_size: 1
    .uses_dynamic_stack: false
    .vgpr_count:     68
    .vgpr_spill_count: 0
    .wavefront_size: 32
  - .args:
      - .offset:         0
        .size:           4
        .value_kind:     by_value
      - .offset:         8
        .size:           8
        .value_kind:     by_value
      - .address_space:  global
        .offset:         16
        .size:           8
        .value_kind:     global_buffer
      - .address_space:  global
        .offset:         24
        .size:           8
        .value_kind:     global_buffer
      - .offset:         32
        .size:           8
        .value_kind:     by_value
      - .offset:         40
        .size:           8
        .value_kind:     by_value
      - .address_space:  global
        .offset:         48
        .size:           8
        .value_kind:     global_buffer
      - .offset:         56
        .size:           8
        .value_kind:     by_value
      - .offset:         64
        .size:           8
        .value_kind:     by_value
      - .address_space:  global
        .offset:         72
        .size:           8
        .value_kind:     global_buffer
      - .address_space:  global
        .offset:         80
        .size:           8
        .value_kind:     global_buffer
      - .offset:         88
        .size:           8
        .value_kind:     by_value
      - .offset:         96
        .size:           8
        .value_kind:     by_value
      - .offset:         104
        .size:           4
        .value_kind:     by_value
    .group_segment_fixed_size: 8192
    .kernarg_segment_align: 8
    .kernarg_segment_size: 108
    .language:       OpenCL C
    .language_version:
      - 2
      - 0
    .max_flat_workgroup_size: 256
    .name:           _ZL29rocblas_internal_gemmt_kernelIlLi16ELi32ELi8ELc78ELc67ELc76ELb0ELb1E19rocblas_complex_numIdEPKS1_S3_PS1_EviT_T9_T10_S5_lS7_S5_lS6_T11_S5_li
    .private_segment_fixed_size: 0
    .sgpr_count:     46
    .sgpr_spill_count: 0
    .symbol:         _ZL29rocblas_internal_gemmt_kernelIlLi16ELi32ELi8ELc78ELc67ELc76ELb0ELb1E19rocblas_complex_numIdEPKS1_S3_PS1_EviT_T9_T10_S5_lS7_S5_lS6_T11_S5_li.kd
    .uniform_work_group_size: 1
    .uses_dynamic_stack: false
    .vgpr_count:     132
    .vgpr_spill_count: 0
    .wavefront_size: 32
  - .args:
      - .offset:         0
        .size:           4
        .value_kind:     by_value
      - .offset:         8
        .size:           8
        .value_kind:     by_value
      - .address_space:  global
        .offset:         16
        .size:           8
        .value_kind:     global_buffer
      - .address_space:  global
        .offset:         24
        .size:           8
        .value_kind:     global_buffer
      - .offset:         32
        .size:           8
        .value_kind:     by_value
      - .offset:         40
        .size:           8
        .value_kind:     by_value
      - .address_space:  global
        .offset:         48
        .size:           8
        .value_kind:     global_buffer
      - .offset:         56
        .size:           8
        .value_kind:     by_value
      - .offset:         64
        .size:           8
        .value_kind:     by_value
      - .address_space:  global
        .offset:         72
        .size:           8
        .value_kind:     global_buffer
      - .address_space:  global
        .offset:         80
        .size:           8
        .value_kind:     global_buffer
      - .offset:         88
        .size:           8
        .value_kind:     by_value
      - .offset:         96
        .size:           8
        .value_kind:     by_value
      - .offset:         104
        .size:           4
        .value_kind:     by_value
    .group_segment_fixed_size: 8192
    .kernarg_segment_align: 8
    .kernarg_segment_size: 108
    .language:       OpenCL C
    .language_version:
      - 2
      - 0
    .max_flat_workgroup_size: 256
    .name:           _ZL29rocblas_internal_gemmt_kernelIlLi16ELi32ELi8ELc84ELc78ELc76ELb0ELb0E19rocblas_complex_numIdEPKS1_S3_PS1_EviT_T9_T10_S5_lS7_S5_lS6_T11_S5_li
    .private_segment_fixed_size: 0
    .sgpr_count:     46
    .sgpr_spill_count: 0
    .symbol:         _ZL29rocblas_internal_gemmt_kernelIlLi16ELi32ELi8ELc84ELc78ELc76ELb0ELb0E19rocblas_complex_numIdEPKS1_S3_PS1_EviT_T9_T10_S5_lS7_S5_lS6_T11_S5_li.kd
    .uniform_work_group_size: 1
    .uses_dynamic_stack: false
    .vgpr_count:     68
    .vgpr_spill_count: 0
    .wavefront_size: 32
  - .args:
      - .offset:         0
        .size:           4
        .value_kind:     by_value
      - .offset:         8
        .size:           8
        .value_kind:     by_value
      - .address_space:  global
        .offset:         16
        .size:           8
        .value_kind:     global_buffer
      - .address_space:  global
        .offset:         24
        .size:           8
        .value_kind:     global_buffer
      - .offset:         32
        .size:           8
        .value_kind:     by_value
      - .offset:         40
        .size:           8
        .value_kind:     by_value
      - .address_space:  global
        .offset:         48
        .size:           8
        .value_kind:     global_buffer
      - .offset:         56
        .size:           8
        .value_kind:     by_value
      - .offset:         64
        .size:           8
        .value_kind:     by_value
      - .address_space:  global
        .offset:         72
        .size:           8
        .value_kind:     global_buffer
      - .address_space:  global
        .offset:         80
        .size:           8
        .value_kind:     global_buffer
      - .offset:         88
        .size:           8
        .value_kind:     by_value
      - .offset:         96
        .size:           8
        .value_kind:     by_value
      - .offset:         104
        .size:           4
        .value_kind:     by_value
    .group_segment_fixed_size: 8192
    .kernarg_segment_align: 8
    .kernarg_segment_size: 108
    .language:       OpenCL C
    .language_version:
      - 2
      - 0
    .max_flat_workgroup_size: 256
    .name:           _ZL29rocblas_internal_gemmt_kernelIlLi16ELi32ELi8ELc84ELc84ELc76ELb0ELb0E19rocblas_complex_numIdEPKS1_S3_PS1_EviT_T9_T10_S5_lS7_S5_lS6_T11_S5_li
    .private_segment_fixed_size: 0
    .sgpr_count:     46
    .sgpr_spill_count: 0
    .symbol:         _ZL29rocblas_internal_gemmt_kernelIlLi16ELi32ELi8ELc84ELc84ELc76ELb0ELb0E19rocblas_complex_numIdEPKS1_S3_PS1_EviT_T9_T10_S5_lS7_S5_lS6_T11_S5_li.kd
    .uniform_work_group_size: 1
    .uses_dynamic_stack: false
    .vgpr_count:     68
    .vgpr_spill_count: 0
    .wavefront_size: 32
  - .args:
      - .offset:         0
        .size:           4
        .value_kind:     by_value
      - .offset:         8
        .size:           8
        .value_kind:     by_value
      - .address_space:  global
        .offset:         16
        .size:           8
        .value_kind:     global_buffer
      - .address_space:  global
        .offset:         24
        .size:           8
        .value_kind:     global_buffer
      - .offset:         32
        .size:           8
        .value_kind:     by_value
      - .offset:         40
        .size:           8
        .value_kind:     by_value
      - .address_space:  global
        .offset:         48
        .size:           8
        .value_kind:     global_buffer
      - .offset:         56
        .size:           8
        .value_kind:     by_value
      - .offset:         64
        .size:           8
        .value_kind:     by_value
      - .address_space:  global
        .offset:         72
        .size:           8
        .value_kind:     global_buffer
      - .address_space:  global
        .offset:         80
        .size:           8
        .value_kind:     global_buffer
      - .offset:         88
        .size:           8
        .value_kind:     by_value
      - .offset:         96
        .size:           8
        .value_kind:     by_value
      - .offset:         104
        .size:           4
        .value_kind:     by_value
    .group_segment_fixed_size: 8192
    .kernarg_segment_align: 8
    .kernarg_segment_size: 108
    .language:       OpenCL C
    .language_version:
      - 2
      - 0
    .max_flat_workgroup_size: 256
    .name:           _ZL29rocblas_internal_gemmt_kernelIlLi16ELi32ELi8ELc84ELc67ELc76ELb0ELb1E19rocblas_complex_numIdEPKS1_S3_PS1_EviT_T9_T10_S5_lS7_S5_lS6_T11_S5_li
    .private_segment_fixed_size: 0
    .sgpr_count:     46
    .sgpr_spill_count: 0
    .symbol:         _ZL29rocblas_internal_gemmt_kernelIlLi16ELi32ELi8ELc84ELc67ELc76ELb0ELb1E19rocblas_complex_numIdEPKS1_S3_PS1_EviT_T9_T10_S5_lS7_S5_lS6_T11_S5_li.kd
    .uniform_work_group_size: 1
    .uses_dynamic_stack: false
    .vgpr_count:     132
    .vgpr_spill_count: 0
    .wavefront_size: 32
  - .args:
      - .offset:         0
        .size:           4
        .value_kind:     by_value
      - .offset:         8
        .size:           8
        .value_kind:     by_value
      - .address_space:  global
        .offset:         16
        .size:           8
        .value_kind:     global_buffer
      - .address_space:  global
        .offset:         24
        .size:           8
        .value_kind:     global_buffer
      - .offset:         32
        .size:           8
        .value_kind:     by_value
      - .offset:         40
        .size:           8
        .value_kind:     by_value
      - .address_space:  global
        .offset:         48
        .size:           8
        .value_kind:     global_buffer
      - .offset:         56
        .size:           8
        .value_kind:     by_value
      - .offset:         64
        .size:           8
        .value_kind:     by_value
      - .address_space:  global
        .offset:         72
        .size:           8
        .value_kind:     global_buffer
      - .address_space:  global
        .offset:         80
        .size:           8
        .value_kind:     global_buffer
      - .offset:         88
        .size:           8
        .value_kind:     by_value
      - .offset:         96
        .size:           8
        .value_kind:     by_value
      - .offset:         104
        .size:           4
        .value_kind:     by_value
    .group_segment_fixed_size: 8192
    .kernarg_segment_align: 8
    .kernarg_segment_size: 108
    .language:       OpenCL C
    .language_version:
      - 2
      - 0
    .max_flat_workgroup_size: 256
    .name:           _ZL29rocblas_internal_gemmt_kernelIlLi16ELi32ELi8ELc67ELc78ELc76ELb1ELb0E19rocblas_complex_numIdEPKS1_S3_PS1_EviT_T9_T10_S5_lS7_S5_lS6_T11_S5_li
    .private_segment_fixed_size: 0
    .sgpr_count:     46
    .sgpr_spill_count: 0
    .symbol:         _ZL29rocblas_internal_gemmt_kernelIlLi16ELi32ELi8ELc67ELc78ELc76ELb1ELb0E19rocblas_complex_numIdEPKS1_S3_PS1_EviT_T9_T10_S5_lS7_S5_lS6_T11_S5_li.kd
    .uniform_work_group_size: 1
    .uses_dynamic_stack: false
    .vgpr_count:     130
    .vgpr_spill_count: 0
    .wavefront_size: 32
  - .args:
      - .offset:         0
        .size:           4
        .value_kind:     by_value
      - .offset:         8
        .size:           8
        .value_kind:     by_value
      - .address_space:  global
        .offset:         16
        .size:           8
        .value_kind:     global_buffer
      - .address_space:  global
        .offset:         24
        .size:           8
        .value_kind:     global_buffer
      - .offset:         32
        .size:           8
        .value_kind:     by_value
      - .offset:         40
        .size:           8
        .value_kind:     by_value
      - .address_space:  global
        .offset:         48
        .size:           8
        .value_kind:     global_buffer
      - .offset:         56
        .size:           8
        .value_kind:     by_value
      - .offset:         64
        .size:           8
        .value_kind:     by_value
      - .address_space:  global
        .offset:         72
        .size:           8
        .value_kind:     global_buffer
      - .address_space:  global
        .offset:         80
        .size:           8
        .value_kind:     global_buffer
      - .offset:         88
        .size:           8
        .value_kind:     by_value
      - .offset:         96
        .size:           8
        .value_kind:     by_value
      - .offset:         104
        .size:           4
        .value_kind:     by_value
    .group_segment_fixed_size: 8192
    .kernarg_segment_align: 8
    .kernarg_segment_size: 108
    .language:       OpenCL C
    .language_version:
      - 2
      - 0
    .max_flat_workgroup_size: 256
    .name:           _ZL29rocblas_internal_gemmt_kernelIlLi16ELi32ELi8ELc67ELc84ELc76ELb1ELb0E19rocblas_complex_numIdEPKS1_S3_PS1_EviT_T9_T10_S5_lS7_S5_lS6_T11_S5_li
    .private_segment_fixed_size: 0
    .sgpr_count:     46
    .sgpr_spill_count: 0
    .symbol:         _ZL29rocblas_internal_gemmt_kernelIlLi16ELi32ELi8ELc67ELc84ELc76ELb1ELb0E19rocblas_complex_numIdEPKS1_S3_PS1_EviT_T9_T10_S5_lS7_S5_lS6_T11_S5_li.kd
    .uniform_work_group_size: 1
    .uses_dynamic_stack: false
    .vgpr_count:     130
    .vgpr_spill_count: 0
    .wavefront_size: 32
  - .args:
      - .offset:         0
        .size:           4
        .value_kind:     by_value
      - .offset:         8
        .size:           8
        .value_kind:     by_value
      - .address_space:  global
        .offset:         16
        .size:           8
        .value_kind:     global_buffer
      - .address_space:  global
        .offset:         24
        .size:           8
        .value_kind:     global_buffer
      - .offset:         32
        .size:           8
        .value_kind:     by_value
      - .offset:         40
        .size:           8
        .value_kind:     by_value
      - .address_space:  global
        .offset:         48
        .size:           8
        .value_kind:     global_buffer
      - .offset:         56
        .size:           8
        .value_kind:     by_value
      - .offset:         64
        .size:           8
        .value_kind:     by_value
      - .address_space:  global
        .offset:         72
        .size:           8
        .value_kind:     global_buffer
      - .address_space:  global
        .offset:         80
        .size:           8
        .value_kind:     global_buffer
      - .offset:         88
        .size:           8
        .value_kind:     by_value
      - .offset:         96
        .size:           8
        .value_kind:     by_value
      - .offset:         104
        .size:           4
        .value_kind:     by_value
    .group_segment_fixed_size: 8192
    .kernarg_segment_align: 8
    .kernarg_segment_size: 108
    .language:       OpenCL C
    .language_version:
      - 2
      - 0
    .max_flat_workgroup_size: 256
    .name:           _ZL29rocblas_internal_gemmt_kernelIlLi16ELi32ELi8ELc67ELc67ELc76ELb1ELb1E19rocblas_complex_numIdEPKS1_S3_PS1_EviT_T9_T10_S5_lS7_S5_lS6_T11_S5_li
    .private_segment_fixed_size: 0
    .sgpr_count:     46
    .sgpr_spill_count: 0
    .symbol:         _ZL29rocblas_internal_gemmt_kernelIlLi16ELi32ELi8ELc67ELc67ELc76ELb1ELb1E19rocblas_complex_numIdEPKS1_S3_PS1_EviT_T9_T10_S5_lS7_S5_lS6_T11_S5_li.kd
    .uniform_work_group_size: 1
    .uses_dynamic_stack: false
    .vgpr_count:     130
    .vgpr_spill_count: 0
    .wavefront_size: 32
  - .args:
      - .offset:         0
        .size:           4
        .value_kind:     by_value
      - .offset:         8
        .size:           8
        .value_kind:     by_value
      - .offset:         16
        .size:           16
        .value_kind:     by_value
      - .address_space:  global
        .offset:         32
        .size:           8
        .value_kind:     global_buffer
      - .offset:         40
        .size:           8
        .value_kind:     by_value
      - .offset:         48
        .size:           8
        .value_kind:     by_value
      - .address_space:  global
        .offset:         56
        .size:           8
        .value_kind:     global_buffer
      - .offset:         64
        .size:           8
        .value_kind:     by_value
      - .offset:         72
        .size:           8
        .value_kind:     by_value
      - .offset:         80
        .size:           16
        .value_kind:     by_value
      - .address_space:  global
        .offset:         96
        .size:           8
        .value_kind:     global_buffer
      - .offset:         104
        .size:           8
        .value_kind:     by_value
      - .offset:         112
        .size:           8
        .value_kind:     by_value
      - .offset:         120
        .size:           4
        .value_kind:     by_value
    .group_segment_fixed_size: 8192
    .kernarg_segment_align: 8
    .kernarg_segment_size: 124
    .language:       OpenCL C
    .language_version:
      - 2
      - 0
    .max_flat_workgroup_size: 256
    .name:           _ZL29rocblas_internal_gemmt_kernelIlLi16ELi32ELi8ELc78ELc78ELc85ELb0ELb0E19rocblas_complex_numIdES1_PKS1_PS1_EviT_T9_T10_S5_lS7_S5_lS6_T11_S5_li
    .private_segment_fixed_size: 0
    .sgpr_count:     44
    .sgpr_spill_count: 0
    .symbol:         _ZL29rocblas_internal_gemmt_kernelIlLi16ELi32ELi8ELc78ELc78ELc85ELb0ELb0E19rocblas_complex_numIdES1_PKS1_PS1_EviT_T9_T10_S5_lS7_S5_lS6_T11_S5_li.kd
    .uniform_work_group_size: 1
    .uses_dynamic_stack: false
    .vgpr_count:     68
    .vgpr_spill_count: 0
    .wavefront_size: 32
  - .args:
      - .offset:         0
        .size:           4
        .value_kind:     by_value
      - .offset:         8
        .size:           8
        .value_kind:     by_value
      - .offset:         16
        .size:           16
        .value_kind:     by_value
      - .address_space:  global
        .offset:         32
        .size:           8
        .value_kind:     global_buffer
      - .offset:         40
        .size:           8
        .value_kind:     by_value
      - .offset:         48
        .size:           8
        .value_kind:     by_value
      - .address_space:  global
        .offset:         56
        .size:           8
        .value_kind:     global_buffer
      - .offset:         64
        .size:           8
        .value_kind:     by_value
      - .offset:         72
        .size:           8
        .value_kind:     by_value
      - .offset:         80
        .size:           16
        .value_kind:     by_value
      - .address_space:  global
        .offset:         96
        .size:           8
        .value_kind:     global_buffer
      - .offset:         104
        .size:           8
        .value_kind:     by_value
      - .offset:         112
        .size:           8
        .value_kind:     by_value
      - .offset:         120
        .size:           4
        .value_kind:     by_value
    .group_segment_fixed_size: 8192
    .kernarg_segment_align: 8
    .kernarg_segment_size: 124
    .language:       OpenCL C
    .language_version:
      - 2
      - 0
    .max_flat_workgroup_size: 256
    .name:           _ZL29rocblas_internal_gemmt_kernelIlLi16ELi32ELi8ELc78ELc84ELc85ELb0ELb0E19rocblas_complex_numIdES1_PKS1_PS1_EviT_T9_T10_S5_lS7_S5_lS6_T11_S5_li
    .private_segment_fixed_size: 0
    .sgpr_count:     44
    .sgpr_spill_count: 0
    .symbol:         _ZL29rocblas_internal_gemmt_kernelIlLi16ELi32ELi8ELc78ELc84ELc85ELb0ELb0E19rocblas_complex_numIdES1_PKS1_PS1_EviT_T9_T10_S5_lS7_S5_lS6_T11_S5_li.kd
    .uniform_work_group_size: 1
    .uses_dynamic_stack: false
    .vgpr_count:     68
    .vgpr_spill_count: 0
    .wavefront_size: 32
  - .args:
      - .offset:         0
        .size:           4
        .value_kind:     by_value
      - .offset:         8
        .size:           8
        .value_kind:     by_value
      - .offset:         16
        .size:           16
        .value_kind:     by_value
      - .address_space:  global
        .offset:         32
        .size:           8
        .value_kind:     global_buffer
      - .offset:         40
        .size:           8
        .value_kind:     by_value
      - .offset:         48
        .size:           8
        .value_kind:     by_value
      - .address_space:  global
        .offset:         56
        .size:           8
        .value_kind:     global_buffer
      - .offset:         64
        .size:           8
        .value_kind:     by_value
      - .offset:         72
        .size:           8
        .value_kind:     by_value
      - .offset:         80
        .size:           16
        .value_kind:     by_value
      - .address_space:  global
        .offset:         96
        .size:           8
        .value_kind:     global_buffer
      - .offset:         104
        .size:           8
        .value_kind:     by_value
      - .offset:         112
        .size:           8
        .value_kind:     by_value
      - .offset:         120
        .size:           4
        .value_kind:     by_value
    .group_segment_fixed_size: 8192
    .kernarg_segment_align: 8
    .kernarg_segment_size: 124
    .language:       OpenCL C
    .language_version:
      - 2
      - 0
    .max_flat_workgroup_size: 256
    .name:           _ZL29rocblas_internal_gemmt_kernelIlLi16ELi32ELi8ELc78ELc67ELc85ELb0ELb1E19rocblas_complex_numIdES1_PKS1_PS1_EviT_T9_T10_S5_lS7_S5_lS6_T11_S5_li
    .private_segment_fixed_size: 0
    .sgpr_count:     44
    .sgpr_spill_count: 0
    .symbol:         _ZL29rocblas_internal_gemmt_kernelIlLi16ELi32ELi8ELc78ELc67ELc85ELb0ELb1E19rocblas_complex_numIdES1_PKS1_PS1_EviT_T9_T10_S5_lS7_S5_lS6_T11_S5_li.kd
    .uniform_work_group_size: 1
    .uses_dynamic_stack: false
    .vgpr_count:     132
    .vgpr_spill_count: 0
    .wavefront_size: 32
  - .args:
      - .offset:         0
        .size:           4
        .value_kind:     by_value
      - .offset:         8
        .size:           8
        .value_kind:     by_value
      - .offset:         16
        .size:           16
        .value_kind:     by_value
      - .address_space:  global
        .offset:         32
        .size:           8
        .value_kind:     global_buffer
      - .offset:         40
        .size:           8
        .value_kind:     by_value
      - .offset:         48
        .size:           8
        .value_kind:     by_value
      - .address_space:  global
        .offset:         56
        .size:           8
        .value_kind:     global_buffer
      - .offset:         64
        .size:           8
        .value_kind:     by_value
      - .offset:         72
        .size:           8
        .value_kind:     by_value
      - .offset:         80
        .size:           16
        .value_kind:     by_value
      - .address_space:  global
        .offset:         96
        .size:           8
        .value_kind:     global_buffer
      - .offset:         104
        .size:           8
        .value_kind:     by_value
      - .offset:         112
        .size:           8
        .value_kind:     by_value
      - .offset:         120
        .size:           4
        .value_kind:     by_value
    .group_segment_fixed_size: 8192
    .kernarg_segment_align: 8
    .kernarg_segment_size: 124
    .language:       OpenCL C
    .language_version:
      - 2
      - 0
    .max_flat_workgroup_size: 256
    .name:           _ZL29rocblas_internal_gemmt_kernelIlLi16ELi32ELi8ELc84ELc78ELc85ELb0ELb0E19rocblas_complex_numIdES1_PKS1_PS1_EviT_T9_T10_S5_lS7_S5_lS6_T11_S5_li
    .private_segment_fixed_size: 0
    .sgpr_count:     41
    .sgpr_spill_count: 0
    .symbol:         _ZL29rocblas_internal_gemmt_kernelIlLi16ELi32ELi8ELc84ELc78ELc85ELb0ELb0E19rocblas_complex_numIdES1_PKS1_PS1_EviT_T9_T10_S5_lS7_S5_lS6_T11_S5_li.kd
    .uniform_work_group_size: 1
    .uses_dynamic_stack: false
    .vgpr_count:     68
    .vgpr_spill_count: 0
    .wavefront_size: 32
  - .args:
      - .offset:         0
        .size:           4
        .value_kind:     by_value
      - .offset:         8
        .size:           8
        .value_kind:     by_value
      - .offset:         16
        .size:           16
        .value_kind:     by_value
      - .address_space:  global
        .offset:         32
        .size:           8
        .value_kind:     global_buffer
      - .offset:         40
        .size:           8
        .value_kind:     by_value
      - .offset:         48
        .size:           8
        .value_kind:     by_value
      - .address_space:  global
        .offset:         56
        .size:           8
        .value_kind:     global_buffer
      - .offset:         64
        .size:           8
        .value_kind:     by_value
      - .offset:         72
        .size:           8
        .value_kind:     by_value
      - .offset:         80
        .size:           16
        .value_kind:     by_value
      - .address_space:  global
        .offset:         96
        .size:           8
        .value_kind:     global_buffer
      - .offset:         104
        .size:           8
        .value_kind:     by_value
      - .offset:         112
        .size:           8
        .value_kind:     by_value
      - .offset:         120
        .size:           4
        .value_kind:     by_value
    .group_segment_fixed_size: 8192
    .kernarg_segment_align: 8
    .kernarg_segment_size: 124
    .language:       OpenCL C
    .language_version:
      - 2
      - 0
    .max_flat_workgroup_size: 256
    .name:           _ZL29rocblas_internal_gemmt_kernelIlLi16ELi32ELi8ELc84ELc84ELc85ELb0ELb0E19rocblas_complex_numIdES1_PKS1_PS1_EviT_T9_T10_S5_lS7_S5_lS6_T11_S5_li
    .private_segment_fixed_size: 0
    .sgpr_count:     43
    .sgpr_spill_count: 0
    .symbol:         _ZL29rocblas_internal_gemmt_kernelIlLi16ELi32ELi8ELc84ELc84ELc85ELb0ELb0E19rocblas_complex_numIdES1_PKS1_PS1_EviT_T9_T10_S5_lS7_S5_lS6_T11_S5_li.kd
    .uniform_work_group_size: 1
    .uses_dynamic_stack: false
    .vgpr_count:     68
    .vgpr_spill_count: 0
    .wavefront_size: 32
  - .args:
      - .offset:         0
        .size:           4
        .value_kind:     by_value
      - .offset:         8
        .size:           8
        .value_kind:     by_value
      - .offset:         16
        .size:           16
        .value_kind:     by_value
      - .address_space:  global
        .offset:         32
        .size:           8
        .value_kind:     global_buffer
      - .offset:         40
        .size:           8
        .value_kind:     by_value
      - .offset:         48
        .size:           8
        .value_kind:     by_value
      - .address_space:  global
        .offset:         56
        .size:           8
        .value_kind:     global_buffer
      - .offset:         64
        .size:           8
        .value_kind:     by_value
      - .offset:         72
        .size:           8
        .value_kind:     by_value
      - .offset:         80
        .size:           16
        .value_kind:     by_value
      - .address_space:  global
        .offset:         96
        .size:           8
        .value_kind:     global_buffer
      - .offset:         104
        .size:           8
        .value_kind:     by_value
      - .offset:         112
        .size:           8
        .value_kind:     by_value
      - .offset:         120
        .size:           4
        .value_kind:     by_value
    .group_segment_fixed_size: 8192
    .kernarg_segment_align: 8
    .kernarg_segment_size: 124
    .language:       OpenCL C
    .language_version:
      - 2
      - 0
    .max_flat_workgroup_size: 256
    .name:           _ZL29rocblas_internal_gemmt_kernelIlLi16ELi32ELi8ELc84ELc67ELc85ELb0ELb1E19rocblas_complex_numIdES1_PKS1_PS1_EviT_T9_T10_S5_lS7_S5_lS6_T11_S5_li
    .private_segment_fixed_size: 0
    .sgpr_count:     44
    .sgpr_spill_count: 0
    .symbol:         _ZL29rocblas_internal_gemmt_kernelIlLi16ELi32ELi8ELc84ELc67ELc85ELb0ELb1E19rocblas_complex_numIdES1_PKS1_PS1_EviT_T9_T10_S5_lS7_S5_lS6_T11_S5_li.kd
    .uniform_work_group_size: 1
    .uses_dynamic_stack: false
    .vgpr_count:     132
    .vgpr_spill_count: 0
    .wavefront_size: 32
  - .args:
      - .offset:         0
        .size:           4
        .value_kind:     by_value
      - .offset:         8
        .size:           8
        .value_kind:     by_value
      - .offset:         16
        .size:           16
        .value_kind:     by_value
      - .address_space:  global
        .offset:         32
        .size:           8
        .value_kind:     global_buffer
      - .offset:         40
        .size:           8
        .value_kind:     by_value
      - .offset:         48
        .size:           8
        .value_kind:     by_value
      - .address_space:  global
        .offset:         56
        .size:           8
        .value_kind:     global_buffer
      - .offset:         64
        .size:           8
        .value_kind:     by_value
      - .offset:         72
        .size:           8
        .value_kind:     by_value
      - .offset:         80
        .size:           16
        .value_kind:     by_value
      - .address_space:  global
        .offset:         96
        .size:           8
        .value_kind:     global_buffer
      - .offset:         104
        .size:           8
        .value_kind:     by_value
      - .offset:         112
        .size:           8
        .value_kind:     by_value
      - .offset:         120
        .size:           4
        .value_kind:     by_value
    .group_segment_fixed_size: 8192
    .kernarg_segment_align: 8
    .kernarg_segment_size: 124
    .language:       OpenCL C
    .language_version:
      - 2
      - 0
    .max_flat_workgroup_size: 256
    .name:           _ZL29rocblas_internal_gemmt_kernelIlLi16ELi32ELi8ELc67ELc78ELc85ELb1ELb0E19rocblas_complex_numIdES1_PKS1_PS1_EviT_T9_T10_S5_lS7_S5_lS6_T11_S5_li
    .private_segment_fixed_size: 0
    .sgpr_count:     41
    .sgpr_spill_count: 0
    .symbol:         _ZL29rocblas_internal_gemmt_kernelIlLi16ELi32ELi8ELc67ELc78ELc85ELb1ELb0E19rocblas_complex_numIdES1_PKS1_PS1_EviT_T9_T10_S5_lS7_S5_lS6_T11_S5_li.kd
    .uniform_work_group_size: 1
    .uses_dynamic_stack: false
    .vgpr_count:     130
    .vgpr_spill_count: 0
    .wavefront_size: 32
  - .args:
      - .offset:         0
        .size:           4
        .value_kind:     by_value
      - .offset:         8
        .size:           8
        .value_kind:     by_value
      - .offset:         16
        .size:           16
        .value_kind:     by_value
      - .address_space:  global
        .offset:         32
        .size:           8
        .value_kind:     global_buffer
      - .offset:         40
        .size:           8
        .value_kind:     by_value
      - .offset:         48
        .size:           8
        .value_kind:     by_value
      - .address_space:  global
        .offset:         56
        .size:           8
        .value_kind:     global_buffer
      - .offset:         64
        .size:           8
        .value_kind:     by_value
      - .offset:         72
        .size:           8
        .value_kind:     by_value
      - .offset:         80
        .size:           16
        .value_kind:     by_value
      - .address_space:  global
        .offset:         96
        .size:           8
        .value_kind:     global_buffer
      - .offset:         104
        .size:           8
        .value_kind:     by_value
      - .offset:         112
        .size:           8
        .value_kind:     by_value
      - .offset:         120
        .size:           4
        .value_kind:     by_value
    .group_segment_fixed_size: 8192
    .kernarg_segment_align: 8
    .kernarg_segment_size: 124
    .language:       OpenCL C
    .language_version:
      - 2
      - 0
    .max_flat_workgroup_size: 256
    .name:           _ZL29rocblas_internal_gemmt_kernelIlLi16ELi32ELi8ELc67ELc84ELc85ELb1ELb0E19rocblas_complex_numIdES1_PKS1_PS1_EviT_T9_T10_S5_lS7_S5_lS6_T11_S5_li
    .private_segment_fixed_size: 0
    .sgpr_count:     43
    .sgpr_spill_count: 0
    .symbol:         _ZL29rocblas_internal_gemmt_kernelIlLi16ELi32ELi8ELc67ELc84ELc85ELb1ELb0E19rocblas_complex_numIdES1_PKS1_PS1_EviT_T9_T10_S5_lS7_S5_lS6_T11_S5_li.kd
    .uniform_work_group_size: 1
    .uses_dynamic_stack: false
    .vgpr_count:     130
    .vgpr_spill_count: 0
    .wavefront_size: 32
  - .args:
      - .offset:         0
        .size:           4
        .value_kind:     by_value
      - .offset:         8
        .size:           8
        .value_kind:     by_value
      - .offset:         16
        .size:           16
        .value_kind:     by_value
      - .address_space:  global
        .offset:         32
        .size:           8
        .value_kind:     global_buffer
      - .offset:         40
        .size:           8
        .value_kind:     by_value
      - .offset:         48
        .size:           8
        .value_kind:     by_value
      - .address_space:  global
        .offset:         56
        .size:           8
        .value_kind:     global_buffer
      - .offset:         64
        .size:           8
        .value_kind:     by_value
      - .offset:         72
        .size:           8
        .value_kind:     by_value
      - .offset:         80
        .size:           16
        .value_kind:     by_value
      - .address_space:  global
        .offset:         96
        .size:           8
        .value_kind:     global_buffer
      - .offset:         104
        .size:           8
        .value_kind:     by_value
      - .offset:         112
        .size:           8
        .value_kind:     by_value
      - .offset:         120
        .size:           4
        .value_kind:     by_value
    .group_segment_fixed_size: 8192
    .kernarg_segment_align: 8
    .kernarg_segment_size: 124
    .language:       OpenCL C
    .language_version:
      - 2
      - 0
    .max_flat_workgroup_size: 256
    .name:           _ZL29rocblas_internal_gemmt_kernelIlLi16ELi32ELi8ELc67ELc67ELc85ELb1ELb1E19rocblas_complex_numIdES1_PKS1_PS1_EviT_T9_T10_S5_lS7_S5_lS6_T11_S5_li
    .private_segment_fixed_size: 0
    .sgpr_count:     43
    .sgpr_spill_count: 0
    .symbol:         _ZL29rocblas_internal_gemmt_kernelIlLi16ELi32ELi8ELc67ELc67ELc85ELb1ELb1E19rocblas_complex_numIdES1_PKS1_PS1_EviT_T9_T10_S5_lS7_S5_lS6_T11_S5_li.kd
    .uniform_work_group_size: 1
    .uses_dynamic_stack: false
    .vgpr_count:     130
    .vgpr_spill_count: 0
    .wavefront_size: 32
  - .args:
      - .offset:         0
        .size:           4
        .value_kind:     by_value
      - .offset:         8
        .size:           8
        .value_kind:     by_value
      - .offset:         16
        .size:           16
        .value_kind:     by_value
      - .address_space:  global
        .offset:         32
        .size:           8
        .value_kind:     global_buffer
      - .offset:         40
        .size:           8
        .value_kind:     by_value
      - .offset:         48
        .size:           8
        .value_kind:     by_value
      - .address_space:  global
        .offset:         56
        .size:           8
        .value_kind:     global_buffer
      - .offset:         64
        .size:           8
        .value_kind:     by_value
      - .offset:         72
        .size:           8
        .value_kind:     by_value
      - .offset:         80
        .size:           16
        .value_kind:     by_value
      - .address_space:  global
        .offset:         96
        .size:           8
        .value_kind:     global_buffer
      - .offset:         104
        .size:           8
        .value_kind:     by_value
      - .offset:         112
        .size:           8
        .value_kind:     by_value
      - .offset:         120
        .size:           4
        .value_kind:     by_value
    .group_segment_fixed_size: 8192
    .kernarg_segment_align: 8
    .kernarg_segment_size: 124
    .language:       OpenCL C
    .language_version:
      - 2
      - 0
    .max_flat_workgroup_size: 256
    .name:           _ZL29rocblas_internal_gemmt_kernelIlLi16ELi32ELi8ELc78ELc78ELc76ELb0ELb0E19rocblas_complex_numIdES1_PKS1_PS1_EviT_T9_T10_S5_lS7_S5_lS6_T11_S5_li
    .private_segment_fixed_size: 0
    .sgpr_count:     43
    .sgpr_spill_count: 0
    .symbol:         _ZL29rocblas_internal_gemmt_kernelIlLi16ELi32ELi8ELc78ELc78ELc76ELb0ELb0E19rocblas_complex_numIdES1_PKS1_PS1_EviT_T9_T10_S5_lS7_S5_lS6_T11_S5_li.kd
    .uniform_work_group_size: 1
    .uses_dynamic_stack: false
    .vgpr_count:     68
    .vgpr_spill_count: 0
    .wavefront_size: 32
  - .args:
      - .offset:         0
        .size:           4
        .value_kind:     by_value
      - .offset:         8
        .size:           8
        .value_kind:     by_value
      - .offset:         16
        .size:           16
        .value_kind:     by_value
      - .address_space:  global
        .offset:         32
        .size:           8
        .value_kind:     global_buffer
      - .offset:         40
        .size:           8
        .value_kind:     by_value
      - .offset:         48
        .size:           8
        .value_kind:     by_value
      - .address_space:  global
        .offset:         56
        .size:           8
        .value_kind:     global_buffer
      - .offset:         64
        .size:           8
        .value_kind:     by_value
      - .offset:         72
        .size:           8
        .value_kind:     by_value
      - .offset:         80
        .size:           16
        .value_kind:     by_value
      - .address_space:  global
        .offset:         96
        .size:           8
        .value_kind:     global_buffer
      - .offset:         104
        .size:           8
        .value_kind:     by_value
      - .offset:         112
        .size:           8
        .value_kind:     by_value
      - .offset:         120
        .size:           4
        .value_kind:     by_value
    .group_segment_fixed_size: 8192
    .kernarg_segment_align: 8
    .kernarg_segment_size: 124
    .language:       OpenCL C
    .language_version:
      - 2
      - 0
    .max_flat_workgroup_size: 256
    .name:           _ZL29rocblas_internal_gemmt_kernelIlLi16ELi32ELi8ELc78ELc84ELc76ELb0ELb0E19rocblas_complex_numIdES1_PKS1_PS1_EviT_T9_T10_S5_lS7_S5_lS6_T11_S5_li
    .private_segment_fixed_size: 0
    .sgpr_count:     44
    .sgpr_spill_count: 0
    .symbol:         _ZL29rocblas_internal_gemmt_kernelIlLi16ELi32ELi8ELc78ELc84ELc76ELb0ELb0E19rocblas_complex_numIdES1_PKS1_PS1_EviT_T9_T10_S5_lS7_S5_lS6_T11_S5_li.kd
    .uniform_work_group_size: 1
    .uses_dynamic_stack: false
    .vgpr_count:     68
    .vgpr_spill_count: 0
    .wavefront_size: 32
  - .args:
      - .offset:         0
        .size:           4
        .value_kind:     by_value
      - .offset:         8
        .size:           8
        .value_kind:     by_value
      - .offset:         16
        .size:           16
        .value_kind:     by_value
      - .address_space:  global
        .offset:         32
        .size:           8
        .value_kind:     global_buffer
      - .offset:         40
        .size:           8
        .value_kind:     by_value
      - .offset:         48
        .size:           8
        .value_kind:     by_value
      - .address_space:  global
        .offset:         56
        .size:           8
        .value_kind:     global_buffer
      - .offset:         64
        .size:           8
        .value_kind:     by_value
      - .offset:         72
        .size:           8
        .value_kind:     by_value
      - .offset:         80
        .size:           16
        .value_kind:     by_value
      - .address_space:  global
        .offset:         96
        .size:           8
        .value_kind:     global_buffer
      - .offset:         104
        .size:           8
        .value_kind:     by_value
      - .offset:         112
        .size:           8
        .value_kind:     by_value
      - .offset:         120
        .size:           4
        .value_kind:     by_value
    .group_segment_fixed_size: 8192
    .kernarg_segment_align: 8
    .kernarg_segment_size: 124
    .language:       OpenCL C
    .language_version:
      - 2
      - 0
    .max_flat_workgroup_size: 256
    .name:           _ZL29rocblas_internal_gemmt_kernelIlLi16ELi32ELi8ELc78ELc67ELc76ELb0ELb1E19rocblas_complex_numIdES1_PKS1_PS1_EviT_T9_T10_S5_lS7_S5_lS6_T11_S5_li
    .private_segment_fixed_size: 0
    .sgpr_count:     44
    .sgpr_spill_count: 0
    .symbol:         _ZL29rocblas_internal_gemmt_kernelIlLi16ELi32ELi8ELc78ELc67ELc76ELb0ELb1E19rocblas_complex_numIdES1_PKS1_PS1_EviT_T9_T10_S5_lS7_S5_lS6_T11_S5_li.kd
    .uniform_work_group_size: 1
    .uses_dynamic_stack: false
    .vgpr_count:     132
    .vgpr_spill_count: 0
    .wavefront_size: 32
  - .args:
      - .offset:         0
        .size:           4
        .value_kind:     by_value
      - .offset:         8
        .size:           8
        .value_kind:     by_value
      - .offset:         16
        .size:           16
        .value_kind:     by_value
      - .address_space:  global
        .offset:         32
        .size:           8
        .value_kind:     global_buffer
      - .offset:         40
        .size:           8
        .value_kind:     by_value
      - .offset:         48
        .size:           8
        .value_kind:     by_value
      - .address_space:  global
        .offset:         56
        .size:           8
        .value_kind:     global_buffer
      - .offset:         64
        .size:           8
        .value_kind:     by_value
      - .offset:         72
        .size:           8
        .value_kind:     by_value
      - .offset:         80
        .size:           16
        .value_kind:     by_value
      - .address_space:  global
        .offset:         96
        .size:           8
        .value_kind:     global_buffer
      - .offset:         104
        .size:           8
        .value_kind:     by_value
      - .offset:         112
        .size:           8
        .value_kind:     by_value
      - .offset:         120
        .size:           4
        .value_kind:     by_value
    .group_segment_fixed_size: 8192
    .kernarg_segment_align: 8
    .kernarg_segment_size: 124
    .language:       OpenCL C
    .language_version:
      - 2
      - 0
    .max_flat_workgroup_size: 256
    .name:           _ZL29rocblas_internal_gemmt_kernelIlLi16ELi32ELi8ELc84ELc78ELc76ELb0ELb0E19rocblas_complex_numIdES1_PKS1_PS1_EviT_T9_T10_S5_lS7_S5_lS6_T11_S5_li
    .private_segment_fixed_size: 0
    .sgpr_count:     41
    .sgpr_spill_count: 0
    .symbol:         _ZL29rocblas_internal_gemmt_kernelIlLi16ELi32ELi8ELc84ELc78ELc76ELb0ELb0E19rocblas_complex_numIdES1_PKS1_PS1_EviT_T9_T10_S5_lS7_S5_lS6_T11_S5_li.kd
    .uniform_work_group_size: 1
    .uses_dynamic_stack: false
    .vgpr_count:     68
    .vgpr_spill_count: 0
    .wavefront_size: 32
  - .args:
      - .offset:         0
        .size:           4
        .value_kind:     by_value
      - .offset:         8
        .size:           8
        .value_kind:     by_value
      - .offset:         16
        .size:           16
        .value_kind:     by_value
      - .address_space:  global
        .offset:         32
        .size:           8
        .value_kind:     global_buffer
      - .offset:         40
        .size:           8
        .value_kind:     by_value
      - .offset:         48
        .size:           8
        .value_kind:     by_value
      - .address_space:  global
        .offset:         56
        .size:           8
        .value_kind:     global_buffer
      - .offset:         64
        .size:           8
        .value_kind:     by_value
      - .offset:         72
        .size:           8
        .value_kind:     by_value
      - .offset:         80
        .size:           16
        .value_kind:     by_value
      - .address_space:  global
        .offset:         96
        .size:           8
        .value_kind:     global_buffer
      - .offset:         104
        .size:           8
        .value_kind:     by_value
      - .offset:         112
        .size:           8
        .value_kind:     by_value
      - .offset:         120
        .size:           4
        .value_kind:     by_value
    .group_segment_fixed_size: 8192
    .kernarg_segment_align: 8
    .kernarg_segment_size: 124
    .language:       OpenCL C
    .language_version:
      - 2
      - 0
    .max_flat_workgroup_size: 256
    .name:           _ZL29rocblas_internal_gemmt_kernelIlLi16ELi32ELi8ELc84ELc84ELc76ELb0ELb0E19rocblas_complex_numIdES1_PKS1_PS1_EviT_T9_T10_S5_lS7_S5_lS6_T11_S5_li
    .private_segment_fixed_size: 0
    .sgpr_count:     43
    .sgpr_spill_count: 0
    .symbol:         _ZL29rocblas_internal_gemmt_kernelIlLi16ELi32ELi8ELc84ELc84ELc76ELb0ELb0E19rocblas_complex_numIdES1_PKS1_PS1_EviT_T9_T10_S5_lS7_S5_lS6_T11_S5_li.kd
    .uniform_work_group_size: 1
    .uses_dynamic_stack: false
    .vgpr_count:     68
    .vgpr_spill_count: 0
    .wavefront_size: 32
  - .args:
      - .offset:         0
        .size:           4
        .value_kind:     by_value
      - .offset:         8
        .size:           8
        .value_kind:     by_value
      - .offset:         16
        .size:           16
        .value_kind:     by_value
      - .address_space:  global
        .offset:         32
        .size:           8
        .value_kind:     global_buffer
      - .offset:         40
        .size:           8
        .value_kind:     by_value
      - .offset:         48
        .size:           8
        .value_kind:     by_value
      - .address_space:  global
        .offset:         56
        .size:           8
        .value_kind:     global_buffer
      - .offset:         64
        .size:           8
        .value_kind:     by_value
      - .offset:         72
        .size:           8
        .value_kind:     by_value
      - .offset:         80
        .size:           16
        .value_kind:     by_value
      - .address_space:  global
        .offset:         96
        .size:           8
        .value_kind:     global_buffer
      - .offset:         104
        .size:           8
        .value_kind:     by_value
      - .offset:         112
        .size:           8
        .value_kind:     by_value
      - .offset:         120
        .size:           4
        .value_kind:     by_value
    .group_segment_fixed_size: 8192
    .kernarg_segment_align: 8
    .kernarg_segment_size: 124
    .language:       OpenCL C
    .language_version:
      - 2
      - 0
    .max_flat_workgroup_size: 256
    .name:           _ZL29rocblas_internal_gemmt_kernelIlLi16ELi32ELi8ELc84ELc67ELc76ELb0ELb1E19rocblas_complex_numIdES1_PKS1_PS1_EviT_T9_T10_S5_lS7_S5_lS6_T11_S5_li
    .private_segment_fixed_size: 0
    .sgpr_count:     44
    .sgpr_spill_count: 0
    .symbol:         _ZL29rocblas_internal_gemmt_kernelIlLi16ELi32ELi8ELc84ELc67ELc76ELb0ELb1E19rocblas_complex_numIdES1_PKS1_PS1_EviT_T9_T10_S5_lS7_S5_lS6_T11_S5_li.kd
    .uniform_work_group_size: 1
    .uses_dynamic_stack: false
    .vgpr_count:     132
    .vgpr_spill_count: 0
    .wavefront_size: 32
  - .args:
      - .offset:         0
        .size:           4
        .value_kind:     by_value
      - .offset:         8
        .size:           8
        .value_kind:     by_value
      - .offset:         16
        .size:           16
        .value_kind:     by_value
      - .address_space:  global
        .offset:         32
        .size:           8
        .value_kind:     global_buffer
      - .offset:         40
        .size:           8
        .value_kind:     by_value
      - .offset:         48
        .size:           8
        .value_kind:     by_value
      - .address_space:  global
        .offset:         56
        .size:           8
        .value_kind:     global_buffer
      - .offset:         64
        .size:           8
        .value_kind:     by_value
      - .offset:         72
        .size:           8
        .value_kind:     by_value
      - .offset:         80
        .size:           16
        .value_kind:     by_value
      - .address_space:  global
        .offset:         96
        .size:           8
        .value_kind:     global_buffer
      - .offset:         104
        .size:           8
        .value_kind:     by_value
      - .offset:         112
        .size:           8
        .value_kind:     by_value
      - .offset:         120
        .size:           4
        .value_kind:     by_value
    .group_segment_fixed_size: 8192
    .kernarg_segment_align: 8
    .kernarg_segment_size: 124
    .language:       OpenCL C
    .language_version:
      - 2
      - 0
    .max_flat_workgroup_size: 256
    .name:           _ZL29rocblas_internal_gemmt_kernelIlLi16ELi32ELi8ELc67ELc78ELc76ELb1ELb0E19rocblas_complex_numIdES1_PKS1_PS1_EviT_T9_T10_S5_lS7_S5_lS6_T11_S5_li
    .private_segment_fixed_size: 0
    .sgpr_count:     41
    .sgpr_spill_count: 0
    .symbol:         _ZL29rocblas_internal_gemmt_kernelIlLi16ELi32ELi8ELc67ELc78ELc76ELb1ELb0E19rocblas_complex_numIdES1_PKS1_PS1_EviT_T9_T10_S5_lS7_S5_lS6_T11_S5_li.kd
    .uniform_work_group_size: 1
    .uses_dynamic_stack: false
    .vgpr_count:     130
    .vgpr_spill_count: 0
    .wavefront_size: 32
  - .args:
      - .offset:         0
        .size:           4
        .value_kind:     by_value
      - .offset:         8
        .size:           8
        .value_kind:     by_value
      - .offset:         16
        .size:           16
        .value_kind:     by_value
      - .address_space:  global
        .offset:         32
        .size:           8
        .value_kind:     global_buffer
      - .offset:         40
        .size:           8
        .value_kind:     by_value
      - .offset:         48
        .size:           8
        .value_kind:     by_value
      - .address_space:  global
        .offset:         56
        .size:           8
        .value_kind:     global_buffer
      - .offset:         64
        .size:           8
        .value_kind:     by_value
      - .offset:         72
        .size:           8
        .value_kind:     by_value
      - .offset:         80
        .size:           16
        .value_kind:     by_value
      - .address_space:  global
        .offset:         96
        .size:           8
        .value_kind:     global_buffer
      - .offset:         104
        .size:           8
        .value_kind:     by_value
      - .offset:         112
        .size:           8
        .value_kind:     by_value
      - .offset:         120
        .size:           4
        .value_kind:     by_value
    .group_segment_fixed_size: 8192
    .kernarg_segment_align: 8
    .kernarg_segment_size: 124
    .language:       OpenCL C
    .language_version:
      - 2
      - 0
    .max_flat_workgroup_size: 256
    .name:           _ZL29rocblas_internal_gemmt_kernelIlLi16ELi32ELi8ELc67ELc84ELc76ELb1ELb0E19rocblas_complex_numIdES1_PKS1_PS1_EviT_T9_T10_S5_lS7_S5_lS6_T11_S5_li
    .private_segment_fixed_size: 0
    .sgpr_count:     42
    .sgpr_spill_count: 0
    .symbol:         _ZL29rocblas_internal_gemmt_kernelIlLi16ELi32ELi8ELc67ELc84ELc76ELb1ELb0E19rocblas_complex_numIdES1_PKS1_PS1_EviT_T9_T10_S5_lS7_S5_lS6_T11_S5_li.kd
    .uniform_work_group_size: 1
    .uses_dynamic_stack: false
    .vgpr_count:     130
    .vgpr_spill_count: 0
    .wavefront_size: 32
  - .args:
      - .offset:         0
        .size:           4
        .value_kind:     by_value
      - .offset:         8
        .size:           8
        .value_kind:     by_value
      - .offset:         16
        .size:           16
        .value_kind:     by_value
      - .address_space:  global
        .offset:         32
        .size:           8
        .value_kind:     global_buffer
      - .offset:         40
        .size:           8
        .value_kind:     by_value
      - .offset:         48
        .size:           8
        .value_kind:     by_value
      - .address_space:  global
        .offset:         56
        .size:           8
        .value_kind:     global_buffer
      - .offset:         64
        .size:           8
        .value_kind:     by_value
      - .offset:         72
        .size:           8
        .value_kind:     by_value
      - .offset:         80
        .size:           16
        .value_kind:     by_value
      - .address_space:  global
        .offset:         96
        .size:           8
        .value_kind:     global_buffer
      - .offset:         104
        .size:           8
        .value_kind:     by_value
      - .offset:         112
        .size:           8
        .value_kind:     by_value
      - .offset:         120
        .size:           4
        .value_kind:     by_value
    .group_segment_fixed_size: 8192
    .kernarg_segment_align: 8
    .kernarg_segment_size: 124
    .language:       OpenCL C
    .language_version:
      - 2
      - 0
    .max_flat_workgroup_size: 256
    .name:           _ZL29rocblas_internal_gemmt_kernelIlLi16ELi32ELi8ELc67ELc67ELc76ELb1ELb1E19rocblas_complex_numIdES1_PKS1_PS1_EviT_T9_T10_S5_lS7_S5_lS6_T11_S5_li
    .private_segment_fixed_size: 0
    .sgpr_count:     43
    .sgpr_spill_count: 0
    .symbol:         _ZL29rocblas_internal_gemmt_kernelIlLi16ELi32ELi8ELc67ELc67ELc76ELb1ELb1E19rocblas_complex_numIdES1_PKS1_PS1_EviT_T9_T10_S5_lS7_S5_lS6_T11_S5_li.kd
    .uniform_work_group_size: 1
    .uses_dynamic_stack: false
    .vgpr_count:     130
    .vgpr_spill_count: 0
    .wavefront_size: 32
  - .args:
      - .offset:         0
        .size:           4
        .value_kind:     by_value
      - .offset:         4
        .size:           4
        .value_kind:     by_value
      - .address_space:  global
        .offset:         8
        .size:           8
        .value_kind:     global_buffer
      - .address_space:  global
        .offset:         16
        .size:           8
        .value_kind:     global_buffer
      - .offset:         24
        .size:           4
        .value_kind:     by_value
      - .offset:         32
        .size:           8
        .value_kind:     by_value
      - .address_space:  global
        .offset:         40
        .size:           8
        .value_kind:     global_buffer
      - .offset:         48
        .size:           4
        .value_kind:     by_value
      - .offset:         56
        .size:           8
        .value_kind:     by_value
      - .address_space:  global
        .offset:         64
        .size:           8
        .value_kind:     global_buffer
      - .address_space:  global
        .offset:         72
        .size:           8
        .value_kind:     global_buffer
      - .offset:         80
        .size:           4
        .value_kind:     by_value
      - .offset:         88
        .size:           8
        .value_kind:     by_value
      - .offset:         96
        .size:           4
        .value_kind:     by_value
    .group_segment_fixed_size: 2048
    .kernarg_segment_align: 8
    .kernarg_segment_size: 100
    .language:       OpenCL C
    .language_version:
      - 2
      - 0
    .max_flat_workgroup_size: 256
    .name:           _ZL29rocblas_internal_gemmt_kernelIiLi16ELi32ELi8ELc78ELc78ELc85ELb0ELb0EfPKfPKS1_PKPfEviT_T9_T10_S7_lS9_S7_lS8_T11_S7_li
    .private_segment_fixed_size: 0
    .sgpr_count:     33
    .sgpr_spill_count: 0
    .symbol:         _ZL29rocblas_internal_gemmt_kernelIiLi16ELi32ELi8ELc78ELc78ELc85ELb0ELb0EfPKfPKS1_PKPfEviT_T9_T10_S7_lS9_S7_lS8_T11_S7_li.kd
    .uniform_work_group_size: 1
    .uses_dynamic_stack: false
    .vgpr_count:     56
    .vgpr_spill_count: 0
    .wavefront_size: 32
  - .args:
      - .offset:         0
        .size:           4
        .value_kind:     by_value
      - .offset:         4
        .size:           4
        .value_kind:     by_value
      - .address_space:  global
        .offset:         8
        .size:           8
        .value_kind:     global_buffer
      - .address_space:  global
        .offset:         16
        .size:           8
        .value_kind:     global_buffer
      - .offset:         24
        .size:           4
        .value_kind:     by_value
      - .offset:         32
        .size:           8
        .value_kind:     by_value
      - .address_space:  global
        .offset:         40
        .size:           8
        .value_kind:     global_buffer
      - .offset:         48
        .size:           4
        .value_kind:     by_value
      - .offset:         56
        .size:           8
        .value_kind:     by_value
      - .address_space:  global
        .offset:         64
        .size:           8
        .value_kind:     global_buffer
      - .address_space:  global
        .offset:         72
        .size:           8
        .value_kind:     global_buffer
      - .offset:         80
        .size:           4
        .value_kind:     by_value
      - .offset:         88
        .size:           8
        .value_kind:     by_value
      - .offset:         96
        .size:           4
        .value_kind:     by_value
    .group_segment_fixed_size: 2048
    .kernarg_segment_align: 8
    .kernarg_segment_size: 100
    .language:       OpenCL C
    .language_version:
      - 2
      - 0
    .max_flat_workgroup_size: 256
    .name:           _ZL29rocblas_internal_gemmt_kernelIiLi16ELi32ELi8ELc78ELc84ELc85ELb0ELb0EfPKfPKS1_PKPfEviT_T9_T10_S7_lS9_S7_lS8_T11_S7_li
    .private_segment_fixed_size: 0
    .sgpr_count:     36
    .sgpr_spill_count: 0
    .symbol:         _ZL29rocblas_internal_gemmt_kernelIiLi16ELi32ELi8ELc78ELc84ELc85ELb0ELb0EfPKfPKS1_PKPfEviT_T9_T10_S7_lS9_S7_lS8_T11_S7_li.kd
    .uniform_work_group_size: 1
    .uses_dynamic_stack: false
    .vgpr_count:     56
    .vgpr_spill_count: 0
    .wavefront_size: 32
  - .args:
      - .offset:         0
        .size:           4
        .value_kind:     by_value
      - .offset:         4
        .size:           4
        .value_kind:     by_value
      - .address_space:  global
        .offset:         8
        .size:           8
        .value_kind:     global_buffer
      - .address_space:  global
        .offset:         16
        .size:           8
        .value_kind:     global_buffer
      - .offset:         24
        .size:           4
        .value_kind:     by_value
      - .offset:         32
        .size:           8
        .value_kind:     by_value
      - .address_space:  global
        .offset:         40
        .size:           8
        .value_kind:     global_buffer
      - .offset:         48
        .size:           4
        .value_kind:     by_value
      - .offset:         56
        .size:           8
        .value_kind:     by_value
      - .address_space:  global
        .offset:         64
        .size:           8
        .value_kind:     global_buffer
      - .address_space:  global
        .offset:         72
        .size:           8
        .value_kind:     global_buffer
      - .offset:         80
        .size:           4
        .value_kind:     by_value
      - .offset:         88
        .size:           8
        .value_kind:     by_value
      - .offset:         96
        .size:           4
        .value_kind:     by_value
    .group_segment_fixed_size: 2048
    .kernarg_segment_align: 8
    .kernarg_segment_size: 100
    .language:       OpenCL C
    .language_version:
      - 2
      - 0
    .max_flat_workgroup_size: 256
    .name:           _ZL29rocblas_internal_gemmt_kernelIiLi16ELi32ELi8ELc78ELc67ELc85ELb0ELb0EfPKfPKS1_PKPfEviT_T9_T10_S7_lS9_S7_lS8_T11_S7_li
    .private_segment_fixed_size: 0
    .sgpr_count:     36
    .sgpr_spill_count: 0
    .symbol:         _ZL29rocblas_internal_gemmt_kernelIiLi16ELi32ELi8ELc78ELc67ELc85ELb0ELb0EfPKfPKS1_PKPfEviT_T9_T10_S7_lS9_S7_lS8_T11_S7_li.kd
    .uniform_work_group_size: 1
    .uses_dynamic_stack: false
    .vgpr_count:     56
    .vgpr_spill_count: 0
    .wavefront_size: 32
  - .args:
      - .offset:         0
        .size:           4
        .value_kind:     by_value
      - .offset:         4
        .size:           4
        .value_kind:     by_value
      - .address_space:  global
        .offset:         8
        .size:           8
        .value_kind:     global_buffer
      - .address_space:  global
        .offset:         16
        .size:           8
        .value_kind:     global_buffer
      - .offset:         24
        .size:           4
        .value_kind:     by_value
      - .offset:         32
        .size:           8
        .value_kind:     by_value
      - .address_space:  global
        .offset:         40
        .size:           8
        .value_kind:     global_buffer
      - .offset:         48
        .size:           4
        .value_kind:     by_value
      - .offset:         56
        .size:           8
        .value_kind:     by_value
      - .address_space:  global
        .offset:         64
        .size:           8
        .value_kind:     global_buffer
      - .address_space:  global
        .offset:         72
        .size:           8
        .value_kind:     global_buffer
      - .offset:         80
        .size:           4
        .value_kind:     by_value
      - .offset:         88
        .size:           8
        .value_kind:     by_value
      - .offset:         96
        .size:           4
        .value_kind:     by_value
    .group_segment_fixed_size: 2048
    .kernarg_segment_align: 8
    .kernarg_segment_size: 100
    .language:       OpenCL C
    .language_version:
      - 2
      - 0
    .max_flat_workgroup_size: 256
    .name:           _ZL29rocblas_internal_gemmt_kernelIiLi16ELi32ELi8ELc84ELc78ELc85ELb0ELb0EfPKfPKS1_PKPfEviT_T9_T10_S7_lS9_S7_lS8_T11_S7_li
    .private_segment_fixed_size: 0
    .sgpr_count:     33
    .sgpr_spill_count: 0
    .symbol:         _ZL29rocblas_internal_gemmt_kernelIiLi16ELi32ELi8ELc84ELc78ELc85ELb0ELb0EfPKfPKS1_PKPfEviT_T9_T10_S7_lS9_S7_lS8_T11_S7_li.kd
    .uniform_work_group_size: 1
    .uses_dynamic_stack: false
    .vgpr_count:     56
    .vgpr_spill_count: 0
    .wavefront_size: 32
  - .args:
      - .offset:         0
        .size:           4
        .value_kind:     by_value
      - .offset:         4
        .size:           4
        .value_kind:     by_value
      - .address_space:  global
        .offset:         8
        .size:           8
        .value_kind:     global_buffer
      - .address_space:  global
        .offset:         16
        .size:           8
        .value_kind:     global_buffer
      - .offset:         24
        .size:           4
        .value_kind:     by_value
      - .offset:         32
        .size:           8
        .value_kind:     by_value
      - .address_space:  global
        .offset:         40
        .size:           8
        .value_kind:     global_buffer
      - .offset:         48
        .size:           4
        .value_kind:     by_value
      - .offset:         56
        .size:           8
        .value_kind:     by_value
      - .address_space:  global
        .offset:         64
        .size:           8
        .value_kind:     global_buffer
      - .address_space:  global
        .offset:         72
        .size:           8
        .value_kind:     global_buffer
      - .offset:         80
        .size:           4
        .value_kind:     by_value
      - .offset:         88
        .size:           8
        .value_kind:     by_value
      - .offset:         96
        .size:           4
        .value_kind:     by_value
    .group_segment_fixed_size: 2048
    .kernarg_segment_align: 8
    .kernarg_segment_size: 100
    .language:       OpenCL C
    .language_version:
      - 2
      - 0
    .max_flat_workgroup_size: 256
    .name:           _ZL29rocblas_internal_gemmt_kernelIiLi16ELi32ELi8ELc84ELc84ELc85ELb0ELb0EfPKfPKS1_PKPfEviT_T9_T10_S7_lS9_S7_lS8_T11_S7_li
    .private_segment_fixed_size: 0
    .sgpr_count:     33
    .sgpr_spill_count: 0
    .symbol:         _ZL29rocblas_internal_gemmt_kernelIiLi16ELi32ELi8ELc84ELc84ELc85ELb0ELb0EfPKfPKS1_PKPfEviT_T9_T10_S7_lS9_S7_lS8_T11_S7_li.kd
    .uniform_work_group_size: 1
    .uses_dynamic_stack: false
    .vgpr_count:     56
    .vgpr_spill_count: 0
    .wavefront_size: 32
  - .args:
      - .offset:         0
        .size:           4
        .value_kind:     by_value
      - .offset:         4
        .size:           4
        .value_kind:     by_value
      - .address_space:  global
        .offset:         8
        .size:           8
        .value_kind:     global_buffer
      - .address_space:  global
        .offset:         16
        .size:           8
        .value_kind:     global_buffer
      - .offset:         24
        .size:           4
        .value_kind:     by_value
      - .offset:         32
        .size:           8
        .value_kind:     by_value
      - .address_space:  global
        .offset:         40
        .size:           8
        .value_kind:     global_buffer
      - .offset:         48
        .size:           4
        .value_kind:     by_value
      - .offset:         56
        .size:           8
        .value_kind:     by_value
      - .address_space:  global
        .offset:         64
        .size:           8
        .value_kind:     global_buffer
      - .address_space:  global
        .offset:         72
        .size:           8
        .value_kind:     global_buffer
      - .offset:         80
        .size:           4
        .value_kind:     by_value
      - .offset:         88
        .size:           8
        .value_kind:     by_value
      - .offset:         96
        .size:           4
        .value_kind:     by_value
    .group_segment_fixed_size: 2048
    .kernarg_segment_align: 8
    .kernarg_segment_size: 100
    .language:       OpenCL C
    .language_version:
      - 2
      - 0
    .max_flat_workgroup_size: 256
    .name:           _ZL29rocblas_internal_gemmt_kernelIiLi16ELi32ELi8ELc84ELc67ELc85ELb0ELb0EfPKfPKS1_PKPfEviT_T9_T10_S7_lS9_S7_lS8_T11_S7_li
    .private_segment_fixed_size: 0
    .sgpr_count:     33
    .sgpr_spill_count: 0
    .symbol:         _ZL29rocblas_internal_gemmt_kernelIiLi16ELi32ELi8ELc84ELc67ELc85ELb0ELb0EfPKfPKS1_PKPfEviT_T9_T10_S7_lS9_S7_lS8_T11_S7_li.kd
    .uniform_work_group_size: 1
    .uses_dynamic_stack: false
    .vgpr_count:     56
    .vgpr_spill_count: 0
    .wavefront_size: 32
  - .args:
      - .offset:         0
        .size:           4
        .value_kind:     by_value
      - .offset:         4
        .size:           4
        .value_kind:     by_value
      - .address_space:  global
        .offset:         8
        .size:           8
        .value_kind:     global_buffer
      - .address_space:  global
        .offset:         16
        .size:           8
        .value_kind:     global_buffer
      - .offset:         24
        .size:           4
        .value_kind:     by_value
      - .offset:         32
        .size:           8
        .value_kind:     by_value
      - .address_space:  global
        .offset:         40
        .size:           8
        .value_kind:     global_buffer
      - .offset:         48
        .size:           4
        .value_kind:     by_value
      - .offset:         56
        .size:           8
        .value_kind:     by_value
      - .address_space:  global
        .offset:         64
        .size:           8
        .value_kind:     global_buffer
      - .address_space:  global
        .offset:         72
        .size:           8
        .value_kind:     global_buffer
      - .offset:         80
        .size:           4
        .value_kind:     by_value
      - .offset:         88
        .size:           8
        .value_kind:     by_value
      - .offset:         96
        .size:           4
        .value_kind:     by_value
    .group_segment_fixed_size: 2048
    .kernarg_segment_align: 8
    .kernarg_segment_size: 100
    .language:       OpenCL C
    .language_version:
      - 2
      - 0
    .max_flat_workgroup_size: 256
    .name:           _ZL29rocblas_internal_gemmt_kernelIiLi16ELi32ELi8ELc67ELc78ELc85ELb0ELb0EfPKfPKS1_PKPfEviT_T9_T10_S7_lS9_S7_lS8_T11_S7_li
    .private_segment_fixed_size: 0
    .sgpr_count:     33
    .sgpr_spill_count: 0
    .symbol:         _ZL29rocblas_internal_gemmt_kernelIiLi16ELi32ELi8ELc67ELc78ELc85ELb0ELb0EfPKfPKS1_PKPfEviT_T9_T10_S7_lS9_S7_lS8_T11_S7_li.kd
    .uniform_work_group_size: 1
    .uses_dynamic_stack: false
    .vgpr_count:     56
    .vgpr_spill_count: 0
    .wavefront_size: 32
  - .args:
      - .offset:         0
        .size:           4
        .value_kind:     by_value
      - .offset:         4
        .size:           4
        .value_kind:     by_value
      - .address_space:  global
        .offset:         8
        .size:           8
        .value_kind:     global_buffer
      - .address_space:  global
        .offset:         16
        .size:           8
        .value_kind:     global_buffer
      - .offset:         24
        .size:           4
        .value_kind:     by_value
      - .offset:         32
        .size:           8
        .value_kind:     by_value
      - .address_space:  global
        .offset:         40
        .size:           8
        .value_kind:     global_buffer
      - .offset:         48
        .size:           4
        .value_kind:     by_value
      - .offset:         56
        .size:           8
        .value_kind:     by_value
      - .address_space:  global
        .offset:         64
        .size:           8
        .value_kind:     global_buffer
      - .address_space:  global
        .offset:         72
        .size:           8
        .value_kind:     global_buffer
      - .offset:         80
        .size:           4
        .value_kind:     by_value
      - .offset:         88
        .size:           8
        .value_kind:     by_value
      - .offset:         96
        .size:           4
        .value_kind:     by_value
    .group_segment_fixed_size: 2048
    .kernarg_segment_align: 8
    .kernarg_segment_size: 100
    .language:       OpenCL C
    .language_version:
      - 2
      - 0
    .max_flat_workgroup_size: 256
    .name:           _ZL29rocblas_internal_gemmt_kernelIiLi16ELi32ELi8ELc67ELc84ELc85ELb0ELb0EfPKfPKS1_PKPfEviT_T9_T10_S7_lS9_S7_lS8_T11_S7_li
    .private_segment_fixed_size: 0
    .sgpr_count:     33
    .sgpr_spill_count: 0
    .symbol:         _ZL29rocblas_internal_gemmt_kernelIiLi16ELi32ELi8ELc67ELc84ELc85ELb0ELb0EfPKfPKS1_PKPfEviT_T9_T10_S7_lS9_S7_lS8_T11_S7_li.kd
    .uniform_work_group_size: 1
    .uses_dynamic_stack: false
    .vgpr_count:     56
    .vgpr_spill_count: 0
    .wavefront_size: 32
  - .args:
      - .offset:         0
        .size:           4
        .value_kind:     by_value
      - .offset:         4
        .size:           4
        .value_kind:     by_value
      - .address_space:  global
        .offset:         8
        .size:           8
        .value_kind:     global_buffer
      - .address_space:  global
        .offset:         16
        .size:           8
        .value_kind:     global_buffer
      - .offset:         24
        .size:           4
        .value_kind:     by_value
      - .offset:         32
        .size:           8
        .value_kind:     by_value
      - .address_space:  global
        .offset:         40
        .size:           8
        .value_kind:     global_buffer
      - .offset:         48
        .size:           4
        .value_kind:     by_value
      - .offset:         56
        .size:           8
        .value_kind:     by_value
      - .address_space:  global
        .offset:         64
        .size:           8
        .value_kind:     global_buffer
      - .address_space:  global
        .offset:         72
        .size:           8
        .value_kind:     global_buffer
      - .offset:         80
        .size:           4
        .value_kind:     by_value
      - .offset:         88
        .size:           8
        .value_kind:     by_value
      - .offset:         96
        .size:           4
        .value_kind:     by_value
    .group_segment_fixed_size: 2048
    .kernarg_segment_align: 8
    .kernarg_segment_size: 100
    .language:       OpenCL C
    .language_version:
      - 2
      - 0
    .max_flat_workgroup_size: 256
    .name:           _ZL29rocblas_internal_gemmt_kernelIiLi16ELi32ELi8ELc67ELc67ELc85ELb0ELb0EfPKfPKS1_PKPfEviT_T9_T10_S7_lS9_S7_lS8_T11_S7_li
    .private_segment_fixed_size: 0
    .sgpr_count:     33
    .sgpr_spill_count: 0
    .symbol:         _ZL29rocblas_internal_gemmt_kernelIiLi16ELi32ELi8ELc67ELc67ELc85ELb0ELb0EfPKfPKS1_PKPfEviT_T9_T10_S7_lS9_S7_lS8_T11_S7_li.kd
    .uniform_work_group_size: 1
    .uses_dynamic_stack: false
    .vgpr_count:     56
    .vgpr_spill_count: 0
    .wavefront_size: 32
  - .args:
      - .offset:         0
        .size:           4
        .value_kind:     by_value
      - .offset:         4
        .size:           4
        .value_kind:     by_value
      - .address_space:  global
        .offset:         8
        .size:           8
        .value_kind:     global_buffer
      - .address_space:  global
        .offset:         16
        .size:           8
        .value_kind:     global_buffer
      - .offset:         24
        .size:           4
        .value_kind:     by_value
      - .offset:         32
        .size:           8
        .value_kind:     by_value
      - .address_space:  global
        .offset:         40
        .size:           8
        .value_kind:     global_buffer
      - .offset:         48
        .size:           4
        .value_kind:     by_value
      - .offset:         56
        .size:           8
        .value_kind:     by_value
      - .address_space:  global
        .offset:         64
        .size:           8
        .value_kind:     global_buffer
      - .address_space:  global
        .offset:         72
        .size:           8
        .value_kind:     global_buffer
      - .offset:         80
        .size:           4
        .value_kind:     by_value
      - .offset:         88
        .size:           8
        .value_kind:     by_value
      - .offset:         96
        .size:           4
        .value_kind:     by_value
    .group_segment_fixed_size: 2048
    .kernarg_segment_align: 8
    .kernarg_segment_size: 100
    .language:       OpenCL C
    .language_version:
      - 2
      - 0
    .max_flat_workgroup_size: 256
    .name:           _ZL29rocblas_internal_gemmt_kernelIiLi16ELi32ELi8ELc78ELc78ELc76ELb0ELb0EfPKfPKS1_PKPfEviT_T9_T10_S7_lS9_S7_lS8_T11_S7_li
    .private_segment_fixed_size: 0
    .sgpr_count:     33
    .sgpr_spill_count: 0
    .symbol:         _ZL29rocblas_internal_gemmt_kernelIiLi16ELi32ELi8ELc78ELc78ELc76ELb0ELb0EfPKfPKS1_PKPfEviT_T9_T10_S7_lS9_S7_lS8_T11_S7_li.kd
    .uniform_work_group_size: 1
    .uses_dynamic_stack: false
    .vgpr_count:     56
    .vgpr_spill_count: 0
    .wavefront_size: 32
  - .args:
      - .offset:         0
        .size:           4
        .value_kind:     by_value
      - .offset:         4
        .size:           4
        .value_kind:     by_value
      - .address_space:  global
        .offset:         8
        .size:           8
        .value_kind:     global_buffer
      - .address_space:  global
        .offset:         16
        .size:           8
        .value_kind:     global_buffer
      - .offset:         24
        .size:           4
        .value_kind:     by_value
      - .offset:         32
        .size:           8
        .value_kind:     by_value
      - .address_space:  global
        .offset:         40
        .size:           8
        .value_kind:     global_buffer
      - .offset:         48
        .size:           4
        .value_kind:     by_value
      - .offset:         56
        .size:           8
        .value_kind:     by_value
      - .address_space:  global
        .offset:         64
        .size:           8
        .value_kind:     global_buffer
      - .address_space:  global
        .offset:         72
        .size:           8
        .value_kind:     global_buffer
      - .offset:         80
        .size:           4
        .value_kind:     by_value
      - .offset:         88
        .size:           8
        .value_kind:     by_value
      - .offset:         96
        .size:           4
        .value_kind:     by_value
    .group_segment_fixed_size: 2048
    .kernarg_segment_align: 8
    .kernarg_segment_size: 100
    .language:       OpenCL C
    .language_version:
      - 2
      - 0
    .max_flat_workgroup_size: 256
    .name:           _ZL29rocblas_internal_gemmt_kernelIiLi16ELi32ELi8ELc78ELc84ELc76ELb0ELb0EfPKfPKS1_PKPfEviT_T9_T10_S7_lS9_S7_lS8_T11_S7_li
    .private_segment_fixed_size: 0
    .sgpr_count:     36
    .sgpr_spill_count: 0
    .symbol:         _ZL29rocblas_internal_gemmt_kernelIiLi16ELi32ELi8ELc78ELc84ELc76ELb0ELb0EfPKfPKS1_PKPfEviT_T9_T10_S7_lS9_S7_lS8_T11_S7_li.kd
    .uniform_work_group_size: 1
    .uses_dynamic_stack: false
    .vgpr_count:     56
    .vgpr_spill_count: 0
    .wavefront_size: 32
  - .args:
      - .offset:         0
        .size:           4
        .value_kind:     by_value
      - .offset:         4
        .size:           4
        .value_kind:     by_value
      - .address_space:  global
        .offset:         8
        .size:           8
        .value_kind:     global_buffer
      - .address_space:  global
        .offset:         16
        .size:           8
        .value_kind:     global_buffer
      - .offset:         24
        .size:           4
        .value_kind:     by_value
      - .offset:         32
        .size:           8
        .value_kind:     by_value
      - .address_space:  global
        .offset:         40
        .size:           8
        .value_kind:     global_buffer
      - .offset:         48
        .size:           4
        .value_kind:     by_value
      - .offset:         56
        .size:           8
        .value_kind:     by_value
      - .address_space:  global
        .offset:         64
        .size:           8
        .value_kind:     global_buffer
      - .address_space:  global
        .offset:         72
        .size:           8
        .value_kind:     global_buffer
      - .offset:         80
        .size:           4
        .value_kind:     by_value
      - .offset:         88
        .size:           8
        .value_kind:     by_value
      - .offset:         96
        .size:           4
        .value_kind:     by_value
    .group_segment_fixed_size: 2048
    .kernarg_segment_align: 8
    .kernarg_segment_size: 100
    .language:       OpenCL C
    .language_version:
      - 2
      - 0
    .max_flat_workgroup_size: 256
    .name:           _ZL29rocblas_internal_gemmt_kernelIiLi16ELi32ELi8ELc78ELc67ELc76ELb0ELb0EfPKfPKS1_PKPfEviT_T9_T10_S7_lS9_S7_lS8_T11_S7_li
    .private_segment_fixed_size: 0
    .sgpr_count:     36
    .sgpr_spill_count: 0
    .symbol:         _ZL29rocblas_internal_gemmt_kernelIiLi16ELi32ELi8ELc78ELc67ELc76ELb0ELb0EfPKfPKS1_PKPfEviT_T9_T10_S7_lS9_S7_lS8_T11_S7_li.kd
    .uniform_work_group_size: 1
    .uses_dynamic_stack: false
    .vgpr_count:     56
    .vgpr_spill_count: 0
    .wavefront_size: 32
  - .args:
      - .offset:         0
        .size:           4
        .value_kind:     by_value
      - .offset:         4
        .size:           4
        .value_kind:     by_value
      - .address_space:  global
        .offset:         8
        .size:           8
        .value_kind:     global_buffer
      - .address_space:  global
        .offset:         16
        .size:           8
        .value_kind:     global_buffer
      - .offset:         24
        .size:           4
        .value_kind:     by_value
      - .offset:         32
        .size:           8
        .value_kind:     by_value
      - .address_space:  global
        .offset:         40
        .size:           8
        .value_kind:     global_buffer
      - .offset:         48
        .size:           4
        .value_kind:     by_value
      - .offset:         56
        .size:           8
        .value_kind:     by_value
      - .address_space:  global
        .offset:         64
        .size:           8
        .value_kind:     global_buffer
      - .address_space:  global
        .offset:         72
        .size:           8
        .value_kind:     global_buffer
      - .offset:         80
        .size:           4
        .value_kind:     by_value
      - .offset:         88
        .size:           8
        .value_kind:     by_value
      - .offset:         96
        .size:           4
        .value_kind:     by_value
    .group_segment_fixed_size: 2048
    .kernarg_segment_align: 8
    .kernarg_segment_size: 100
    .language:       OpenCL C
    .language_version:
      - 2
      - 0
    .max_flat_workgroup_size: 256
    .name:           _ZL29rocblas_internal_gemmt_kernelIiLi16ELi32ELi8ELc84ELc78ELc76ELb0ELb0EfPKfPKS1_PKPfEviT_T9_T10_S7_lS9_S7_lS8_T11_S7_li
    .private_segment_fixed_size: 0
    .sgpr_count:     33
    .sgpr_spill_count: 0
    .symbol:         _ZL29rocblas_internal_gemmt_kernelIiLi16ELi32ELi8ELc84ELc78ELc76ELb0ELb0EfPKfPKS1_PKPfEviT_T9_T10_S7_lS9_S7_lS8_T11_S7_li.kd
    .uniform_work_group_size: 1
    .uses_dynamic_stack: false
    .vgpr_count:     56
    .vgpr_spill_count: 0
    .wavefront_size: 32
  - .args:
      - .offset:         0
        .size:           4
        .value_kind:     by_value
      - .offset:         4
        .size:           4
        .value_kind:     by_value
      - .address_space:  global
        .offset:         8
        .size:           8
        .value_kind:     global_buffer
      - .address_space:  global
        .offset:         16
        .size:           8
        .value_kind:     global_buffer
      - .offset:         24
        .size:           4
        .value_kind:     by_value
      - .offset:         32
        .size:           8
        .value_kind:     by_value
      - .address_space:  global
        .offset:         40
        .size:           8
        .value_kind:     global_buffer
      - .offset:         48
        .size:           4
        .value_kind:     by_value
      - .offset:         56
        .size:           8
        .value_kind:     by_value
      - .address_space:  global
        .offset:         64
        .size:           8
        .value_kind:     global_buffer
      - .address_space:  global
        .offset:         72
        .size:           8
        .value_kind:     global_buffer
      - .offset:         80
        .size:           4
        .value_kind:     by_value
      - .offset:         88
        .size:           8
        .value_kind:     by_value
      - .offset:         96
        .size:           4
        .value_kind:     by_value
    .group_segment_fixed_size: 2048
    .kernarg_segment_align: 8
    .kernarg_segment_size: 100
    .language:       OpenCL C
    .language_version:
      - 2
      - 0
    .max_flat_workgroup_size: 256
    .name:           _ZL29rocblas_internal_gemmt_kernelIiLi16ELi32ELi8ELc84ELc84ELc76ELb0ELb0EfPKfPKS1_PKPfEviT_T9_T10_S7_lS9_S7_lS8_T11_S7_li
    .private_segment_fixed_size: 0
    .sgpr_count:     33
    .sgpr_spill_count: 0
    .symbol:         _ZL29rocblas_internal_gemmt_kernelIiLi16ELi32ELi8ELc84ELc84ELc76ELb0ELb0EfPKfPKS1_PKPfEviT_T9_T10_S7_lS9_S7_lS8_T11_S7_li.kd
    .uniform_work_group_size: 1
    .uses_dynamic_stack: false
    .vgpr_count:     56
    .vgpr_spill_count: 0
    .wavefront_size: 32
  - .args:
      - .offset:         0
        .size:           4
        .value_kind:     by_value
      - .offset:         4
        .size:           4
        .value_kind:     by_value
      - .address_space:  global
        .offset:         8
        .size:           8
        .value_kind:     global_buffer
      - .address_space:  global
        .offset:         16
        .size:           8
        .value_kind:     global_buffer
      - .offset:         24
        .size:           4
        .value_kind:     by_value
      - .offset:         32
        .size:           8
        .value_kind:     by_value
      - .address_space:  global
        .offset:         40
        .size:           8
        .value_kind:     global_buffer
      - .offset:         48
        .size:           4
        .value_kind:     by_value
      - .offset:         56
        .size:           8
        .value_kind:     by_value
      - .address_space:  global
        .offset:         64
        .size:           8
        .value_kind:     global_buffer
      - .address_space:  global
        .offset:         72
        .size:           8
        .value_kind:     global_buffer
      - .offset:         80
        .size:           4
        .value_kind:     by_value
      - .offset:         88
        .size:           8
        .value_kind:     by_value
      - .offset:         96
        .size:           4
        .value_kind:     by_value
    .group_segment_fixed_size: 2048
    .kernarg_segment_align: 8
    .kernarg_segment_size: 100
    .language:       OpenCL C
    .language_version:
      - 2
      - 0
    .max_flat_workgroup_size: 256
    .name:           _ZL29rocblas_internal_gemmt_kernelIiLi16ELi32ELi8ELc84ELc67ELc76ELb0ELb0EfPKfPKS1_PKPfEviT_T9_T10_S7_lS9_S7_lS8_T11_S7_li
    .private_segment_fixed_size: 0
    .sgpr_count:     33
    .sgpr_spill_count: 0
    .symbol:         _ZL29rocblas_internal_gemmt_kernelIiLi16ELi32ELi8ELc84ELc67ELc76ELb0ELb0EfPKfPKS1_PKPfEviT_T9_T10_S7_lS9_S7_lS8_T11_S7_li.kd
    .uniform_work_group_size: 1
    .uses_dynamic_stack: false
    .vgpr_count:     56
    .vgpr_spill_count: 0
    .wavefront_size: 32
  - .args:
      - .offset:         0
        .size:           4
        .value_kind:     by_value
      - .offset:         4
        .size:           4
        .value_kind:     by_value
      - .address_space:  global
        .offset:         8
        .size:           8
        .value_kind:     global_buffer
      - .address_space:  global
        .offset:         16
        .size:           8
        .value_kind:     global_buffer
      - .offset:         24
        .size:           4
        .value_kind:     by_value
      - .offset:         32
        .size:           8
        .value_kind:     by_value
      - .address_space:  global
        .offset:         40
        .size:           8
        .value_kind:     global_buffer
      - .offset:         48
        .size:           4
        .value_kind:     by_value
      - .offset:         56
        .size:           8
        .value_kind:     by_value
      - .address_space:  global
        .offset:         64
        .size:           8
        .value_kind:     global_buffer
      - .address_space:  global
        .offset:         72
        .size:           8
        .value_kind:     global_buffer
      - .offset:         80
        .size:           4
        .value_kind:     by_value
      - .offset:         88
        .size:           8
        .value_kind:     by_value
      - .offset:         96
        .size:           4
        .value_kind:     by_value
    .group_segment_fixed_size: 2048
    .kernarg_segment_align: 8
    .kernarg_segment_size: 100
    .language:       OpenCL C
    .language_version:
      - 2
      - 0
    .max_flat_workgroup_size: 256
    .name:           _ZL29rocblas_internal_gemmt_kernelIiLi16ELi32ELi8ELc67ELc78ELc76ELb0ELb0EfPKfPKS1_PKPfEviT_T9_T10_S7_lS9_S7_lS8_T11_S7_li
    .private_segment_fixed_size: 0
    .sgpr_count:     33
    .sgpr_spill_count: 0
    .symbol:         _ZL29rocblas_internal_gemmt_kernelIiLi16ELi32ELi8ELc67ELc78ELc76ELb0ELb0EfPKfPKS1_PKPfEviT_T9_T10_S7_lS9_S7_lS8_T11_S7_li.kd
    .uniform_work_group_size: 1
    .uses_dynamic_stack: false
    .vgpr_count:     56
    .vgpr_spill_count: 0
    .wavefront_size: 32
  - .args:
      - .offset:         0
        .size:           4
        .value_kind:     by_value
      - .offset:         4
        .size:           4
        .value_kind:     by_value
      - .address_space:  global
        .offset:         8
        .size:           8
        .value_kind:     global_buffer
      - .address_space:  global
        .offset:         16
        .size:           8
        .value_kind:     global_buffer
      - .offset:         24
        .size:           4
        .value_kind:     by_value
      - .offset:         32
        .size:           8
        .value_kind:     by_value
      - .address_space:  global
        .offset:         40
        .size:           8
        .value_kind:     global_buffer
      - .offset:         48
        .size:           4
        .value_kind:     by_value
      - .offset:         56
        .size:           8
        .value_kind:     by_value
      - .address_space:  global
        .offset:         64
        .size:           8
        .value_kind:     global_buffer
      - .address_space:  global
        .offset:         72
        .size:           8
        .value_kind:     global_buffer
      - .offset:         80
        .size:           4
        .value_kind:     by_value
      - .offset:         88
        .size:           8
        .value_kind:     by_value
      - .offset:         96
        .size:           4
        .value_kind:     by_value
    .group_segment_fixed_size: 2048
    .kernarg_segment_align: 8
    .kernarg_segment_size: 100
    .language:       OpenCL C
    .language_version:
      - 2
      - 0
    .max_flat_workgroup_size: 256
    .name:           _ZL29rocblas_internal_gemmt_kernelIiLi16ELi32ELi8ELc67ELc84ELc76ELb0ELb0EfPKfPKS1_PKPfEviT_T9_T10_S7_lS9_S7_lS8_T11_S7_li
    .private_segment_fixed_size: 0
    .sgpr_count:     33
    .sgpr_spill_count: 0
    .symbol:         _ZL29rocblas_internal_gemmt_kernelIiLi16ELi32ELi8ELc67ELc84ELc76ELb0ELb0EfPKfPKS1_PKPfEviT_T9_T10_S7_lS9_S7_lS8_T11_S7_li.kd
    .uniform_work_group_size: 1
    .uses_dynamic_stack: false
    .vgpr_count:     56
    .vgpr_spill_count: 0
    .wavefront_size: 32
  - .args:
      - .offset:         0
        .size:           4
        .value_kind:     by_value
      - .offset:         4
        .size:           4
        .value_kind:     by_value
      - .address_space:  global
        .offset:         8
        .size:           8
        .value_kind:     global_buffer
      - .address_space:  global
        .offset:         16
        .size:           8
        .value_kind:     global_buffer
      - .offset:         24
        .size:           4
        .value_kind:     by_value
      - .offset:         32
        .size:           8
        .value_kind:     by_value
      - .address_space:  global
        .offset:         40
        .size:           8
        .value_kind:     global_buffer
      - .offset:         48
        .size:           4
        .value_kind:     by_value
      - .offset:         56
        .size:           8
        .value_kind:     by_value
      - .address_space:  global
        .offset:         64
        .size:           8
        .value_kind:     global_buffer
      - .address_space:  global
        .offset:         72
        .size:           8
        .value_kind:     global_buffer
      - .offset:         80
        .size:           4
        .value_kind:     by_value
      - .offset:         88
        .size:           8
        .value_kind:     by_value
      - .offset:         96
        .size:           4
        .value_kind:     by_value
    .group_segment_fixed_size: 2048
    .kernarg_segment_align: 8
    .kernarg_segment_size: 100
    .language:       OpenCL C
    .language_version:
      - 2
      - 0
    .max_flat_workgroup_size: 256
    .name:           _ZL29rocblas_internal_gemmt_kernelIiLi16ELi32ELi8ELc67ELc67ELc76ELb0ELb0EfPKfPKS1_PKPfEviT_T9_T10_S7_lS9_S7_lS8_T11_S7_li
    .private_segment_fixed_size: 0
    .sgpr_count:     33
    .sgpr_spill_count: 0
    .symbol:         _ZL29rocblas_internal_gemmt_kernelIiLi16ELi32ELi8ELc67ELc67ELc76ELb0ELb0EfPKfPKS1_PKPfEviT_T9_T10_S7_lS9_S7_lS8_T11_S7_li.kd
    .uniform_work_group_size: 1
    .uses_dynamic_stack: false
    .vgpr_count:     56
    .vgpr_spill_count: 0
    .wavefront_size: 32
  - .args:
      - .offset:         0
        .size:           4
        .value_kind:     by_value
      - .offset:         4
        .size:           4
        .value_kind:     by_value
      - .offset:         8
        .size:           4
        .value_kind:     by_value
      - .address_space:  global
        .offset:         16
        .size:           8
        .value_kind:     global_buffer
      - .offset:         24
        .size:           4
        .value_kind:     by_value
      - .offset:         32
        .size:           8
        .value_kind:     by_value
      - .address_space:  global
        .offset:         40
        .size:           8
        .value_kind:     global_buffer
      - .offset:         48
        .size:           4
        .value_kind:     by_value
      - .offset:         56
        .size:           8
        .value_kind:     by_value
      - .offset:         64
        .size:           4
        .value_kind:     by_value
      - .address_space:  global
        .offset:         72
        .size:           8
        .value_kind:     global_buffer
      - .offset:         80
        .size:           4
        .value_kind:     by_value
      - .offset:         88
        .size:           8
        .value_kind:     by_value
      - .offset:         96
        .size:           4
        .value_kind:     by_value
    .group_segment_fixed_size: 2048
    .kernarg_segment_align: 8
    .kernarg_segment_size: 100
    .language:       OpenCL C
    .language_version:
      - 2
      - 0
    .max_flat_workgroup_size: 256
    .name:           _ZL29rocblas_internal_gemmt_kernelIiLi16ELi32ELi8ELc78ELc78ELc85ELb0ELb0EffPKPKfPKPfEviT_T9_T10_S7_lS9_S7_lS8_T11_S7_li
    .private_segment_fixed_size: 0
    .sgpr_count:     33
    .sgpr_spill_count: 0
    .symbol:         _ZL29rocblas_internal_gemmt_kernelIiLi16ELi32ELi8ELc78ELc78ELc85ELb0ELb0EffPKPKfPKPfEviT_T9_T10_S7_lS9_S7_lS8_T11_S7_li.kd
    .uniform_work_group_size: 1
    .uses_dynamic_stack: false
    .vgpr_count:     56
    .vgpr_spill_count: 0
    .wavefront_size: 32
  - .args:
      - .offset:         0
        .size:           4
        .value_kind:     by_value
      - .offset:         4
        .size:           4
        .value_kind:     by_value
      - .offset:         8
        .size:           4
        .value_kind:     by_value
      - .address_space:  global
        .offset:         16
        .size:           8
        .value_kind:     global_buffer
      - .offset:         24
        .size:           4
        .value_kind:     by_value
      - .offset:         32
        .size:           8
        .value_kind:     by_value
      - .address_space:  global
        .offset:         40
        .size:           8
        .value_kind:     global_buffer
      - .offset:         48
        .size:           4
        .value_kind:     by_value
      - .offset:         56
        .size:           8
        .value_kind:     by_value
      - .offset:         64
        .size:           4
        .value_kind:     by_value
      - .address_space:  global
        .offset:         72
        .size:           8
        .value_kind:     global_buffer
      - .offset:         80
        .size:           4
        .value_kind:     by_value
      - .offset:         88
        .size:           8
        .value_kind:     by_value
      - .offset:         96
        .size:           4
        .value_kind:     by_value
    .group_segment_fixed_size: 2048
    .kernarg_segment_align: 8
    .kernarg_segment_size: 100
    .language:       OpenCL C
    .language_version:
      - 2
      - 0
    .max_flat_workgroup_size: 256
    .name:           _ZL29rocblas_internal_gemmt_kernelIiLi16ELi32ELi8ELc78ELc84ELc85ELb0ELb0EffPKPKfPKPfEviT_T9_T10_S7_lS9_S7_lS8_T11_S7_li
    .private_segment_fixed_size: 0
    .sgpr_count:     34
    .sgpr_spill_count: 0
    .symbol:         _ZL29rocblas_internal_gemmt_kernelIiLi16ELi32ELi8ELc78ELc84ELc85ELb0ELb0EffPKPKfPKPfEviT_T9_T10_S7_lS9_S7_lS8_T11_S7_li.kd
    .uniform_work_group_size: 1
    .uses_dynamic_stack: false
    .vgpr_count:     56
    .vgpr_spill_count: 0
    .wavefront_size: 32
  - .args:
      - .offset:         0
        .size:           4
        .value_kind:     by_value
      - .offset:         4
        .size:           4
        .value_kind:     by_value
      - .offset:         8
        .size:           4
        .value_kind:     by_value
      - .address_space:  global
        .offset:         16
        .size:           8
        .value_kind:     global_buffer
      - .offset:         24
        .size:           4
        .value_kind:     by_value
      - .offset:         32
        .size:           8
        .value_kind:     by_value
      - .address_space:  global
        .offset:         40
        .size:           8
        .value_kind:     global_buffer
      - .offset:         48
        .size:           4
        .value_kind:     by_value
      - .offset:         56
        .size:           8
        .value_kind:     by_value
      - .offset:         64
        .size:           4
        .value_kind:     by_value
      - .address_space:  global
        .offset:         72
        .size:           8
        .value_kind:     global_buffer
      - .offset:         80
        .size:           4
        .value_kind:     by_value
      - .offset:         88
        .size:           8
        .value_kind:     by_value
      - .offset:         96
        .size:           4
        .value_kind:     by_value
    .group_segment_fixed_size: 2048
    .kernarg_segment_align: 8
    .kernarg_segment_size: 100
    .language:       OpenCL C
    .language_version:
      - 2
      - 0
    .max_flat_workgroup_size: 256
    .name:           _ZL29rocblas_internal_gemmt_kernelIiLi16ELi32ELi8ELc78ELc67ELc85ELb0ELb0EffPKPKfPKPfEviT_T9_T10_S7_lS9_S7_lS8_T11_S7_li
    .private_segment_fixed_size: 0
    .sgpr_count:     34
    .sgpr_spill_count: 0
    .symbol:         _ZL29rocblas_internal_gemmt_kernelIiLi16ELi32ELi8ELc78ELc67ELc85ELb0ELb0EffPKPKfPKPfEviT_T9_T10_S7_lS9_S7_lS8_T11_S7_li.kd
    .uniform_work_group_size: 1
    .uses_dynamic_stack: false
    .vgpr_count:     56
    .vgpr_spill_count: 0
    .wavefront_size: 32
  - .args:
      - .offset:         0
        .size:           4
        .value_kind:     by_value
      - .offset:         4
        .size:           4
        .value_kind:     by_value
      - .offset:         8
        .size:           4
        .value_kind:     by_value
      - .address_space:  global
        .offset:         16
        .size:           8
        .value_kind:     global_buffer
      - .offset:         24
        .size:           4
        .value_kind:     by_value
      - .offset:         32
        .size:           8
        .value_kind:     by_value
      - .address_space:  global
        .offset:         40
        .size:           8
        .value_kind:     global_buffer
      - .offset:         48
        .size:           4
        .value_kind:     by_value
      - .offset:         56
        .size:           8
        .value_kind:     by_value
      - .offset:         64
        .size:           4
        .value_kind:     by_value
      - .address_space:  global
        .offset:         72
        .size:           8
        .value_kind:     global_buffer
      - .offset:         80
        .size:           4
        .value_kind:     by_value
      - .offset:         88
        .size:           8
        .value_kind:     by_value
      - .offset:         96
        .size:           4
        .value_kind:     by_value
    .group_segment_fixed_size: 2048
    .kernarg_segment_align: 8
    .kernarg_segment_size: 100
    .language:       OpenCL C
    .language_version:
      - 2
      - 0
    .max_flat_workgroup_size: 256
    .name:           _ZL29rocblas_internal_gemmt_kernelIiLi16ELi32ELi8ELc84ELc78ELc85ELb0ELb0EffPKPKfPKPfEviT_T9_T10_S7_lS9_S7_lS8_T11_S7_li
    .private_segment_fixed_size: 0
    .sgpr_count:     33
    .sgpr_spill_count: 0
    .symbol:         _ZL29rocblas_internal_gemmt_kernelIiLi16ELi32ELi8ELc84ELc78ELc85ELb0ELb0EffPKPKfPKPfEviT_T9_T10_S7_lS9_S7_lS8_T11_S7_li.kd
    .uniform_work_group_size: 1
    .uses_dynamic_stack: false
    .vgpr_count:     56
    .vgpr_spill_count: 0
    .wavefront_size: 32
  - .args:
      - .offset:         0
        .size:           4
        .value_kind:     by_value
      - .offset:         4
        .size:           4
        .value_kind:     by_value
      - .offset:         8
        .size:           4
        .value_kind:     by_value
      - .address_space:  global
        .offset:         16
        .size:           8
        .value_kind:     global_buffer
      - .offset:         24
        .size:           4
        .value_kind:     by_value
      - .offset:         32
        .size:           8
        .value_kind:     by_value
      - .address_space:  global
        .offset:         40
        .size:           8
        .value_kind:     global_buffer
      - .offset:         48
        .size:           4
        .value_kind:     by_value
      - .offset:         56
        .size:           8
        .value_kind:     by_value
      - .offset:         64
        .size:           4
        .value_kind:     by_value
      - .address_space:  global
        .offset:         72
        .size:           8
        .value_kind:     global_buffer
      - .offset:         80
        .size:           4
        .value_kind:     by_value
      - .offset:         88
        .size:           8
        .value_kind:     by_value
      - .offset:         96
        .size:           4
        .value_kind:     by_value
    .group_segment_fixed_size: 2048
    .kernarg_segment_align: 8
    .kernarg_segment_size: 100
    .language:       OpenCL C
    .language_version:
      - 2
      - 0
    .max_flat_workgroup_size: 256
    .name:           _ZL29rocblas_internal_gemmt_kernelIiLi16ELi32ELi8ELc84ELc84ELc85ELb0ELb0EffPKPKfPKPfEviT_T9_T10_S7_lS9_S7_lS8_T11_S7_li
    .private_segment_fixed_size: 0
    .sgpr_count:     33
    .sgpr_spill_count: 0
    .symbol:         _ZL29rocblas_internal_gemmt_kernelIiLi16ELi32ELi8ELc84ELc84ELc85ELb0ELb0EffPKPKfPKPfEviT_T9_T10_S7_lS9_S7_lS8_T11_S7_li.kd
    .uniform_work_group_size: 1
    .uses_dynamic_stack: false
    .vgpr_count:     56
    .vgpr_spill_count: 0
    .wavefront_size: 32
  - .args:
      - .offset:         0
        .size:           4
        .value_kind:     by_value
      - .offset:         4
        .size:           4
        .value_kind:     by_value
      - .offset:         8
        .size:           4
        .value_kind:     by_value
      - .address_space:  global
        .offset:         16
        .size:           8
        .value_kind:     global_buffer
      - .offset:         24
        .size:           4
        .value_kind:     by_value
      - .offset:         32
        .size:           8
        .value_kind:     by_value
      - .address_space:  global
        .offset:         40
        .size:           8
        .value_kind:     global_buffer
      - .offset:         48
        .size:           4
        .value_kind:     by_value
      - .offset:         56
        .size:           8
        .value_kind:     by_value
      - .offset:         64
        .size:           4
        .value_kind:     by_value
      - .address_space:  global
        .offset:         72
        .size:           8
        .value_kind:     global_buffer
      - .offset:         80
        .size:           4
        .value_kind:     by_value
      - .offset:         88
        .size:           8
        .value_kind:     by_value
      - .offset:         96
        .size:           4
        .value_kind:     by_value
    .group_segment_fixed_size: 2048
    .kernarg_segment_align: 8
    .kernarg_segment_size: 100
    .language:       OpenCL C
    .language_version:
      - 2
      - 0
    .max_flat_workgroup_size: 256
    .name:           _ZL29rocblas_internal_gemmt_kernelIiLi16ELi32ELi8ELc84ELc67ELc85ELb0ELb0EffPKPKfPKPfEviT_T9_T10_S7_lS9_S7_lS8_T11_S7_li
    .private_segment_fixed_size: 0
    .sgpr_count:     33
    .sgpr_spill_count: 0
    .symbol:         _ZL29rocblas_internal_gemmt_kernelIiLi16ELi32ELi8ELc84ELc67ELc85ELb0ELb0EffPKPKfPKPfEviT_T9_T10_S7_lS9_S7_lS8_T11_S7_li.kd
    .uniform_work_group_size: 1
    .uses_dynamic_stack: false
    .vgpr_count:     56
    .vgpr_spill_count: 0
    .wavefront_size: 32
  - .args:
      - .offset:         0
        .size:           4
        .value_kind:     by_value
      - .offset:         4
        .size:           4
        .value_kind:     by_value
      - .offset:         8
        .size:           4
        .value_kind:     by_value
      - .address_space:  global
        .offset:         16
        .size:           8
        .value_kind:     global_buffer
      - .offset:         24
        .size:           4
        .value_kind:     by_value
      - .offset:         32
        .size:           8
        .value_kind:     by_value
      - .address_space:  global
        .offset:         40
        .size:           8
        .value_kind:     global_buffer
      - .offset:         48
        .size:           4
        .value_kind:     by_value
      - .offset:         56
        .size:           8
        .value_kind:     by_value
      - .offset:         64
        .size:           4
        .value_kind:     by_value
      - .address_space:  global
        .offset:         72
        .size:           8
        .value_kind:     global_buffer
      - .offset:         80
        .size:           4
        .value_kind:     by_value
      - .offset:         88
        .size:           8
        .value_kind:     by_value
      - .offset:         96
        .size:           4
        .value_kind:     by_value
    .group_segment_fixed_size: 2048
    .kernarg_segment_align: 8
    .kernarg_segment_size: 100
    .language:       OpenCL C
    .language_version:
      - 2
      - 0
    .max_flat_workgroup_size: 256
    .name:           _ZL29rocblas_internal_gemmt_kernelIiLi16ELi32ELi8ELc67ELc78ELc85ELb0ELb0EffPKPKfPKPfEviT_T9_T10_S7_lS9_S7_lS8_T11_S7_li
    .private_segment_fixed_size: 0
    .sgpr_count:     33
    .sgpr_spill_count: 0
    .symbol:         _ZL29rocblas_internal_gemmt_kernelIiLi16ELi32ELi8ELc67ELc78ELc85ELb0ELb0EffPKPKfPKPfEviT_T9_T10_S7_lS9_S7_lS8_T11_S7_li.kd
    .uniform_work_group_size: 1
    .uses_dynamic_stack: false
    .vgpr_count:     56
    .vgpr_spill_count: 0
    .wavefront_size: 32
  - .args:
      - .offset:         0
        .size:           4
        .value_kind:     by_value
      - .offset:         4
        .size:           4
        .value_kind:     by_value
      - .offset:         8
        .size:           4
        .value_kind:     by_value
      - .address_space:  global
        .offset:         16
        .size:           8
        .value_kind:     global_buffer
      - .offset:         24
        .size:           4
        .value_kind:     by_value
      - .offset:         32
        .size:           8
        .value_kind:     by_value
      - .address_space:  global
        .offset:         40
        .size:           8
        .value_kind:     global_buffer
      - .offset:         48
        .size:           4
        .value_kind:     by_value
      - .offset:         56
        .size:           8
        .value_kind:     by_value
      - .offset:         64
        .size:           4
        .value_kind:     by_value
      - .address_space:  global
        .offset:         72
        .size:           8
        .value_kind:     global_buffer
      - .offset:         80
        .size:           4
        .value_kind:     by_value
      - .offset:         88
        .size:           8
        .value_kind:     by_value
      - .offset:         96
        .size:           4
        .value_kind:     by_value
    .group_segment_fixed_size: 2048
    .kernarg_segment_align: 8
    .kernarg_segment_size: 100
    .language:       OpenCL C
    .language_version:
      - 2
      - 0
    .max_flat_workgroup_size: 256
    .name:           _ZL29rocblas_internal_gemmt_kernelIiLi16ELi32ELi8ELc67ELc84ELc85ELb0ELb0EffPKPKfPKPfEviT_T9_T10_S7_lS9_S7_lS8_T11_S7_li
    .private_segment_fixed_size: 0
    .sgpr_count:     33
    .sgpr_spill_count: 0
    .symbol:         _ZL29rocblas_internal_gemmt_kernelIiLi16ELi32ELi8ELc67ELc84ELc85ELb0ELb0EffPKPKfPKPfEviT_T9_T10_S7_lS9_S7_lS8_T11_S7_li.kd
    .uniform_work_group_size: 1
    .uses_dynamic_stack: false
    .vgpr_count:     56
    .vgpr_spill_count: 0
    .wavefront_size: 32
  - .args:
      - .offset:         0
        .size:           4
        .value_kind:     by_value
      - .offset:         4
        .size:           4
        .value_kind:     by_value
      - .offset:         8
        .size:           4
        .value_kind:     by_value
      - .address_space:  global
        .offset:         16
        .size:           8
        .value_kind:     global_buffer
      - .offset:         24
        .size:           4
        .value_kind:     by_value
      - .offset:         32
        .size:           8
        .value_kind:     by_value
      - .address_space:  global
        .offset:         40
        .size:           8
        .value_kind:     global_buffer
      - .offset:         48
        .size:           4
        .value_kind:     by_value
      - .offset:         56
        .size:           8
        .value_kind:     by_value
      - .offset:         64
        .size:           4
        .value_kind:     by_value
      - .address_space:  global
        .offset:         72
        .size:           8
        .value_kind:     global_buffer
      - .offset:         80
        .size:           4
        .value_kind:     by_value
      - .offset:         88
        .size:           8
        .value_kind:     by_value
      - .offset:         96
        .size:           4
        .value_kind:     by_value
    .group_segment_fixed_size: 2048
    .kernarg_segment_align: 8
    .kernarg_segment_size: 100
    .language:       OpenCL C
    .language_version:
      - 2
      - 0
    .max_flat_workgroup_size: 256
    .name:           _ZL29rocblas_internal_gemmt_kernelIiLi16ELi32ELi8ELc67ELc67ELc85ELb0ELb0EffPKPKfPKPfEviT_T9_T10_S7_lS9_S7_lS8_T11_S7_li
    .private_segment_fixed_size: 0
    .sgpr_count:     33
    .sgpr_spill_count: 0
    .symbol:         _ZL29rocblas_internal_gemmt_kernelIiLi16ELi32ELi8ELc67ELc67ELc85ELb0ELb0EffPKPKfPKPfEviT_T9_T10_S7_lS9_S7_lS8_T11_S7_li.kd
    .uniform_work_group_size: 1
    .uses_dynamic_stack: false
    .vgpr_count:     56
    .vgpr_spill_count: 0
    .wavefront_size: 32
  - .args:
      - .offset:         0
        .size:           4
        .value_kind:     by_value
      - .offset:         4
        .size:           4
        .value_kind:     by_value
      - .offset:         8
        .size:           4
        .value_kind:     by_value
      - .address_space:  global
        .offset:         16
        .size:           8
        .value_kind:     global_buffer
      - .offset:         24
        .size:           4
        .value_kind:     by_value
      - .offset:         32
        .size:           8
        .value_kind:     by_value
      - .address_space:  global
        .offset:         40
        .size:           8
        .value_kind:     global_buffer
      - .offset:         48
        .size:           4
        .value_kind:     by_value
      - .offset:         56
        .size:           8
        .value_kind:     by_value
      - .offset:         64
        .size:           4
        .value_kind:     by_value
      - .address_space:  global
        .offset:         72
        .size:           8
        .value_kind:     global_buffer
      - .offset:         80
        .size:           4
        .value_kind:     by_value
      - .offset:         88
        .size:           8
        .value_kind:     by_value
      - .offset:         96
        .size:           4
        .value_kind:     by_value
    .group_segment_fixed_size: 2048
    .kernarg_segment_align: 8
    .kernarg_segment_size: 100
    .language:       OpenCL C
    .language_version:
      - 2
      - 0
    .max_flat_workgroup_size: 256
    .name:           _ZL29rocblas_internal_gemmt_kernelIiLi16ELi32ELi8ELc78ELc78ELc76ELb0ELb0EffPKPKfPKPfEviT_T9_T10_S7_lS9_S7_lS8_T11_S7_li
    .private_segment_fixed_size: 0
    .sgpr_count:     33
    .sgpr_spill_count: 0
    .symbol:         _ZL29rocblas_internal_gemmt_kernelIiLi16ELi32ELi8ELc78ELc78ELc76ELb0ELb0EffPKPKfPKPfEviT_T9_T10_S7_lS9_S7_lS8_T11_S7_li.kd
    .uniform_work_group_size: 1
    .uses_dynamic_stack: false
    .vgpr_count:     56
    .vgpr_spill_count: 0
    .wavefront_size: 32
  - .args:
      - .offset:         0
        .size:           4
        .value_kind:     by_value
      - .offset:         4
        .size:           4
        .value_kind:     by_value
      - .offset:         8
        .size:           4
        .value_kind:     by_value
      - .address_space:  global
        .offset:         16
        .size:           8
        .value_kind:     global_buffer
      - .offset:         24
        .size:           4
        .value_kind:     by_value
      - .offset:         32
        .size:           8
        .value_kind:     by_value
      - .address_space:  global
        .offset:         40
        .size:           8
        .value_kind:     global_buffer
      - .offset:         48
        .size:           4
        .value_kind:     by_value
      - .offset:         56
        .size:           8
        .value_kind:     by_value
      - .offset:         64
        .size:           4
        .value_kind:     by_value
      - .address_space:  global
        .offset:         72
        .size:           8
        .value_kind:     global_buffer
      - .offset:         80
        .size:           4
        .value_kind:     by_value
      - .offset:         88
        .size:           8
        .value_kind:     by_value
      - .offset:         96
        .size:           4
        .value_kind:     by_value
    .group_segment_fixed_size: 2048
    .kernarg_segment_align: 8
    .kernarg_segment_size: 100
    .language:       OpenCL C
    .language_version:
      - 2
      - 0
    .max_flat_workgroup_size: 256
    .name:           _ZL29rocblas_internal_gemmt_kernelIiLi16ELi32ELi8ELc78ELc84ELc76ELb0ELb0EffPKPKfPKPfEviT_T9_T10_S7_lS9_S7_lS8_T11_S7_li
    .private_segment_fixed_size: 0
    .sgpr_count:     34
    .sgpr_spill_count: 0
    .symbol:         _ZL29rocblas_internal_gemmt_kernelIiLi16ELi32ELi8ELc78ELc84ELc76ELb0ELb0EffPKPKfPKPfEviT_T9_T10_S7_lS9_S7_lS8_T11_S7_li.kd
    .uniform_work_group_size: 1
    .uses_dynamic_stack: false
    .vgpr_count:     56
    .vgpr_spill_count: 0
    .wavefront_size: 32
  - .args:
      - .offset:         0
        .size:           4
        .value_kind:     by_value
      - .offset:         4
        .size:           4
        .value_kind:     by_value
      - .offset:         8
        .size:           4
        .value_kind:     by_value
      - .address_space:  global
        .offset:         16
        .size:           8
        .value_kind:     global_buffer
      - .offset:         24
        .size:           4
        .value_kind:     by_value
      - .offset:         32
        .size:           8
        .value_kind:     by_value
      - .address_space:  global
        .offset:         40
        .size:           8
        .value_kind:     global_buffer
      - .offset:         48
        .size:           4
        .value_kind:     by_value
      - .offset:         56
        .size:           8
        .value_kind:     by_value
      - .offset:         64
        .size:           4
        .value_kind:     by_value
      - .address_space:  global
        .offset:         72
        .size:           8
        .value_kind:     global_buffer
      - .offset:         80
        .size:           4
        .value_kind:     by_value
      - .offset:         88
        .size:           8
        .value_kind:     by_value
      - .offset:         96
        .size:           4
        .value_kind:     by_value
    .group_segment_fixed_size: 2048
    .kernarg_segment_align: 8
    .kernarg_segment_size: 100
    .language:       OpenCL C
    .language_version:
      - 2
      - 0
    .max_flat_workgroup_size: 256
    .name:           _ZL29rocblas_internal_gemmt_kernelIiLi16ELi32ELi8ELc78ELc67ELc76ELb0ELb0EffPKPKfPKPfEviT_T9_T10_S7_lS9_S7_lS8_T11_S7_li
    .private_segment_fixed_size: 0
    .sgpr_count:     34
    .sgpr_spill_count: 0
    .symbol:         _ZL29rocblas_internal_gemmt_kernelIiLi16ELi32ELi8ELc78ELc67ELc76ELb0ELb0EffPKPKfPKPfEviT_T9_T10_S7_lS9_S7_lS8_T11_S7_li.kd
    .uniform_work_group_size: 1
    .uses_dynamic_stack: false
    .vgpr_count:     56
    .vgpr_spill_count: 0
    .wavefront_size: 32
  - .args:
      - .offset:         0
        .size:           4
        .value_kind:     by_value
      - .offset:         4
        .size:           4
        .value_kind:     by_value
      - .offset:         8
        .size:           4
        .value_kind:     by_value
      - .address_space:  global
        .offset:         16
        .size:           8
        .value_kind:     global_buffer
      - .offset:         24
        .size:           4
        .value_kind:     by_value
      - .offset:         32
        .size:           8
        .value_kind:     by_value
      - .address_space:  global
        .offset:         40
        .size:           8
        .value_kind:     global_buffer
      - .offset:         48
        .size:           4
        .value_kind:     by_value
      - .offset:         56
        .size:           8
        .value_kind:     by_value
      - .offset:         64
        .size:           4
        .value_kind:     by_value
      - .address_space:  global
        .offset:         72
        .size:           8
        .value_kind:     global_buffer
      - .offset:         80
        .size:           4
        .value_kind:     by_value
      - .offset:         88
        .size:           8
        .value_kind:     by_value
      - .offset:         96
        .size:           4
        .value_kind:     by_value
    .group_segment_fixed_size: 2048
    .kernarg_segment_align: 8
    .kernarg_segment_size: 100
    .language:       OpenCL C
    .language_version:
      - 2
      - 0
    .max_flat_workgroup_size: 256
    .name:           _ZL29rocblas_internal_gemmt_kernelIiLi16ELi32ELi8ELc84ELc78ELc76ELb0ELb0EffPKPKfPKPfEviT_T9_T10_S7_lS9_S7_lS8_T11_S7_li
    .private_segment_fixed_size: 0
    .sgpr_count:     33
    .sgpr_spill_count: 0
    .symbol:         _ZL29rocblas_internal_gemmt_kernelIiLi16ELi32ELi8ELc84ELc78ELc76ELb0ELb0EffPKPKfPKPfEviT_T9_T10_S7_lS9_S7_lS8_T11_S7_li.kd
    .uniform_work_group_size: 1
    .uses_dynamic_stack: false
    .vgpr_count:     56
    .vgpr_spill_count: 0
    .wavefront_size: 32
  - .args:
      - .offset:         0
        .size:           4
        .value_kind:     by_value
      - .offset:         4
        .size:           4
        .value_kind:     by_value
      - .offset:         8
        .size:           4
        .value_kind:     by_value
      - .address_space:  global
        .offset:         16
        .size:           8
        .value_kind:     global_buffer
      - .offset:         24
        .size:           4
        .value_kind:     by_value
      - .offset:         32
        .size:           8
        .value_kind:     by_value
      - .address_space:  global
        .offset:         40
        .size:           8
        .value_kind:     global_buffer
      - .offset:         48
        .size:           4
        .value_kind:     by_value
      - .offset:         56
        .size:           8
        .value_kind:     by_value
      - .offset:         64
        .size:           4
        .value_kind:     by_value
      - .address_space:  global
        .offset:         72
        .size:           8
        .value_kind:     global_buffer
      - .offset:         80
        .size:           4
        .value_kind:     by_value
      - .offset:         88
        .size:           8
        .value_kind:     by_value
      - .offset:         96
        .size:           4
        .value_kind:     by_value
    .group_segment_fixed_size: 2048
    .kernarg_segment_align: 8
    .kernarg_segment_size: 100
    .language:       OpenCL C
    .language_version:
      - 2
      - 0
    .max_flat_workgroup_size: 256
    .name:           _ZL29rocblas_internal_gemmt_kernelIiLi16ELi32ELi8ELc84ELc84ELc76ELb0ELb0EffPKPKfPKPfEviT_T9_T10_S7_lS9_S7_lS8_T11_S7_li
    .private_segment_fixed_size: 0
    .sgpr_count:     33
    .sgpr_spill_count: 0
    .symbol:         _ZL29rocblas_internal_gemmt_kernelIiLi16ELi32ELi8ELc84ELc84ELc76ELb0ELb0EffPKPKfPKPfEviT_T9_T10_S7_lS9_S7_lS8_T11_S7_li.kd
    .uniform_work_group_size: 1
    .uses_dynamic_stack: false
    .vgpr_count:     56
    .vgpr_spill_count: 0
    .wavefront_size: 32
  - .args:
      - .offset:         0
        .size:           4
        .value_kind:     by_value
      - .offset:         4
        .size:           4
        .value_kind:     by_value
      - .offset:         8
        .size:           4
        .value_kind:     by_value
      - .address_space:  global
        .offset:         16
        .size:           8
        .value_kind:     global_buffer
      - .offset:         24
        .size:           4
        .value_kind:     by_value
      - .offset:         32
        .size:           8
        .value_kind:     by_value
      - .address_space:  global
        .offset:         40
        .size:           8
        .value_kind:     global_buffer
      - .offset:         48
        .size:           4
        .value_kind:     by_value
      - .offset:         56
        .size:           8
        .value_kind:     by_value
      - .offset:         64
        .size:           4
        .value_kind:     by_value
      - .address_space:  global
        .offset:         72
        .size:           8
        .value_kind:     global_buffer
      - .offset:         80
        .size:           4
        .value_kind:     by_value
      - .offset:         88
        .size:           8
        .value_kind:     by_value
      - .offset:         96
        .size:           4
        .value_kind:     by_value
    .group_segment_fixed_size: 2048
    .kernarg_segment_align: 8
    .kernarg_segment_size: 100
    .language:       OpenCL C
    .language_version:
      - 2
      - 0
    .max_flat_workgroup_size: 256
    .name:           _ZL29rocblas_internal_gemmt_kernelIiLi16ELi32ELi8ELc84ELc67ELc76ELb0ELb0EffPKPKfPKPfEviT_T9_T10_S7_lS9_S7_lS8_T11_S7_li
    .private_segment_fixed_size: 0
    .sgpr_count:     33
    .sgpr_spill_count: 0
    .symbol:         _ZL29rocblas_internal_gemmt_kernelIiLi16ELi32ELi8ELc84ELc67ELc76ELb0ELb0EffPKPKfPKPfEviT_T9_T10_S7_lS9_S7_lS8_T11_S7_li.kd
    .uniform_work_group_size: 1
    .uses_dynamic_stack: false
    .vgpr_count:     56
    .vgpr_spill_count: 0
    .wavefront_size: 32
  - .args:
      - .offset:         0
        .size:           4
        .value_kind:     by_value
      - .offset:         4
        .size:           4
        .value_kind:     by_value
      - .offset:         8
        .size:           4
        .value_kind:     by_value
      - .address_space:  global
        .offset:         16
        .size:           8
        .value_kind:     global_buffer
      - .offset:         24
        .size:           4
        .value_kind:     by_value
      - .offset:         32
        .size:           8
        .value_kind:     by_value
      - .address_space:  global
        .offset:         40
        .size:           8
        .value_kind:     global_buffer
      - .offset:         48
        .size:           4
        .value_kind:     by_value
      - .offset:         56
        .size:           8
        .value_kind:     by_value
      - .offset:         64
        .size:           4
        .value_kind:     by_value
      - .address_space:  global
        .offset:         72
        .size:           8
        .value_kind:     global_buffer
      - .offset:         80
        .size:           4
        .value_kind:     by_value
      - .offset:         88
        .size:           8
        .value_kind:     by_value
      - .offset:         96
        .size:           4
        .value_kind:     by_value
    .group_segment_fixed_size: 2048
    .kernarg_segment_align: 8
    .kernarg_segment_size: 100
    .language:       OpenCL C
    .language_version:
      - 2
      - 0
    .max_flat_workgroup_size: 256
    .name:           _ZL29rocblas_internal_gemmt_kernelIiLi16ELi32ELi8ELc67ELc78ELc76ELb0ELb0EffPKPKfPKPfEviT_T9_T10_S7_lS9_S7_lS8_T11_S7_li
    .private_segment_fixed_size: 0
    .sgpr_count:     33
    .sgpr_spill_count: 0
    .symbol:         _ZL29rocblas_internal_gemmt_kernelIiLi16ELi32ELi8ELc67ELc78ELc76ELb0ELb0EffPKPKfPKPfEviT_T9_T10_S7_lS9_S7_lS8_T11_S7_li.kd
    .uniform_work_group_size: 1
    .uses_dynamic_stack: false
    .vgpr_count:     56
    .vgpr_spill_count: 0
    .wavefront_size: 32
  - .args:
      - .offset:         0
        .size:           4
        .value_kind:     by_value
      - .offset:         4
        .size:           4
        .value_kind:     by_value
      - .offset:         8
        .size:           4
        .value_kind:     by_value
      - .address_space:  global
        .offset:         16
        .size:           8
        .value_kind:     global_buffer
      - .offset:         24
        .size:           4
        .value_kind:     by_value
      - .offset:         32
        .size:           8
        .value_kind:     by_value
      - .address_space:  global
        .offset:         40
        .size:           8
        .value_kind:     global_buffer
      - .offset:         48
        .size:           4
        .value_kind:     by_value
      - .offset:         56
        .size:           8
        .value_kind:     by_value
      - .offset:         64
        .size:           4
        .value_kind:     by_value
      - .address_space:  global
        .offset:         72
        .size:           8
        .value_kind:     global_buffer
      - .offset:         80
        .size:           4
        .value_kind:     by_value
      - .offset:         88
        .size:           8
        .value_kind:     by_value
      - .offset:         96
        .size:           4
        .value_kind:     by_value
    .group_segment_fixed_size: 2048
    .kernarg_segment_align: 8
    .kernarg_segment_size: 100
    .language:       OpenCL C
    .language_version:
      - 2
      - 0
    .max_flat_workgroup_size: 256
    .name:           _ZL29rocblas_internal_gemmt_kernelIiLi16ELi32ELi8ELc67ELc84ELc76ELb0ELb0EffPKPKfPKPfEviT_T9_T10_S7_lS9_S7_lS8_T11_S7_li
    .private_segment_fixed_size: 0
    .sgpr_count:     33
    .sgpr_spill_count: 0
    .symbol:         _ZL29rocblas_internal_gemmt_kernelIiLi16ELi32ELi8ELc67ELc84ELc76ELb0ELb0EffPKPKfPKPfEviT_T9_T10_S7_lS9_S7_lS8_T11_S7_li.kd
    .uniform_work_group_size: 1
    .uses_dynamic_stack: false
    .vgpr_count:     56
    .vgpr_spill_count: 0
    .wavefront_size: 32
  - .args:
      - .offset:         0
        .size:           4
        .value_kind:     by_value
      - .offset:         4
        .size:           4
        .value_kind:     by_value
      - .offset:         8
        .size:           4
        .value_kind:     by_value
      - .address_space:  global
        .offset:         16
        .size:           8
        .value_kind:     global_buffer
      - .offset:         24
        .size:           4
        .value_kind:     by_value
      - .offset:         32
        .size:           8
        .value_kind:     by_value
      - .address_space:  global
        .offset:         40
        .size:           8
        .value_kind:     global_buffer
      - .offset:         48
        .size:           4
        .value_kind:     by_value
      - .offset:         56
        .size:           8
        .value_kind:     by_value
      - .offset:         64
        .size:           4
        .value_kind:     by_value
      - .address_space:  global
        .offset:         72
        .size:           8
        .value_kind:     global_buffer
      - .offset:         80
        .size:           4
        .value_kind:     by_value
      - .offset:         88
        .size:           8
        .value_kind:     by_value
      - .offset:         96
        .size:           4
        .value_kind:     by_value
    .group_segment_fixed_size: 2048
    .kernarg_segment_align: 8
    .kernarg_segment_size: 100
    .language:       OpenCL C
    .language_version:
      - 2
      - 0
    .max_flat_workgroup_size: 256
    .name:           _ZL29rocblas_internal_gemmt_kernelIiLi16ELi32ELi8ELc67ELc67ELc76ELb0ELb0EffPKPKfPKPfEviT_T9_T10_S7_lS9_S7_lS8_T11_S7_li
    .private_segment_fixed_size: 0
    .sgpr_count:     33
    .sgpr_spill_count: 0
    .symbol:         _ZL29rocblas_internal_gemmt_kernelIiLi16ELi32ELi8ELc67ELc67ELc76ELb0ELb0EffPKPKfPKPfEviT_T9_T10_S7_lS9_S7_lS8_T11_S7_li.kd
    .uniform_work_group_size: 1
    .uses_dynamic_stack: false
    .vgpr_count:     56
    .vgpr_spill_count: 0
    .wavefront_size: 32
  - .args:
      - .offset:         0
        .size:           4
        .value_kind:     by_value
      - .offset:         4
        .size:           4
        .value_kind:     by_value
      - .address_space:  global
        .offset:         8
        .size:           8
        .value_kind:     global_buffer
      - .address_space:  global
        .offset:         16
        .size:           8
        .value_kind:     global_buffer
      - .offset:         24
        .size:           4
        .value_kind:     by_value
      - .offset:         32
        .size:           8
        .value_kind:     by_value
      - .address_space:  global
        .offset:         40
        .size:           8
        .value_kind:     global_buffer
      - .offset:         48
        .size:           4
        .value_kind:     by_value
      - .offset:         56
        .size:           8
        .value_kind:     by_value
      - .address_space:  global
        .offset:         64
        .size:           8
        .value_kind:     global_buffer
      - .address_space:  global
        .offset:         72
        .size:           8
        .value_kind:     global_buffer
      - .offset:         80
        .size:           4
        .value_kind:     by_value
      - .offset:         88
        .size:           8
        .value_kind:     by_value
      - .offset:         96
        .size:           4
        .value_kind:     by_value
    .group_segment_fixed_size: 4096
    .kernarg_segment_align: 8
    .kernarg_segment_size: 100
    .language:       OpenCL C
    .language_version:
      - 2
      - 0
    .max_flat_workgroup_size: 256
    .name:           _ZL29rocblas_internal_gemmt_kernelIiLi16ELi32ELi8ELc78ELc78ELc85ELb0ELb0EdPKdPKS1_PKPdEviT_T9_T10_S7_lS9_S7_lS8_T11_S7_li
    .private_segment_fixed_size: 0
    .sgpr_count:     36
    .sgpr_spill_count: 0
    .symbol:         _ZL29rocblas_internal_gemmt_kernelIiLi16ELi32ELi8ELc78ELc78ELc85ELb0ELb0EdPKdPKS1_PKPdEviT_T9_T10_S7_lS9_S7_lS8_T11_S7_li.kd
    .uniform_work_group_size: 1
    .uses_dynamic_stack: false
    .vgpr_count:     54
    .vgpr_spill_count: 0
    .wavefront_size: 32
  - .args:
      - .offset:         0
        .size:           4
        .value_kind:     by_value
      - .offset:         4
        .size:           4
        .value_kind:     by_value
      - .address_space:  global
        .offset:         8
        .size:           8
        .value_kind:     global_buffer
      - .address_space:  global
        .offset:         16
        .size:           8
        .value_kind:     global_buffer
      - .offset:         24
        .size:           4
        .value_kind:     by_value
      - .offset:         32
        .size:           8
        .value_kind:     by_value
      - .address_space:  global
        .offset:         40
        .size:           8
        .value_kind:     global_buffer
      - .offset:         48
        .size:           4
        .value_kind:     by_value
      - .offset:         56
        .size:           8
        .value_kind:     by_value
      - .address_space:  global
        .offset:         64
        .size:           8
        .value_kind:     global_buffer
      - .address_space:  global
        .offset:         72
        .size:           8
        .value_kind:     global_buffer
      - .offset:         80
        .size:           4
        .value_kind:     by_value
      - .offset:         88
        .size:           8
        .value_kind:     by_value
      - .offset:         96
        .size:           4
        .value_kind:     by_value
    .group_segment_fixed_size: 4096
    .kernarg_segment_align: 8
    .kernarg_segment_size: 100
    .language:       OpenCL C
    .language_version:
      - 2
      - 0
    .max_flat_workgroup_size: 256
    .name:           _ZL29rocblas_internal_gemmt_kernelIiLi16ELi32ELi8ELc78ELc84ELc85ELb0ELb0EdPKdPKS1_PKPdEviT_T9_T10_S7_lS9_S7_lS8_T11_S7_li
    .private_segment_fixed_size: 0
    .sgpr_count:     38
    .sgpr_spill_count: 0
    .symbol:         _ZL29rocblas_internal_gemmt_kernelIiLi16ELi32ELi8ELc78ELc84ELc85ELb0ELb0EdPKdPKS1_PKPdEviT_T9_T10_S7_lS9_S7_lS8_T11_S7_li.kd
    .uniform_work_group_size: 1
    .uses_dynamic_stack: false
    .vgpr_count:     54
    .vgpr_spill_count: 0
    .wavefront_size: 32
  - .args:
      - .offset:         0
        .size:           4
        .value_kind:     by_value
      - .offset:         4
        .size:           4
        .value_kind:     by_value
      - .address_space:  global
        .offset:         8
        .size:           8
        .value_kind:     global_buffer
      - .address_space:  global
        .offset:         16
        .size:           8
        .value_kind:     global_buffer
      - .offset:         24
        .size:           4
        .value_kind:     by_value
      - .offset:         32
        .size:           8
        .value_kind:     by_value
      - .address_space:  global
        .offset:         40
        .size:           8
        .value_kind:     global_buffer
      - .offset:         48
        .size:           4
        .value_kind:     by_value
      - .offset:         56
        .size:           8
        .value_kind:     by_value
      - .address_space:  global
        .offset:         64
        .size:           8
        .value_kind:     global_buffer
      - .address_space:  global
        .offset:         72
        .size:           8
        .value_kind:     global_buffer
      - .offset:         80
        .size:           4
        .value_kind:     by_value
      - .offset:         88
        .size:           8
        .value_kind:     by_value
      - .offset:         96
        .size:           4
        .value_kind:     by_value
    .group_segment_fixed_size: 4096
    .kernarg_segment_align: 8
    .kernarg_segment_size: 100
    .language:       OpenCL C
    .language_version:
      - 2
      - 0
    .max_flat_workgroup_size: 256
    .name:           _ZL29rocblas_internal_gemmt_kernelIiLi16ELi32ELi8ELc78ELc67ELc85ELb0ELb0EdPKdPKS1_PKPdEviT_T9_T10_S7_lS9_S7_lS8_T11_S7_li
    .private_segment_fixed_size: 0
    .sgpr_count:     38
    .sgpr_spill_count: 0
    .symbol:         _ZL29rocblas_internal_gemmt_kernelIiLi16ELi32ELi8ELc78ELc67ELc85ELb0ELb0EdPKdPKS1_PKPdEviT_T9_T10_S7_lS9_S7_lS8_T11_S7_li.kd
    .uniform_work_group_size: 1
    .uses_dynamic_stack: false
    .vgpr_count:     54
    .vgpr_spill_count: 0
    .wavefront_size: 32
  - .args:
      - .offset:         0
        .size:           4
        .value_kind:     by_value
      - .offset:         4
        .size:           4
        .value_kind:     by_value
      - .address_space:  global
        .offset:         8
        .size:           8
        .value_kind:     global_buffer
      - .address_space:  global
        .offset:         16
        .size:           8
        .value_kind:     global_buffer
      - .offset:         24
        .size:           4
        .value_kind:     by_value
      - .offset:         32
        .size:           8
        .value_kind:     by_value
      - .address_space:  global
        .offset:         40
        .size:           8
        .value_kind:     global_buffer
      - .offset:         48
        .size:           4
        .value_kind:     by_value
      - .offset:         56
        .size:           8
        .value_kind:     by_value
      - .address_space:  global
        .offset:         64
        .size:           8
        .value_kind:     global_buffer
      - .address_space:  global
        .offset:         72
        .size:           8
        .value_kind:     global_buffer
      - .offset:         80
        .size:           4
        .value_kind:     by_value
      - .offset:         88
        .size:           8
        .value_kind:     by_value
      - .offset:         96
        .size:           4
        .value_kind:     by_value
    .group_segment_fixed_size: 4096
    .kernarg_segment_align: 8
    .kernarg_segment_size: 100
    .language:       OpenCL C
    .language_version:
      - 2
      - 0
    .max_flat_workgroup_size: 256
    .name:           _ZL29rocblas_internal_gemmt_kernelIiLi16ELi32ELi8ELc84ELc78ELc85ELb0ELb0EdPKdPKS1_PKPdEviT_T9_T10_S7_lS9_S7_lS8_T11_S7_li
    .private_segment_fixed_size: 0
    .sgpr_count:     36
    .sgpr_spill_count: 0
    .symbol:         _ZL29rocblas_internal_gemmt_kernelIiLi16ELi32ELi8ELc84ELc78ELc85ELb0ELb0EdPKdPKS1_PKPdEviT_T9_T10_S7_lS9_S7_lS8_T11_S7_li.kd
    .uniform_work_group_size: 1
    .uses_dynamic_stack: false
    .vgpr_count:     54
    .vgpr_spill_count: 0
    .wavefront_size: 32
  - .args:
      - .offset:         0
        .size:           4
        .value_kind:     by_value
      - .offset:         4
        .size:           4
        .value_kind:     by_value
      - .address_space:  global
        .offset:         8
        .size:           8
        .value_kind:     global_buffer
      - .address_space:  global
        .offset:         16
        .size:           8
        .value_kind:     global_buffer
      - .offset:         24
        .size:           4
        .value_kind:     by_value
      - .offset:         32
        .size:           8
        .value_kind:     by_value
      - .address_space:  global
        .offset:         40
        .size:           8
        .value_kind:     global_buffer
      - .offset:         48
        .size:           4
        .value_kind:     by_value
      - .offset:         56
        .size:           8
        .value_kind:     by_value
      - .address_space:  global
        .offset:         64
        .size:           8
        .value_kind:     global_buffer
      - .address_space:  global
        .offset:         72
        .size:           8
        .value_kind:     global_buffer
      - .offset:         80
        .size:           4
        .value_kind:     by_value
      - .offset:         88
        .size:           8
        .value_kind:     by_value
      - .offset:         96
        .size:           4
        .value_kind:     by_value
    .group_segment_fixed_size: 4096
    .kernarg_segment_align: 8
    .kernarg_segment_size: 100
    .language:       OpenCL C
    .language_version:
      - 2
      - 0
    .max_flat_workgroup_size: 256
    .name:           _ZL29rocblas_internal_gemmt_kernelIiLi16ELi32ELi8ELc84ELc84ELc85ELb0ELb0EdPKdPKS1_PKPdEviT_T9_T10_S7_lS9_S7_lS8_T11_S7_li
    .private_segment_fixed_size: 0
    .sgpr_count:     36
    .sgpr_spill_count: 0
    .symbol:         _ZL29rocblas_internal_gemmt_kernelIiLi16ELi32ELi8ELc84ELc84ELc85ELb0ELb0EdPKdPKS1_PKPdEviT_T9_T10_S7_lS9_S7_lS8_T11_S7_li.kd
    .uniform_work_group_size: 1
    .uses_dynamic_stack: false
    .vgpr_count:     54
    .vgpr_spill_count: 0
    .wavefront_size: 32
  - .args:
      - .offset:         0
        .size:           4
        .value_kind:     by_value
      - .offset:         4
        .size:           4
        .value_kind:     by_value
      - .address_space:  global
        .offset:         8
        .size:           8
        .value_kind:     global_buffer
      - .address_space:  global
        .offset:         16
        .size:           8
        .value_kind:     global_buffer
      - .offset:         24
        .size:           4
        .value_kind:     by_value
      - .offset:         32
        .size:           8
        .value_kind:     by_value
      - .address_space:  global
        .offset:         40
        .size:           8
        .value_kind:     global_buffer
      - .offset:         48
        .size:           4
        .value_kind:     by_value
      - .offset:         56
        .size:           8
        .value_kind:     by_value
      - .address_space:  global
        .offset:         64
        .size:           8
        .value_kind:     global_buffer
      - .address_space:  global
        .offset:         72
        .size:           8
        .value_kind:     global_buffer
      - .offset:         80
        .size:           4
        .value_kind:     by_value
      - .offset:         88
        .size:           8
        .value_kind:     by_value
      - .offset:         96
        .size:           4
        .value_kind:     by_value
    .group_segment_fixed_size: 4096
    .kernarg_segment_align: 8
    .kernarg_segment_size: 100
    .language:       OpenCL C
    .language_version:
      - 2
      - 0
    .max_flat_workgroup_size: 256
    .name:           _ZL29rocblas_internal_gemmt_kernelIiLi16ELi32ELi8ELc84ELc67ELc85ELb0ELb0EdPKdPKS1_PKPdEviT_T9_T10_S7_lS9_S7_lS8_T11_S7_li
    .private_segment_fixed_size: 0
    .sgpr_count:     36
    .sgpr_spill_count: 0
    .symbol:         _ZL29rocblas_internal_gemmt_kernelIiLi16ELi32ELi8ELc84ELc67ELc85ELb0ELb0EdPKdPKS1_PKPdEviT_T9_T10_S7_lS9_S7_lS8_T11_S7_li.kd
    .uniform_work_group_size: 1
    .uses_dynamic_stack: false
    .vgpr_count:     54
    .vgpr_spill_count: 0
    .wavefront_size: 32
  - .args:
      - .offset:         0
        .size:           4
        .value_kind:     by_value
      - .offset:         4
        .size:           4
        .value_kind:     by_value
      - .address_space:  global
        .offset:         8
        .size:           8
        .value_kind:     global_buffer
      - .address_space:  global
        .offset:         16
        .size:           8
        .value_kind:     global_buffer
      - .offset:         24
        .size:           4
        .value_kind:     by_value
      - .offset:         32
        .size:           8
        .value_kind:     by_value
      - .address_space:  global
        .offset:         40
        .size:           8
        .value_kind:     global_buffer
      - .offset:         48
        .size:           4
        .value_kind:     by_value
      - .offset:         56
        .size:           8
        .value_kind:     by_value
      - .address_space:  global
        .offset:         64
        .size:           8
        .value_kind:     global_buffer
      - .address_space:  global
        .offset:         72
        .size:           8
        .value_kind:     global_buffer
      - .offset:         80
        .size:           4
        .value_kind:     by_value
      - .offset:         88
        .size:           8
        .value_kind:     by_value
      - .offset:         96
        .size:           4
        .value_kind:     by_value
    .group_segment_fixed_size: 4096
    .kernarg_segment_align: 8
    .kernarg_segment_size: 100
    .language:       OpenCL C
    .language_version:
      - 2
      - 0
    .max_flat_workgroup_size: 256
    .name:           _ZL29rocblas_internal_gemmt_kernelIiLi16ELi32ELi8ELc67ELc78ELc85ELb0ELb0EdPKdPKS1_PKPdEviT_T9_T10_S7_lS9_S7_lS8_T11_S7_li
    .private_segment_fixed_size: 0
    .sgpr_count:     36
    .sgpr_spill_count: 0
    .symbol:         _ZL29rocblas_internal_gemmt_kernelIiLi16ELi32ELi8ELc67ELc78ELc85ELb0ELb0EdPKdPKS1_PKPdEviT_T9_T10_S7_lS9_S7_lS8_T11_S7_li.kd
    .uniform_work_group_size: 1
    .uses_dynamic_stack: false
    .vgpr_count:     54
    .vgpr_spill_count: 0
    .wavefront_size: 32
  - .args:
      - .offset:         0
        .size:           4
        .value_kind:     by_value
      - .offset:         4
        .size:           4
        .value_kind:     by_value
      - .address_space:  global
        .offset:         8
        .size:           8
        .value_kind:     global_buffer
      - .address_space:  global
        .offset:         16
        .size:           8
        .value_kind:     global_buffer
      - .offset:         24
        .size:           4
        .value_kind:     by_value
      - .offset:         32
        .size:           8
        .value_kind:     by_value
      - .address_space:  global
        .offset:         40
        .size:           8
        .value_kind:     global_buffer
      - .offset:         48
        .size:           4
        .value_kind:     by_value
      - .offset:         56
        .size:           8
        .value_kind:     by_value
      - .address_space:  global
        .offset:         64
        .size:           8
        .value_kind:     global_buffer
      - .address_space:  global
        .offset:         72
        .size:           8
        .value_kind:     global_buffer
      - .offset:         80
        .size:           4
        .value_kind:     by_value
      - .offset:         88
        .size:           8
        .value_kind:     by_value
      - .offset:         96
        .size:           4
        .value_kind:     by_value
    .group_segment_fixed_size: 4096
    .kernarg_segment_align: 8
    .kernarg_segment_size: 100
    .language:       OpenCL C
    .language_version:
      - 2
      - 0
    .max_flat_workgroup_size: 256
    .name:           _ZL29rocblas_internal_gemmt_kernelIiLi16ELi32ELi8ELc67ELc84ELc85ELb0ELb0EdPKdPKS1_PKPdEviT_T9_T10_S7_lS9_S7_lS8_T11_S7_li
    .private_segment_fixed_size: 0
    .sgpr_count:     36
    .sgpr_spill_count: 0
    .symbol:         _ZL29rocblas_internal_gemmt_kernelIiLi16ELi32ELi8ELc67ELc84ELc85ELb0ELb0EdPKdPKS1_PKPdEviT_T9_T10_S7_lS9_S7_lS8_T11_S7_li.kd
    .uniform_work_group_size: 1
    .uses_dynamic_stack: false
    .vgpr_count:     54
    .vgpr_spill_count: 0
    .wavefront_size: 32
  - .args:
      - .offset:         0
        .size:           4
        .value_kind:     by_value
      - .offset:         4
        .size:           4
        .value_kind:     by_value
      - .address_space:  global
        .offset:         8
        .size:           8
        .value_kind:     global_buffer
      - .address_space:  global
        .offset:         16
        .size:           8
        .value_kind:     global_buffer
      - .offset:         24
        .size:           4
        .value_kind:     by_value
      - .offset:         32
        .size:           8
        .value_kind:     by_value
      - .address_space:  global
        .offset:         40
        .size:           8
        .value_kind:     global_buffer
      - .offset:         48
        .size:           4
        .value_kind:     by_value
      - .offset:         56
        .size:           8
        .value_kind:     by_value
      - .address_space:  global
        .offset:         64
        .size:           8
        .value_kind:     global_buffer
      - .address_space:  global
        .offset:         72
        .size:           8
        .value_kind:     global_buffer
      - .offset:         80
        .size:           4
        .value_kind:     by_value
      - .offset:         88
        .size:           8
        .value_kind:     by_value
      - .offset:         96
        .size:           4
        .value_kind:     by_value
    .group_segment_fixed_size: 4096
    .kernarg_segment_align: 8
    .kernarg_segment_size: 100
    .language:       OpenCL C
    .language_version:
      - 2
      - 0
    .max_flat_workgroup_size: 256
    .name:           _ZL29rocblas_internal_gemmt_kernelIiLi16ELi32ELi8ELc67ELc67ELc85ELb0ELb0EdPKdPKS1_PKPdEviT_T9_T10_S7_lS9_S7_lS8_T11_S7_li
    .private_segment_fixed_size: 0
    .sgpr_count:     36
    .sgpr_spill_count: 0
    .symbol:         _ZL29rocblas_internal_gemmt_kernelIiLi16ELi32ELi8ELc67ELc67ELc85ELb0ELb0EdPKdPKS1_PKPdEviT_T9_T10_S7_lS9_S7_lS8_T11_S7_li.kd
    .uniform_work_group_size: 1
    .uses_dynamic_stack: false
    .vgpr_count:     54
    .vgpr_spill_count: 0
    .wavefront_size: 32
  - .args:
      - .offset:         0
        .size:           4
        .value_kind:     by_value
      - .offset:         4
        .size:           4
        .value_kind:     by_value
      - .address_space:  global
        .offset:         8
        .size:           8
        .value_kind:     global_buffer
      - .address_space:  global
        .offset:         16
        .size:           8
        .value_kind:     global_buffer
      - .offset:         24
        .size:           4
        .value_kind:     by_value
      - .offset:         32
        .size:           8
        .value_kind:     by_value
      - .address_space:  global
        .offset:         40
        .size:           8
        .value_kind:     global_buffer
      - .offset:         48
        .size:           4
        .value_kind:     by_value
      - .offset:         56
        .size:           8
        .value_kind:     by_value
      - .address_space:  global
        .offset:         64
        .size:           8
        .value_kind:     global_buffer
      - .address_space:  global
        .offset:         72
        .size:           8
        .value_kind:     global_buffer
      - .offset:         80
        .size:           4
        .value_kind:     by_value
      - .offset:         88
        .size:           8
        .value_kind:     by_value
      - .offset:         96
        .size:           4
        .value_kind:     by_value
    .group_segment_fixed_size: 4096
    .kernarg_segment_align: 8
    .kernarg_segment_size: 100
    .language:       OpenCL C
    .language_version:
      - 2
      - 0
    .max_flat_workgroup_size: 256
    .name:           _ZL29rocblas_internal_gemmt_kernelIiLi16ELi32ELi8ELc78ELc78ELc76ELb0ELb0EdPKdPKS1_PKPdEviT_T9_T10_S7_lS9_S7_lS8_T11_S7_li
    .private_segment_fixed_size: 0
    .sgpr_count:     36
    .sgpr_spill_count: 0
    .symbol:         _ZL29rocblas_internal_gemmt_kernelIiLi16ELi32ELi8ELc78ELc78ELc76ELb0ELb0EdPKdPKS1_PKPdEviT_T9_T10_S7_lS9_S7_lS8_T11_S7_li.kd
    .uniform_work_group_size: 1
    .uses_dynamic_stack: false
    .vgpr_count:     54
    .vgpr_spill_count: 0
    .wavefront_size: 32
  - .args:
      - .offset:         0
        .size:           4
        .value_kind:     by_value
      - .offset:         4
        .size:           4
        .value_kind:     by_value
      - .address_space:  global
        .offset:         8
        .size:           8
        .value_kind:     global_buffer
      - .address_space:  global
        .offset:         16
        .size:           8
        .value_kind:     global_buffer
      - .offset:         24
        .size:           4
        .value_kind:     by_value
      - .offset:         32
        .size:           8
        .value_kind:     by_value
      - .address_space:  global
        .offset:         40
        .size:           8
        .value_kind:     global_buffer
      - .offset:         48
        .size:           4
        .value_kind:     by_value
      - .offset:         56
        .size:           8
        .value_kind:     by_value
      - .address_space:  global
        .offset:         64
        .size:           8
        .value_kind:     global_buffer
      - .address_space:  global
        .offset:         72
        .size:           8
        .value_kind:     global_buffer
      - .offset:         80
        .size:           4
        .value_kind:     by_value
      - .offset:         88
        .size:           8
        .value_kind:     by_value
      - .offset:         96
        .size:           4
        .value_kind:     by_value
    .group_segment_fixed_size: 4096
    .kernarg_segment_align: 8
    .kernarg_segment_size: 100
    .language:       OpenCL C
    .language_version:
      - 2
      - 0
    .max_flat_workgroup_size: 256
    .name:           _ZL29rocblas_internal_gemmt_kernelIiLi16ELi32ELi8ELc78ELc84ELc76ELb0ELb0EdPKdPKS1_PKPdEviT_T9_T10_S7_lS9_S7_lS8_T11_S7_li
    .private_segment_fixed_size: 0
    .sgpr_count:     38
    .sgpr_spill_count: 0
    .symbol:         _ZL29rocblas_internal_gemmt_kernelIiLi16ELi32ELi8ELc78ELc84ELc76ELb0ELb0EdPKdPKS1_PKPdEviT_T9_T10_S7_lS9_S7_lS8_T11_S7_li.kd
    .uniform_work_group_size: 1
    .uses_dynamic_stack: false
    .vgpr_count:     54
    .vgpr_spill_count: 0
    .wavefront_size: 32
  - .args:
      - .offset:         0
        .size:           4
        .value_kind:     by_value
      - .offset:         4
        .size:           4
        .value_kind:     by_value
      - .address_space:  global
        .offset:         8
        .size:           8
        .value_kind:     global_buffer
      - .address_space:  global
        .offset:         16
        .size:           8
        .value_kind:     global_buffer
      - .offset:         24
        .size:           4
        .value_kind:     by_value
      - .offset:         32
        .size:           8
        .value_kind:     by_value
      - .address_space:  global
        .offset:         40
        .size:           8
        .value_kind:     global_buffer
      - .offset:         48
        .size:           4
        .value_kind:     by_value
      - .offset:         56
        .size:           8
        .value_kind:     by_value
      - .address_space:  global
        .offset:         64
        .size:           8
        .value_kind:     global_buffer
      - .address_space:  global
        .offset:         72
        .size:           8
        .value_kind:     global_buffer
      - .offset:         80
        .size:           4
        .value_kind:     by_value
      - .offset:         88
        .size:           8
        .value_kind:     by_value
      - .offset:         96
        .size:           4
        .value_kind:     by_value
    .group_segment_fixed_size: 4096
    .kernarg_segment_align: 8
    .kernarg_segment_size: 100
    .language:       OpenCL C
    .language_version:
      - 2
      - 0
    .max_flat_workgroup_size: 256
    .name:           _ZL29rocblas_internal_gemmt_kernelIiLi16ELi32ELi8ELc78ELc67ELc76ELb0ELb0EdPKdPKS1_PKPdEviT_T9_T10_S7_lS9_S7_lS8_T11_S7_li
    .private_segment_fixed_size: 0
    .sgpr_count:     38
    .sgpr_spill_count: 0
    .symbol:         _ZL29rocblas_internal_gemmt_kernelIiLi16ELi32ELi8ELc78ELc67ELc76ELb0ELb0EdPKdPKS1_PKPdEviT_T9_T10_S7_lS9_S7_lS8_T11_S7_li.kd
    .uniform_work_group_size: 1
    .uses_dynamic_stack: false
    .vgpr_count:     54
    .vgpr_spill_count: 0
    .wavefront_size: 32
  - .args:
      - .offset:         0
        .size:           4
        .value_kind:     by_value
      - .offset:         4
        .size:           4
        .value_kind:     by_value
      - .address_space:  global
        .offset:         8
        .size:           8
        .value_kind:     global_buffer
      - .address_space:  global
        .offset:         16
        .size:           8
        .value_kind:     global_buffer
      - .offset:         24
        .size:           4
        .value_kind:     by_value
      - .offset:         32
        .size:           8
        .value_kind:     by_value
      - .address_space:  global
        .offset:         40
        .size:           8
        .value_kind:     global_buffer
      - .offset:         48
        .size:           4
        .value_kind:     by_value
      - .offset:         56
        .size:           8
        .value_kind:     by_value
      - .address_space:  global
        .offset:         64
        .size:           8
        .value_kind:     global_buffer
      - .address_space:  global
        .offset:         72
        .size:           8
        .value_kind:     global_buffer
      - .offset:         80
        .size:           4
        .value_kind:     by_value
      - .offset:         88
        .size:           8
        .value_kind:     by_value
      - .offset:         96
        .size:           4
        .value_kind:     by_value
    .group_segment_fixed_size: 4096
    .kernarg_segment_align: 8
    .kernarg_segment_size: 100
    .language:       OpenCL C
    .language_version:
      - 2
      - 0
    .max_flat_workgroup_size: 256
    .name:           _ZL29rocblas_internal_gemmt_kernelIiLi16ELi32ELi8ELc84ELc78ELc76ELb0ELb0EdPKdPKS1_PKPdEviT_T9_T10_S7_lS9_S7_lS8_T11_S7_li
    .private_segment_fixed_size: 0
    .sgpr_count:     36
    .sgpr_spill_count: 0
    .symbol:         _ZL29rocblas_internal_gemmt_kernelIiLi16ELi32ELi8ELc84ELc78ELc76ELb0ELb0EdPKdPKS1_PKPdEviT_T9_T10_S7_lS9_S7_lS8_T11_S7_li.kd
    .uniform_work_group_size: 1
    .uses_dynamic_stack: false
    .vgpr_count:     54
    .vgpr_spill_count: 0
    .wavefront_size: 32
  - .args:
      - .offset:         0
        .size:           4
        .value_kind:     by_value
      - .offset:         4
        .size:           4
        .value_kind:     by_value
      - .address_space:  global
        .offset:         8
        .size:           8
        .value_kind:     global_buffer
      - .address_space:  global
        .offset:         16
        .size:           8
        .value_kind:     global_buffer
      - .offset:         24
        .size:           4
        .value_kind:     by_value
      - .offset:         32
        .size:           8
        .value_kind:     by_value
      - .address_space:  global
        .offset:         40
        .size:           8
        .value_kind:     global_buffer
      - .offset:         48
        .size:           4
        .value_kind:     by_value
      - .offset:         56
        .size:           8
        .value_kind:     by_value
      - .address_space:  global
        .offset:         64
        .size:           8
        .value_kind:     global_buffer
      - .address_space:  global
        .offset:         72
        .size:           8
        .value_kind:     global_buffer
      - .offset:         80
        .size:           4
        .value_kind:     by_value
      - .offset:         88
        .size:           8
        .value_kind:     by_value
      - .offset:         96
        .size:           4
        .value_kind:     by_value
    .group_segment_fixed_size: 4096
    .kernarg_segment_align: 8
    .kernarg_segment_size: 100
    .language:       OpenCL C
    .language_version:
      - 2
      - 0
    .max_flat_workgroup_size: 256
    .name:           _ZL29rocblas_internal_gemmt_kernelIiLi16ELi32ELi8ELc84ELc84ELc76ELb0ELb0EdPKdPKS1_PKPdEviT_T9_T10_S7_lS9_S7_lS8_T11_S7_li
    .private_segment_fixed_size: 0
    .sgpr_count:     36
    .sgpr_spill_count: 0
    .symbol:         _ZL29rocblas_internal_gemmt_kernelIiLi16ELi32ELi8ELc84ELc84ELc76ELb0ELb0EdPKdPKS1_PKPdEviT_T9_T10_S7_lS9_S7_lS8_T11_S7_li.kd
    .uniform_work_group_size: 1
    .uses_dynamic_stack: false
    .vgpr_count:     54
    .vgpr_spill_count: 0
    .wavefront_size: 32
  - .args:
      - .offset:         0
        .size:           4
        .value_kind:     by_value
      - .offset:         4
        .size:           4
        .value_kind:     by_value
      - .address_space:  global
        .offset:         8
        .size:           8
        .value_kind:     global_buffer
      - .address_space:  global
        .offset:         16
        .size:           8
        .value_kind:     global_buffer
      - .offset:         24
        .size:           4
        .value_kind:     by_value
      - .offset:         32
        .size:           8
        .value_kind:     by_value
      - .address_space:  global
        .offset:         40
        .size:           8
        .value_kind:     global_buffer
      - .offset:         48
        .size:           4
        .value_kind:     by_value
      - .offset:         56
        .size:           8
        .value_kind:     by_value
      - .address_space:  global
        .offset:         64
        .size:           8
        .value_kind:     global_buffer
      - .address_space:  global
        .offset:         72
        .size:           8
        .value_kind:     global_buffer
      - .offset:         80
        .size:           4
        .value_kind:     by_value
      - .offset:         88
        .size:           8
        .value_kind:     by_value
      - .offset:         96
        .size:           4
        .value_kind:     by_value
    .group_segment_fixed_size: 4096
    .kernarg_segment_align: 8
    .kernarg_segment_size: 100
    .language:       OpenCL C
    .language_version:
      - 2
      - 0
    .max_flat_workgroup_size: 256
    .name:           _ZL29rocblas_internal_gemmt_kernelIiLi16ELi32ELi8ELc84ELc67ELc76ELb0ELb0EdPKdPKS1_PKPdEviT_T9_T10_S7_lS9_S7_lS8_T11_S7_li
    .private_segment_fixed_size: 0
    .sgpr_count:     36
    .sgpr_spill_count: 0
    .symbol:         _ZL29rocblas_internal_gemmt_kernelIiLi16ELi32ELi8ELc84ELc67ELc76ELb0ELb0EdPKdPKS1_PKPdEviT_T9_T10_S7_lS9_S7_lS8_T11_S7_li.kd
    .uniform_work_group_size: 1
    .uses_dynamic_stack: false
    .vgpr_count:     54
    .vgpr_spill_count: 0
    .wavefront_size: 32
  - .args:
      - .offset:         0
        .size:           4
        .value_kind:     by_value
      - .offset:         4
        .size:           4
        .value_kind:     by_value
      - .address_space:  global
        .offset:         8
        .size:           8
        .value_kind:     global_buffer
      - .address_space:  global
        .offset:         16
        .size:           8
        .value_kind:     global_buffer
      - .offset:         24
        .size:           4
        .value_kind:     by_value
      - .offset:         32
        .size:           8
        .value_kind:     by_value
      - .address_space:  global
        .offset:         40
        .size:           8
        .value_kind:     global_buffer
      - .offset:         48
        .size:           4
        .value_kind:     by_value
      - .offset:         56
        .size:           8
        .value_kind:     by_value
      - .address_space:  global
        .offset:         64
        .size:           8
        .value_kind:     global_buffer
      - .address_space:  global
        .offset:         72
        .size:           8
        .value_kind:     global_buffer
      - .offset:         80
        .size:           4
        .value_kind:     by_value
      - .offset:         88
        .size:           8
        .value_kind:     by_value
      - .offset:         96
        .size:           4
        .value_kind:     by_value
    .group_segment_fixed_size: 4096
    .kernarg_segment_align: 8
    .kernarg_segment_size: 100
    .language:       OpenCL C
    .language_version:
      - 2
      - 0
    .max_flat_workgroup_size: 256
    .name:           _ZL29rocblas_internal_gemmt_kernelIiLi16ELi32ELi8ELc67ELc78ELc76ELb0ELb0EdPKdPKS1_PKPdEviT_T9_T10_S7_lS9_S7_lS8_T11_S7_li
    .private_segment_fixed_size: 0
    .sgpr_count:     36
    .sgpr_spill_count: 0
    .symbol:         _ZL29rocblas_internal_gemmt_kernelIiLi16ELi32ELi8ELc67ELc78ELc76ELb0ELb0EdPKdPKS1_PKPdEviT_T9_T10_S7_lS9_S7_lS8_T11_S7_li.kd
    .uniform_work_group_size: 1
    .uses_dynamic_stack: false
    .vgpr_count:     54
    .vgpr_spill_count: 0
    .wavefront_size: 32
  - .args:
      - .offset:         0
        .size:           4
        .value_kind:     by_value
      - .offset:         4
        .size:           4
        .value_kind:     by_value
      - .address_space:  global
        .offset:         8
        .size:           8
        .value_kind:     global_buffer
      - .address_space:  global
        .offset:         16
        .size:           8
        .value_kind:     global_buffer
      - .offset:         24
        .size:           4
        .value_kind:     by_value
      - .offset:         32
        .size:           8
        .value_kind:     by_value
      - .address_space:  global
        .offset:         40
        .size:           8
        .value_kind:     global_buffer
      - .offset:         48
        .size:           4
        .value_kind:     by_value
      - .offset:         56
        .size:           8
        .value_kind:     by_value
      - .address_space:  global
        .offset:         64
        .size:           8
        .value_kind:     global_buffer
      - .address_space:  global
        .offset:         72
        .size:           8
        .value_kind:     global_buffer
      - .offset:         80
        .size:           4
        .value_kind:     by_value
      - .offset:         88
        .size:           8
        .value_kind:     by_value
      - .offset:         96
        .size:           4
        .value_kind:     by_value
    .group_segment_fixed_size: 4096
    .kernarg_segment_align: 8
    .kernarg_segment_size: 100
    .language:       OpenCL C
    .language_version:
      - 2
      - 0
    .max_flat_workgroup_size: 256
    .name:           _ZL29rocblas_internal_gemmt_kernelIiLi16ELi32ELi8ELc67ELc84ELc76ELb0ELb0EdPKdPKS1_PKPdEviT_T9_T10_S7_lS9_S7_lS8_T11_S7_li
    .private_segment_fixed_size: 0
    .sgpr_count:     36
    .sgpr_spill_count: 0
    .symbol:         _ZL29rocblas_internal_gemmt_kernelIiLi16ELi32ELi8ELc67ELc84ELc76ELb0ELb0EdPKdPKS1_PKPdEviT_T9_T10_S7_lS9_S7_lS8_T11_S7_li.kd
    .uniform_work_group_size: 1
    .uses_dynamic_stack: false
    .vgpr_count:     54
    .vgpr_spill_count: 0
    .wavefront_size: 32
  - .args:
      - .offset:         0
        .size:           4
        .value_kind:     by_value
      - .offset:         4
        .size:           4
        .value_kind:     by_value
      - .address_space:  global
        .offset:         8
        .size:           8
        .value_kind:     global_buffer
      - .address_space:  global
        .offset:         16
        .size:           8
        .value_kind:     global_buffer
      - .offset:         24
        .size:           4
        .value_kind:     by_value
      - .offset:         32
        .size:           8
        .value_kind:     by_value
      - .address_space:  global
        .offset:         40
        .size:           8
        .value_kind:     global_buffer
      - .offset:         48
        .size:           4
        .value_kind:     by_value
      - .offset:         56
        .size:           8
        .value_kind:     by_value
      - .address_space:  global
        .offset:         64
        .size:           8
        .value_kind:     global_buffer
      - .address_space:  global
        .offset:         72
        .size:           8
        .value_kind:     global_buffer
      - .offset:         80
        .size:           4
        .value_kind:     by_value
      - .offset:         88
        .size:           8
        .value_kind:     by_value
      - .offset:         96
        .size:           4
        .value_kind:     by_value
    .group_segment_fixed_size: 4096
    .kernarg_segment_align: 8
    .kernarg_segment_size: 100
    .language:       OpenCL C
    .language_version:
      - 2
      - 0
    .max_flat_workgroup_size: 256
    .name:           _ZL29rocblas_internal_gemmt_kernelIiLi16ELi32ELi8ELc67ELc67ELc76ELb0ELb0EdPKdPKS1_PKPdEviT_T9_T10_S7_lS9_S7_lS8_T11_S7_li
    .private_segment_fixed_size: 0
    .sgpr_count:     36
    .sgpr_spill_count: 0
    .symbol:         _ZL29rocblas_internal_gemmt_kernelIiLi16ELi32ELi8ELc67ELc67ELc76ELb0ELb0EdPKdPKS1_PKPdEviT_T9_T10_S7_lS9_S7_lS8_T11_S7_li.kd
    .uniform_work_group_size: 1
    .uses_dynamic_stack: false
    .vgpr_count:     54
    .vgpr_spill_count: 0
    .wavefront_size: 32
  - .args:
      - .offset:         0
        .size:           4
        .value_kind:     by_value
      - .offset:         4
        .size:           4
        .value_kind:     by_value
      - .offset:         8
        .size:           8
        .value_kind:     by_value
      - .address_space:  global
        .offset:         16
        .size:           8
        .value_kind:     global_buffer
      - .offset:         24
        .size:           4
        .value_kind:     by_value
      - .offset:         32
        .size:           8
        .value_kind:     by_value
      - .address_space:  global
        .offset:         40
        .size:           8
        .value_kind:     global_buffer
      - .offset:         48
        .size:           4
        .value_kind:     by_value
      - .offset:         56
        .size:           8
        .value_kind:     by_value
      - .offset:         64
        .size:           8
        .value_kind:     by_value
      - .address_space:  global
        .offset:         72
        .size:           8
        .value_kind:     global_buffer
      - .offset:         80
        .size:           4
        .value_kind:     by_value
      - .offset:         88
        .size:           8
        .value_kind:     by_value
      - .offset:         96
        .size:           4
        .value_kind:     by_value
    .group_segment_fixed_size: 4096
    .kernarg_segment_align: 8
    .kernarg_segment_size: 100
    .language:       OpenCL C
    .language_version:
      - 2
      - 0
    .max_flat_workgroup_size: 256
    .name:           _ZL29rocblas_internal_gemmt_kernelIiLi16ELi32ELi8ELc78ELc78ELc85ELb0ELb0EddPKPKdPKPdEviT_T9_T10_S7_lS9_S7_lS8_T11_S7_li
    .private_segment_fixed_size: 0
    .sgpr_count:     36
    .sgpr_spill_count: 0
    .symbol:         _ZL29rocblas_internal_gemmt_kernelIiLi16ELi32ELi8ELc78ELc78ELc85ELb0ELb0EddPKPKdPKPdEviT_T9_T10_S7_lS9_S7_lS8_T11_S7_li.kd
    .uniform_work_group_size: 1
    .uses_dynamic_stack: false
    .vgpr_count:     54
    .vgpr_spill_count: 0
    .wavefront_size: 32
  - .args:
      - .offset:         0
        .size:           4
        .value_kind:     by_value
      - .offset:         4
        .size:           4
        .value_kind:     by_value
      - .offset:         8
        .size:           8
        .value_kind:     by_value
      - .address_space:  global
        .offset:         16
        .size:           8
        .value_kind:     global_buffer
      - .offset:         24
        .size:           4
        .value_kind:     by_value
      - .offset:         32
        .size:           8
        .value_kind:     by_value
      - .address_space:  global
        .offset:         40
        .size:           8
        .value_kind:     global_buffer
      - .offset:         48
        .size:           4
        .value_kind:     by_value
      - .offset:         56
        .size:           8
        .value_kind:     by_value
      - .offset:         64
        .size:           8
        .value_kind:     by_value
      - .address_space:  global
        .offset:         72
        .size:           8
        .value_kind:     global_buffer
      - .offset:         80
        .size:           4
        .value_kind:     by_value
      - .offset:         88
        .size:           8
        .value_kind:     by_value
      - .offset:         96
        .size:           4
        .value_kind:     by_value
    .group_segment_fixed_size: 4096
    .kernarg_segment_align: 8
    .kernarg_segment_size: 100
    .language:       OpenCL C
    .language_version:
      - 2
      - 0
    .max_flat_workgroup_size: 256
    .name:           _ZL29rocblas_internal_gemmt_kernelIiLi16ELi32ELi8ELc78ELc84ELc85ELb0ELb0EddPKPKdPKPdEviT_T9_T10_S7_lS9_S7_lS8_T11_S7_li
    .private_segment_fixed_size: 0
    .sgpr_count:     38
    .sgpr_spill_count: 0
    .symbol:         _ZL29rocblas_internal_gemmt_kernelIiLi16ELi32ELi8ELc78ELc84ELc85ELb0ELb0EddPKPKdPKPdEviT_T9_T10_S7_lS9_S7_lS8_T11_S7_li.kd
    .uniform_work_group_size: 1
    .uses_dynamic_stack: false
    .vgpr_count:     54
    .vgpr_spill_count: 0
    .wavefront_size: 32
  - .args:
      - .offset:         0
        .size:           4
        .value_kind:     by_value
      - .offset:         4
        .size:           4
        .value_kind:     by_value
      - .offset:         8
        .size:           8
        .value_kind:     by_value
      - .address_space:  global
        .offset:         16
        .size:           8
        .value_kind:     global_buffer
      - .offset:         24
        .size:           4
        .value_kind:     by_value
      - .offset:         32
        .size:           8
        .value_kind:     by_value
      - .address_space:  global
        .offset:         40
        .size:           8
        .value_kind:     global_buffer
      - .offset:         48
        .size:           4
        .value_kind:     by_value
      - .offset:         56
        .size:           8
        .value_kind:     by_value
      - .offset:         64
        .size:           8
        .value_kind:     by_value
      - .address_space:  global
        .offset:         72
        .size:           8
        .value_kind:     global_buffer
      - .offset:         80
        .size:           4
        .value_kind:     by_value
      - .offset:         88
        .size:           8
        .value_kind:     by_value
      - .offset:         96
        .size:           4
        .value_kind:     by_value
    .group_segment_fixed_size: 4096
    .kernarg_segment_align: 8
    .kernarg_segment_size: 100
    .language:       OpenCL C
    .language_version:
      - 2
      - 0
    .max_flat_workgroup_size: 256
    .name:           _ZL29rocblas_internal_gemmt_kernelIiLi16ELi32ELi8ELc78ELc67ELc85ELb0ELb0EddPKPKdPKPdEviT_T9_T10_S7_lS9_S7_lS8_T11_S7_li
    .private_segment_fixed_size: 0
    .sgpr_count:     38
    .sgpr_spill_count: 0
    .symbol:         _ZL29rocblas_internal_gemmt_kernelIiLi16ELi32ELi8ELc78ELc67ELc85ELb0ELb0EddPKPKdPKPdEviT_T9_T10_S7_lS9_S7_lS8_T11_S7_li.kd
    .uniform_work_group_size: 1
    .uses_dynamic_stack: false
    .vgpr_count:     54
    .vgpr_spill_count: 0
    .wavefront_size: 32
  - .args:
      - .offset:         0
        .size:           4
        .value_kind:     by_value
      - .offset:         4
        .size:           4
        .value_kind:     by_value
      - .offset:         8
        .size:           8
        .value_kind:     by_value
      - .address_space:  global
        .offset:         16
        .size:           8
        .value_kind:     global_buffer
      - .offset:         24
        .size:           4
        .value_kind:     by_value
      - .offset:         32
        .size:           8
        .value_kind:     by_value
      - .address_space:  global
        .offset:         40
        .size:           8
        .value_kind:     global_buffer
      - .offset:         48
        .size:           4
        .value_kind:     by_value
      - .offset:         56
        .size:           8
        .value_kind:     by_value
      - .offset:         64
        .size:           8
        .value_kind:     by_value
      - .address_space:  global
        .offset:         72
        .size:           8
        .value_kind:     global_buffer
      - .offset:         80
        .size:           4
        .value_kind:     by_value
      - .offset:         88
        .size:           8
        .value_kind:     by_value
      - .offset:         96
        .size:           4
        .value_kind:     by_value
    .group_segment_fixed_size: 4096
    .kernarg_segment_align: 8
    .kernarg_segment_size: 100
    .language:       OpenCL C
    .language_version:
      - 2
      - 0
    .max_flat_workgroup_size: 256
    .name:           _ZL29rocblas_internal_gemmt_kernelIiLi16ELi32ELi8ELc84ELc78ELc85ELb0ELb0EddPKPKdPKPdEviT_T9_T10_S7_lS9_S7_lS8_T11_S7_li
    .private_segment_fixed_size: 0
    .sgpr_count:     36
    .sgpr_spill_count: 0
    .symbol:         _ZL29rocblas_internal_gemmt_kernelIiLi16ELi32ELi8ELc84ELc78ELc85ELb0ELb0EddPKPKdPKPdEviT_T9_T10_S7_lS9_S7_lS8_T11_S7_li.kd
    .uniform_work_group_size: 1
    .uses_dynamic_stack: false
    .vgpr_count:     54
    .vgpr_spill_count: 0
    .wavefront_size: 32
  - .args:
      - .offset:         0
        .size:           4
        .value_kind:     by_value
      - .offset:         4
        .size:           4
        .value_kind:     by_value
      - .offset:         8
        .size:           8
        .value_kind:     by_value
      - .address_space:  global
        .offset:         16
        .size:           8
        .value_kind:     global_buffer
      - .offset:         24
        .size:           4
        .value_kind:     by_value
      - .offset:         32
        .size:           8
        .value_kind:     by_value
      - .address_space:  global
        .offset:         40
        .size:           8
        .value_kind:     global_buffer
      - .offset:         48
        .size:           4
        .value_kind:     by_value
      - .offset:         56
        .size:           8
        .value_kind:     by_value
      - .offset:         64
        .size:           8
        .value_kind:     by_value
      - .address_space:  global
        .offset:         72
        .size:           8
        .value_kind:     global_buffer
      - .offset:         80
        .size:           4
        .value_kind:     by_value
      - .offset:         88
        .size:           8
        .value_kind:     by_value
      - .offset:         96
        .size:           4
        .value_kind:     by_value
    .group_segment_fixed_size: 4096
    .kernarg_segment_align: 8
    .kernarg_segment_size: 100
    .language:       OpenCL C
    .language_version:
      - 2
      - 0
    .max_flat_workgroup_size: 256
    .name:           _ZL29rocblas_internal_gemmt_kernelIiLi16ELi32ELi8ELc84ELc84ELc85ELb0ELb0EddPKPKdPKPdEviT_T9_T10_S7_lS9_S7_lS8_T11_S7_li
    .private_segment_fixed_size: 0
    .sgpr_count:     36
    .sgpr_spill_count: 0
    .symbol:         _ZL29rocblas_internal_gemmt_kernelIiLi16ELi32ELi8ELc84ELc84ELc85ELb0ELb0EddPKPKdPKPdEviT_T9_T10_S7_lS9_S7_lS8_T11_S7_li.kd
    .uniform_work_group_size: 1
    .uses_dynamic_stack: false
    .vgpr_count:     54
    .vgpr_spill_count: 0
    .wavefront_size: 32
  - .args:
      - .offset:         0
        .size:           4
        .value_kind:     by_value
      - .offset:         4
        .size:           4
        .value_kind:     by_value
      - .offset:         8
        .size:           8
        .value_kind:     by_value
      - .address_space:  global
        .offset:         16
        .size:           8
        .value_kind:     global_buffer
      - .offset:         24
        .size:           4
        .value_kind:     by_value
      - .offset:         32
        .size:           8
        .value_kind:     by_value
      - .address_space:  global
        .offset:         40
        .size:           8
        .value_kind:     global_buffer
      - .offset:         48
        .size:           4
        .value_kind:     by_value
      - .offset:         56
        .size:           8
        .value_kind:     by_value
      - .offset:         64
        .size:           8
        .value_kind:     by_value
      - .address_space:  global
        .offset:         72
        .size:           8
        .value_kind:     global_buffer
      - .offset:         80
        .size:           4
        .value_kind:     by_value
      - .offset:         88
        .size:           8
        .value_kind:     by_value
      - .offset:         96
        .size:           4
        .value_kind:     by_value
    .group_segment_fixed_size: 4096
    .kernarg_segment_align: 8
    .kernarg_segment_size: 100
    .language:       OpenCL C
    .language_version:
      - 2
      - 0
    .max_flat_workgroup_size: 256
    .name:           _ZL29rocblas_internal_gemmt_kernelIiLi16ELi32ELi8ELc84ELc67ELc85ELb0ELb0EddPKPKdPKPdEviT_T9_T10_S7_lS9_S7_lS8_T11_S7_li
    .private_segment_fixed_size: 0
    .sgpr_count:     36
    .sgpr_spill_count: 0
    .symbol:         _ZL29rocblas_internal_gemmt_kernelIiLi16ELi32ELi8ELc84ELc67ELc85ELb0ELb0EddPKPKdPKPdEviT_T9_T10_S7_lS9_S7_lS8_T11_S7_li.kd
    .uniform_work_group_size: 1
    .uses_dynamic_stack: false
    .vgpr_count:     54
    .vgpr_spill_count: 0
    .wavefront_size: 32
  - .args:
      - .offset:         0
        .size:           4
        .value_kind:     by_value
      - .offset:         4
        .size:           4
        .value_kind:     by_value
      - .offset:         8
        .size:           8
        .value_kind:     by_value
      - .address_space:  global
        .offset:         16
        .size:           8
        .value_kind:     global_buffer
      - .offset:         24
        .size:           4
        .value_kind:     by_value
      - .offset:         32
        .size:           8
        .value_kind:     by_value
      - .address_space:  global
        .offset:         40
        .size:           8
        .value_kind:     global_buffer
      - .offset:         48
        .size:           4
        .value_kind:     by_value
      - .offset:         56
        .size:           8
        .value_kind:     by_value
      - .offset:         64
        .size:           8
        .value_kind:     by_value
      - .address_space:  global
        .offset:         72
        .size:           8
        .value_kind:     global_buffer
      - .offset:         80
        .size:           4
        .value_kind:     by_value
      - .offset:         88
        .size:           8
        .value_kind:     by_value
      - .offset:         96
        .size:           4
        .value_kind:     by_value
    .group_segment_fixed_size: 4096
    .kernarg_segment_align: 8
    .kernarg_segment_size: 100
    .language:       OpenCL C
    .language_version:
      - 2
      - 0
    .max_flat_workgroup_size: 256
    .name:           _ZL29rocblas_internal_gemmt_kernelIiLi16ELi32ELi8ELc67ELc78ELc85ELb0ELb0EddPKPKdPKPdEviT_T9_T10_S7_lS9_S7_lS8_T11_S7_li
    .private_segment_fixed_size: 0
    .sgpr_count:     36
    .sgpr_spill_count: 0
    .symbol:         _ZL29rocblas_internal_gemmt_kernelIiLi16ELi32ELi8ELc67ELc78ELc85ELb0ELb0EddPKPKdPKPdEviT_T9_T10_S7_lS9_S7_lS8_T11_S7_li.kd
    .uniform_work_group_size: 1
    .uses_dynamic_stack: false
    .vgpr_count:     54
    .vgpr_spill_count: 0
    .wavefront_size: 32
  - .args:
      - .offset:         0
        .size:           4
        .value_kind:     by_value
      - .offset:         4
        .size:           4
        .value_kind:     by_value
      - .offset:         8
        .size:           8
        .value_kind:     by_value
      - .address_space:  global
        .offset:         16
        .size:           8
        .value_kind:     global_buffer
      - .offset:         24
        .size:           4
        .value_kind:     by_value
      - .offset:         32
        .size:           8
        .value_kind:     by_value
      - .address_space:  global
        .offset:         40
        .size:           8
        .value_kind:     global_buffer
      - .offset:         48
        .size:           4
        .value_kind:     by_value
      - .offset:         56
        .size:           8
        .value_kind:     by_value
      - .offset:         64
        .size:           8
        .value_kind:     by_value
      - .address_space:  global
        .offset:         72
        .size:           8
        .value_kind:     global_buffer
      - .offset:         80
        .size:           4
        .value_kind:     by_value
      - .offset:         88
        .size:           8
        .value_kind:     by_value
      - .offset:         96
        .size:           4
        .value_kind:     by_value
    .group_segment_fixed_size: 4096
    .kernarg_segment_align: 8
    .kernarg_segment_size: 100
    .language:       OpenCL C
    .language_version:
      - 2
      - 0
    .max_flat_workgroup_size: 256
    .name:           _ZL29rocblas_internal_gemmt_kernelIiLi16ELi32ELi8ELc67ELc84ELc85ELb0ELb0EddPKPKdPKPdEviT_T9_T10_S7_lS9_S7_lS8_T11_S7_li
    .private_segment_fixed_size: 0
    .sgpr_count:     36
    .sgpr_spill_count: 0
    .symbol:         _ZL29rocblas_internal_gemmt_kernelIiLi16ELi32ELi8ELc67ELc84ELc85ELb0ELb0EddPKPKdPKPdEviT_T9_T10_S7_lS9_S7_lS8_T11_S7_li.kd
    .uniform_work_group_size: 1
    .uses_dynamic_stack: false
    .vgpr_count:     54
    .vgpr_spill_count: 0
    .wavefront_size: 32
  - .args:
      - .offset:         0
        .size:           4
        .value_kind:     by_value
      - .offset:         4
        .size:           4
        .value_kind:     by_value
      - .offset:         8
        .size:           8
        .value_kind:     by_value
      - .address_space:  global
        .offset:         16
        .size:           8
        .value_kind:     global_buffer
      - .offset:         24
        .size:           4
        .value_kind:     by_value
      - .offset:         32
        .size:           8
        .value_kind:     by_value
      - .address_space:  global
        .offset:         40
        .size:           8
        .value_kind:     global_buffer
      - .offset:         48
        .size:           4
        .value_kind:     by_value
      - .offset:         56
        .size:           8
        .value_kind:     by_value
      - .offset:         64
        .size:           8
        .value_kind:     by_value
      - .address_space:  global
        .offset:         72
        .size:           8
        .value_kind:     global_buffer
      - .offset:         80
        .size:           4
        .value_kind:     by_value
      - .offset:         88
        .size:           8
        .value_kind:     by_value
      - .offset:         96
        .size:           4
        .value_kind:     by_value
    .group_segment_fixed_size: 4096
    .kernarg_segment_align: 8
    .kernarg_segment_size: 100
    .language:       OpenCL C
    .language_version:
      - 2
      - 0
    .max_flat_workgroup_size: 256
    .name:           _ZL29rocblas_internal_gemmt_kernelIiLi16ELi32ELi8ELc67ELc67ELc85ELb0ELb0EddPKPKdPKPdEviT_T9_T10_S7_lS9_S7_lS8_T11_S7_li
    .private_segment_fixed_size: 0
    .sgpr_count:     36
    .sgpr_spill_count: 0
    .symbol:         _ZL29rocblas_internal_gemmt_kernelIiLi16ELi32ELi8ELc67ELc67ELc85ELb0ELb0EddPKPKdPKPdEviT_T9_T10_S7_lS9_S7_lS8_T11_S7_li.kd
    .uniform_work_group_size: 1
    .uses_dynamic_stack: false
    .vgpr_count:     54
    .vgpr_spill_count: 0
    .wavefront_size: 32
  - .args:
      - .offset:         0
        .size:           4
        .value_kind:     by_value
      - .offset:         4
        .size:           4
        .value_kind:     by_value
      - .offset:         8
        .size:           8
        .value_kind:     by_value
      - .address_space:  global
        .offset:         16
        .size:           8
        .value_kind:     global_buffer
      - .offset:         24
        .size:           4
        .value_kind:     by_value
      - .offset:         32
        .size:           8
        .value_kind:     by_value
      - .address_space:  global
        .offset:         40
        .size:           8
        .value_kind:     global_buffer
      - .offset:         48
        .size:           4
        .value_kind:     by_value
      - .offset:         56
        .size:           8
        .value_kind:     by_value
      - .offset:         64
        .size:           8
        .value_kind:     by_value
      - .address_space:  global
        .offset:         72
        .size:           8
        .value_kind:     global_buffer
      - .offset:         80
        .size:           4
        .value_kind:     by_value
      - .offset:         88
        .size:           8
        .value_kind:     by_value
      - .offset:         96
        .size:           4
        .value_kind:     by_value
    .group_segment_fixed_size: 4096
    .kernarg_segment_align: 8
    .kernarg_segment_size: 100
    .language:       OpenCL C
    .language_version:
      - 2
      - 0
    .max_flat_workgroup_size: 256
    .name:           _ZL29rocblas_internal_gemmt_kernelIiLi16ELi32ELi8ELc78ELc78ELc76ELb0ELb0EddPKPKdPKPdEviT_T9_T10_S7_lS9_S7_lS8_T11_S7_li
    .private_segment_fixed_size: 0
    .sgpr_count:     36
    .sgpr_spill_count: 0
    .symbol:         _ZL29rocblas_internal_gemmt_kernelIiLi16ELi32ELi8ELc78ELc78ELc76ELb0ELb0EddPKPKdPKPdEviT_T9_T10_S7_lS9_S7_lS8_T11_S7_li.kd
    .uniform_work_group_size: 1
    .uses_dynamic_stack: false
    .vgpr_count:     54
    .vgpr_spill_count: 0
    .wavefront_size: 32
  - .args:
      - .offset:         0
        .size:           4
        .value_kind:     by_value
      - .offset:         4
        .size:           4
        .value_kind:     by_value
      - .offset:         8
        .size:           8
        .value_kind:     by_value
      - .address_space:  global
        .offset:         16
        .size:           8
        .value_kind:     global_buffer
      - .offset:         24
        .size:           4
        .value_kind:     by_value
      - .offset:         32
        .size:           8
        .value_kind:     by_value
      - .address_space:  global
        .offset:         40
        .size:           8
        .value_kind:     global_buffer
      - .offset:         48
        .size:           4
        .value_kind:     by_value
      - .offset:         56
        .size:           8
        .value_kind:     by_value
      - .offset:         64
        .size:           8
        .value_kind:     by_value
      - .address_space:  global
        .offset:         72
        .size:           8
        .value_kind:     global_buffer
      - .offset:         80
        .size:           4
        .value_kind:     by_value
      - .offset:         88
        .size:           8
        .value_kind:     by_value
      - .offset:         96
        .size:           4
        .value_kind:     by_value
    .group_segment_fixed_size: 4096
    .kernarg_segment_align: 8
    .kernarg_segment_size: 100
    .language:       OpenCL C
    .language_version:
      - 2
      - 0
    .max_flat_workgroup_size: 256
    .name:           _ZL29rocblas_internal_gemmt_kernelIiLi16ELi32ELi8ELc78ELc84ELc76ELb0ELb0EddPKPKdPKPdEviT_T9_T10_S7_lS9_S7_lS8_T11_S7_li
    .private_segment_fixed_size: 0
    .sgpr_count:     38
    .sgpr_spill_count: 0
    .symbol:         _ZL29rocblas_internal_gemmt_kernelIiLi16ELi32ELi8ELc78ELc84ELc76ELb0ELb0EddPKPKdPKPdEviT_T9_T10_S7_lS9_S7_lS8_T11_S7_li.kd
    .uniform_work_group_size: 1
    .uses_dynamic_stack: false
    .vgpr_count:     54
    .vgpr_spill_count: 0
    .wavefront_size: 32
  - .args:
      - .offset:         0
        .size:           4
        .value_kind:     by_value
      - .offset:         4
        .size:           4
        .value_kind:     by_value
      - .offset:         8
        .size:           8
        .value_kind:     by_value
      - .address_space:  global
        .offset:         16
        .size:           8
        .value_kind:     global_buffer
      - .offset:         24
        .size:           4
        .value_kind:     by_value
      - .offset:         32
        .size:           8
        .value_kind:     by_value
      - .address_space:  global
        .offset:         40
        .size:           8
        .value_kind:     global_buffer
      - .offset:         48
        .size:           4
        .value_kind:     by_value
      - .offset:         56
        .size:           8
        .value_kind:     by_value
      - .offset:         64
        .size:           8
        .value_kind:     by_value
      - .address_space:  global
        .offset:         72
        .size:           8
        .value_kind:     global_buffer
      - .offset:         80
        .size:           4
        .value_kind:     by_value
      - .offset:         88
        .size:           8
        .value_kind:     by_value
      - .offset:         96
        .size:           4
        .value_kind:     by_value
    .group_segment_fixed_size: 4096
    .kernarg_segment_align: 8
    .kernarg_segment_size: 100
    .language:       OpenCL C
    .language_version:
      - 2
      - 0
    .max_flat_workgroup_size: 256
    .name:           _ZL29rocblas_internal_gemmt_kernelIiLi16ELi32ELi8ELc78ELc67ELc76ELb0ELb0EddPKPKdPKPdEviT_T9_T10_S7_lS9_S7_lS8_T11_S7_li
    .private_segment_fixed_size: 0
    .sgpr_count:     38
    .sgpr_spill_count: 0
    .symbol:         _ZL29rocblas_internal_gemmt_kernelIiLi16ELi32ELi8ELc78ELc67ELc76ELb0ELb0EddPKPKdPKPdEviT_T9_T10_S7_lS9_S7_lS8_T11_S7_li.kd
    .uniform_work_group_size: 1
    .uses_dynamic_stack: false
    .vgpr_count:     54
    .vgpr_spill_count: 0
    .wavefront_size: 32
  - .args:
      - .offset:         0
        .size:           4
        .value_kind:     by_value
      - .offset:         4
        .size:           4
        .value_kind:     by_value
      - .offset:         8
        .size:           8
        .value_kind:     by_value
      - .address_space:  global
        .offset:         16
        .size:           8
        .value_kind:     global_buffer
      - .offset:         24
        .size:           4
        .value_kind:     by_value
      - .offset:         32
        .size:           8
        .value_kind:     by_value
      - .address_space:  global
        .offset:         40
        .size:           8
        .value_kind:     global_buffer
      - .offset:         48
        .size:           4
        .value_kind:     by_value
      - .offset:         56
        .size:           8
        .value_kind:     by_value
      - .offset:         64
        .size:           8
        .value_kind:     by_value
      - .address_space:  global
        .offset:         72
        .size:           8
        .value_kind:     global_buffer
      - .offset:         80
        .size:           4
        .value_kind:     by_value
      - .offset:         88
        .size:           8
        .value_kind:     by_value
      - .offset:         96
        .size:           4
        .value_kind:     by_value
    .group_segment_fixed_size: 4096
    .kernarg_segment_align: 8
    .kernarg_segment_size: 100
    .language:       OpenCL C
    .language_version:
      - 2
      - 0
    .max_flat_workgroup_size: 256
    .name:           _ZL29rocblas_internal_gemmt_kernelIiLi16ELi32ELi8ELc84ELc78ELc76ELb0ELb0EddPKPKdPKPdEviT_T9_T10_S7_lS9_S7_lS8_T11_S7_li
    .private_segment_fixed_size: 0
    .sgpr_count:     36
    .sgpr_spill_count: 0
    .symbol:         _ZL29rocblas_internal_gemmt_kernelIiLi16ELi32ELi8ELc84ELc78ELc76ELb0ELb0EddPKPKdPKPdEviT_T9_T10_S7_lS9_S7_lS8_T11_S7_li.kd
    .uniform_work_group_size: 1
    .uses_dynamic_stack: false
    .vgpr_count:     54
    .vgpr_spill_count: 0
    .wavefront_size: 32
  - .args:
      - .offset:         0
        .size:           4
        .value_kind:     by_value
      - .offset:         4
        .size:           4
        .value_kind:     by_value
      - .offset:         8
        .size:           8
        .value_kind:     by_value
      - .address_space:  global
        .offset:         16
        .size:           8
        .value_kind:     global_buffer
      - .offset:         24
        .size:           4
        .value_kind:     by_value
      - .offset:         32
        .size:           8
        .value_kind:     by_value
      - .address_space:  global
        .offset:         40
        .size:           8
        .value_kind:     global_buffer
      - .offset:         48
        .size:           4
        .value_kind:     by_value
      - .offset:         56
        .size:           8
        .value_kind:     by_value
      - .offset:         64
        .size:           8
        .value_kind:     by_value
      - .address_space:  global
        .offset:         72
        .size:           8
        .value_kind:     global_buffer
      - .offset:         80
        .size:           4
        .value_kind:     by_value
      - .offset:         88
        .size:           8
        .value_kind:     by_value
      - .offset:         96
        .size:           4
        .value_kind:     by_value
    .group_segment_fixed_size: 4096
    .kernarg_segment_align: 8
    .kernarg_segment_size: 100
    .language:       OpenCL C
    .language_version:
      - 2
      - 0
    .max_flat_workgroup_size: 256
    .name:           _ZL29rocblas_internal_gemmt_kernelIiLi16ELi32ELi8ELc84ELc84ELc76ELb0ELb0EddPKPKdPKPdEviT_T9_T10_S7_lS9_S7_lS8_T11_S7_li
    .private_segment_fixed_size: 0
    .sgpr_count:     36
    .sgpr_spill_count: 0
    .symbol:         _ZL29rocblas_internal_gemmt_kernelIiLi16ELi32ELi8ELc84ELc84ELc76ELb0ELb0EddPKPKdPKPdEviT_T9_T10_S7_lS9_S7_lS8_T11_S7_li.kd
    .uniform_work_group_size: 1
    .uses_dynamic_stack: false
    .vgpr_count:     54
    .vgpr_spill_count: 0
    .wavefront_size: 32
  - .args:
      - .offset:         0
        .size:           4
        .value_kind:     by_value
      - .offset:         4
        .size:           4
        .value_kind:     by_value
      - .offset:         8
        .size:           8
        .value_kind:     by_value
      - .address_space:  global
        .offset:         16
        .size:           8
        .value_kind:     global_buffer
      - .offset:         24
        .size:           4
        .value_kind:     by_value
      - .offset:         32
        .size:           8
        .value_kind:     by_value
      - .address_space:  global
        .offset:         40
        .size:           8
        .value_kind:     global_buffer
      - .offset:         48
        .size:           4
        .value_kind:     by_value
      - .offset:         56
        .size:           8
        .value_kind:     by_value
      - .offset:         64
        .size:           8
        .value_kind:     by_value
      - .address_space:  global
        .offset:         72
        .size:           8
        .value_kind:     global_buffer
      - .offset:         80
        .size:           4
        .value_kind:     by_value
      - .offset:         88
        .size:           8
        .value_kind:     by_value
      - .offset:         96
        .size:           4
        .value_kind:     by_value
    .group_segment_fixed_size: 4096
    .kernarg_segment_align: 8
    .kernarg_segment_size: 100
    .language:       OpenCL C
    .language_version:
      - 2
      - 0
    .max_flat_workgroup_size: 256
    .name:           _ZL29rocblas_internal_gemmt_kernelIiLi16ELi32ELi8ELc84ELc67ELc76ELb0ELb0EddPKPKdPKPdEviT_T9_T10_S7_lS9_S7_lS8_T11_S7_li
    .private_segment_fixed_size: 0
    .sgpr_count:     36
    .sgpr_spill_count: 0
    .symbol:         _ZL29rocblas_internal_gemmt_kernelIiLi16ELi32ELi8ELc84ELc67ELc76ELb0ELb0EddPKPKdPKPdEviT_T9_T10_S7_lS9_S7_lS8_T11_S7_li.kd
    .uniform_work_group_size: 1
    .uses_dynamic_stack: false
    .vgpr_count:     54
    .vgpr_spill_count: 0
    .wavefront_size: 32
  - .args:
      - .offset:         0
        .size:           4
        .value_kind:     by_value
      - .offset:         4
        .size:           4
        .value_kind:     by_value
      - .offset:         8
        .size:           8
        .value_kind:     by_value
      - .address_space:  global
        .offset:         16
        .size:           8
        .value_kind:     global_buffer
      - .offset:         24
        .size:           4
        .value_kind:     by_value
      - .offset:         32
        .size:           8
        .value_kind:     by_value
      - .address_space:  global
        .offset:         40
        .size:           8
        .value_kind:     global_buffer
      - .offset:         48
        .size:           4
        .value_kind:     by_value
      - .offset:         56
        .size:           8
        .value_kind:     by_value
      - .offset:         64
        .size:           8
        .value_kind:     by_value
      - .address_space:  global
        .offset:         72
        .size:           8
        .value_kind:     global_buffer
      - .offset:         80
        .size:           4
        .value_kind:     by_value
      - .offset:         88
        .size:           8
        .value_kind:     by_value
      - .offset:         96
        .size:           4
        .value_kind:     by_value
    .group_segment_fixed_size: 4096
    .kernarg_segment_align: 8
    .kernarg_segment_size: 100
    .language:       OpenCL C
    .language_version:
      - 2
      - 0
    .max_flat_workgroup_size: 256
    .name:           _ZL29rocblas_internal_gemmt_kernelIiLi16ELi32ELi8ELc67ELc78ELc76ELb0ELb0EddPKPKdPKPdEviT_T9_T10_S7_lS9_S7_lS8_T11_S7_li
    .private_segment_fixed_size: 0
    .sgpr_count:     36
    .sgpr_spill_count: 0
    .symbol:         _ZL29rocblas_internal_gemmt_kernelIiLi16ELi32ELi8ELc67ELc78ELc76ELb0ELb0EddPKPKdPKPdEviT_T9_T10_S7_lS9_S7_lS8_T11_S7_li.kd
    .uniform_work_group_size: 1
    .uses_dynamic_stack: false
    .vgpr_count:     54
    .vgpr_spill_count: 0
    .wavefront_size: 32
  - .args:
      - .offset:         0
        .size:           4
        .value_kind:     by_value
      - .offset:         4
        .size:           4
        .value_kind:     by_value
      - .offset:         8
        .size:           8
        .value_kind:     by_value
      - .address_space:  global
        .offset:         16
        .size:           8
        .value_kind:     global_buffer
      - .offset:         24
        .size:           4
        .value_kind:     by_value
      - .offset:         32
        .size:           8
        .value_kind:     by_value
      - .address_space:  global
        .offset:         40
        .size:           8
        .value_kind:     global_buffer
      - .offset:         48
        .size:           4
        .value_kind:     by_value
      - .offset:         56
        .size:           8
        .value_kind:     by_value
      - .offset:         64
        .size:           8
        .value_kind:     by_value
      - .address_space:  global
        .offset:         72
        .size:           8
        .value_kind:     global_buffer
      - .offset:         80
        .size:           4
        .value_kind:     by_value
      - .offset:         88
        .size:           8
        .value_kind:     by_value
      - .offset:         96
        .size:           4
        .value_kind:     by_value
    .group_segment_fixed_size: 4096
    .kernarg_segment_align: 8
    .kernarg_segment_size: 100
    .language:       OpenCL C
    .language_version:
      - 2
      - 0
    .max_flat_workgroup_size: 256
    .name:           _ZL29rocblas_internal_gemmt_kernelIiLi16ELi32ELi8ELc67ELc84ELc76ELb0ELb0EddPKPKdPKPdEviT_T9_T10_S7_lS9_S7_lS8_T11_S7_li
    .private_segment_fixed_size: 0
    .sgpr_count:     36
    .sgpr_spill_count: 0
    .symbol:         _ZL29rocblas_internal_gemmt_kernelIiLi16ELi32ELi8ELc67ELc84ELc76ELb0ELb0EddPKPKdPKPdEviT_T9_T10_S7_lS9_S7_lS8_T11_S7_li.kd
    .uniform_work_group_size: 1
    .uses_dynamic_stack: false
    .vgpr_count:     54
    .vgpr_spill_count: 0
    .wavefront_size: 32
  - .args:
      - .offset:         0
        .size:           4
        .value_kind:     by_value
      - .offset:         4
        .size:           4
        .value_kind:     by_value
      - .offset:         8
        .size:           8
        .value_kind:     by_value
      - .address_space:  global
        .offset:         16
        .size:           8
        .value_kind:     global_buffer
      - .offset:         24
        .size:           4
        .value_kind:     by_value
      - .offset:         32
        .size:           8
        .value_kind:     by_value
      - .address_space:  global
        .offset:         40
        .size:           8
        .value_kind:     global_buffer
      - .offset:         48
        .size:           4
        .value_kind:     by_value
      - .offset:         56
        .size:           8
        .value_kind:     by_value
      - .offset:         64
        .size:           8
        .value_kind:     by_value
      - .address_space:  global
        .offset:         72
        .size:           8
        .value_kind:     global_buffer
      - .offset:         80
        .size:           4
        .value_kind:     by_value
      - .offset:         88
        .size:           8
        .value_kind:     by_value
      - .offset:         96
        .size:           4
        .value_kind:     by_value
    .group_segment_fixed_size: 4096
    .kernarg_segment_align: 8
    .kernarg_segment_size: 100
    .language:       OpenCL C
    .language_version:
      - 2
      - 0
    .max_flat_workgroup_size: 256
    .name:           _ZL29rocblas_internal_gemmt_kernelIiLi16ELi32ELi8ELc67ELc67ELc76ELb0ELb0EddPKPKdPKPdEviT_T9_T10_S7_lS9_S7_lS8_T11_S7_li
    .private_segment_fixed_size: 0
    .sgpr_count:     36
    .sgpr_spill_count: 0
    .symbol:         _ZL29rocblas_internal_gemmt_kernelIiLi16ELi32ELi8ELc67ELc67ELc76ELb0ELb0EddPKPKdPKPdEviT_T9_T10_S7_lS9_S7_lS8_T11_S7_li.kd
    .uniform_work_group_size: 1
    .uses_dynamic_stack: false
    .vgpr_count:     54
    .vgpr_spill_count: 0
    .wavefront_size: 32
  - .args:
      - .offset:         0
        .size:           4
        .value_kind:     by_value
      - .offset:         4
        .size:           4
        .value_kind:     by_value
      - .address_space:  global
        .offset:         8
        .size:           8
        .value_kind:     global_buffer
      - .address_space:  global
        .offset:         16
        .size:           8
        .value_kind:     global_buffer
      - .offset:         24
        .size:           4
        .value_kind:     by_value
      - .offset:         32
        .size:           8
        .value_kind:     by_value
      - .address_space:  global
        .offset:         40
        .size:           8
        .value_kind:     global_buffer
      - .offset:         48
        .size:           4
        .value_kind:     by_value
      - .offset:         56
        .size:           8
        .value_kind:     by_value
      - .address_space:  global
        .offset:         64
        .size:           8
        .value_kind:     global_buffer
      - .address_space:  global
        .offset:         72
        .size:           8
        .value_kind:     global_buffer
      - .offset:         80
        .size:           4
        .value_kind:     by_value
      - .offset:         88
        .size:           8
        .value_kind:     by_value
      - .offset:         96
        .size:           4
        .value_kind:     by_value
    .group_segment_fixed_size: 4096
    .kernarg_segment_align: 8
    .kernarg_segment_size: 100
    .language:       OpenCL C
    .language_version:
      - 2
      - 0
    .max_flat_workgroup_size: 256
    .name:           _ZL29rocblas_internal_gemmt_kernelIiLi16ELi32ELi8ELc78ELc78ELc85ELb0ELb0E19rocblas_complex_numIfEPKS1_PKS3_PKPS1_EviT_T9_T10_S9_lSB_S9_lSA_T11_S9_li
    .private_segment_fixed_size: 0
    .sgpr_count:     38
    .sgpr_spill_count: 0
    .symbol:         _ZL29rocblas_internal_gemmt_kernelIiLi16ELi32ELi8ELc78ELc78ELc85ELb0ELb0E19rocblas_complex_numIfEPKS1_PKS3_PKPS1_EviT_T9_T10_S9_lSB_S9_lSA_T11_S9_li.kd
    .uniform_work_group_size: 1
    .uses_dynamic_stack: false
    .vgpr_count:     71
    .vgpr_spill_count: 0
    .wavefront_size: 32
  - .args:
      - .offset:         0
        .size:           4
        .value_kind:     by_value
      - .offset:         4
        .size:           4
        .value_kind:     by_value
      - .address_space:  global
        .offset:         8
        .size:           8
        .value_kind:     global_buffer
      - .address_space:  global
        .offset:         16
        .size:           8
        .value_kind:     global_buffer
      - .offset:         24
        .size:           4
        .value_kind:     by_value
      - .offset:         32
        .size:           8
        .value_kind:     by_value
      - .address_space:  global
        .offset:         40
        .size:           8
        .value_kind:     global_buffer
      - .offset:         48
        .size:           4
        .value_kind:     by_value
      - .offset:         56
        .size:           8
        .value_kind:     by_value
      - .address_space:  global
        .offset:         64
        .size:           8
        .value_kind:     global_buffer
      - .address_space:  global
        .offset:         72
        .size:           8
        .value_kind:     global_buffer
      - .offset:         80
        .size:           4
        .value_kind:     by_value
      - .offset:         88
        .size:           8
        .value_kind:     by_value
      - .offset:         96
        .size:           4
        .value_kind:     by_value
    .group_segment_fixed_size: 4096
    .kernarg_segment_align: 8
    .kernarg_segment_size: 100
    .language:       OpenCL C
    .language_version:
      - 2
      - 0
    .max_flat_workgroup_size: 256
    .name:           _ZL29rocblas_internal_gemmt_kernelIiLi16ELi32ELi8ELc78ELc84ELc85ELb0ELb0E19rocblas_complex_numIfEPKS1_PKS3_PKPS1_EviT_T9_T10_S9_lSB_S9_lSA_T11_S9_li
    .private_segment_fixed_size: 0
    .sgpr_count:     41
    .sgpr_spill_count: 0
    .symbol:         _ZL29rocblas_internal_gemmt_kernelIiLi16ELi32ELi8ELc78ELc84ELc85ELb0ELb0E19rocblas_complex_numIfEPKS1_PKS3_PKPS1_EviT_T9_T10_S9_lSB_S9_lSA_T11_S9_li.kd
    .uniform_work_group_size: 1
    .uses_dynamic_stack: false
    .vgpr_count:     71
    .vgpr_spill_count: 0
    .wavefront_size: 32
  - .args:
      - .offset:         0
        .size:           4
        .value_kind:     by_value
      - .offset:         4
        .size:           4
        .value_kind:     by_value
      - .address_space:  global
        .offset:         8
        .size:           8
        .value_kind:     global_buffer
      - .address_space:  global
        .offset:         16
        .size:           8
        .value_kind:     global_buffer
      - .offset:         24
        .size:           4
        .value_kind:     by_value
      - .offset:         32
        .size:           8
        .value_kind:     by_value
      - .address_space:  global
        .offset:         40
        .size:           8
        .value_kind:     global_buffer
      - .offset:         48
        .size:           4
        .value_kind:     by_value
      - .offset:         56
        .size:           8
        .value_kind:     by_value
      - .address_space:  global
        .offset:         64
        .size:           8
        .value_kind:     global_buffer
      - .address_space:  global
        .offset:         72
        .size:           8
        .value_kind:     global_buffer
      - .offset:         80
        .size:           4
        .value_kind:     by_value
      - .offset:         88
        .size:           8
        .value_kind:     by_value
      - .offset:         96
        .size:           4
        .value_kind:     by_value
    .group_segment_fixed_size: 4096
    .kernarg_segment_align: 8
    .kernarg_segment_size: 100
    .language:       OpenCL C
    .language_version:
      - 2
      - 0
    .max_flat_workgroup_size: 256
    .name:           _ZL29rocblas_internal_gemmt_kernelIiLi16ELi32ELi8ELc78ELc67ELc85ELb0ELb1E19rocblas_complex_numIfEPKS1_PKS3_PKPS1_EviT_T9_T10_S9_lSB_S9_lSA_T11_S9_li
    .private_segment_fixed_size: 0
    .sgpr_count:     42
    .sgpr_spill_count: 0
    .symbol:         _ZL29rocblas_internal_gemmt_kernelIiLi16ELi32ELi8ELc78ELc67ELc85ELb0ELb1E19rocblas_complex_numIfEPKS1_PKS3_PKPS1_EviT_T9_T10_S9_lSB_S9_lSA_T11_S9_li.kd
    .uniform_work_group_size: 1
    .uses_dynamic_stack: false
    .vgpr_count:     71
    .vgpr_spill_count: 0
    .wavefront_size: 32
  - .args:
      - .offset:         0
        .size:           4
        .value_kind:     by_value
      - .offset:         4
        .size:           4
        .value_kind:     by_value
      - .address_space:  global
        .offset:         8
        .size:           8
        .value_kind:     global_buffer
      - .address_space:  global
        .offset:         16
        .size:           8
        .value_kind:     global_buffer
      - .offset:         24
        .size:           4
        .value_kind:     by_value
      - .offset:         32
        .size:           8
        .value_kind:     by_value
      - .address_space:  global
        .offset:         40
        .size:           8
        .value_kind:     global_buffer
      - .offset:         48
        .size:           4
        .value_kind:     by_value
      - .offset:         56
        .size:           8
        .value_kind:     by_value
      - .address_space:  global
        .offset:         64
        .size:           8
        .value_kind:     global_buffer
      - .address_space:  global
        .offset:         72
        .size:           8
        .value_kind:     global_buffer
      - .offset:         80
        .size:           4
        .value_kind:     by_value
      - .offset:         88
        .size:           8
        .value_kind:     by_value
      - .offset:         96
        .size:           4
        .value_kind:     by_value
    .group_segment_fixed_size: 4096
    .kernarg_segment_align: 8
    .kernarg_segment_size: 100
    .language:       OpenCL C
    .language_version:
      - 2
      - 0
    .max_flat_workgroup_size: 256
    .name:           _ZL29rocblas_internal_gemmt_kernelIiLi16ELi32ELi8ELc84ELc78ELc85ELb0ELb0E19rocblas_complex_numIfEPKS1_PKS3_PKPS1_EviT_T9_T10_S9_lSB_S9_lSA_T11_S9_li
    .private_segment_fixed_size: 0
    .sgpr_count:     38
    .sgpr_spill_count: 0
    .symbol:         _ZL29rocblas_internal_gemmt_kernelIiLi16ELi32ELi8ELc84ELc78ELc85ELb0ELb0E19rocblas_complex_numIfEPKS1_PKS3_PKPS1_EviT_T9_T10_S9_lSB_S9_lSA_T11_S9_li.kd
    .uniform_work_group_size: 1
    .uses_dynamic_stack: false
    .vgpr_count:     72
    .vgpr_spill_count: 0
    .wavefront_size: 32
  - .args:
      - .offset:         0
        .size:           4
        .value_kind:     by_value
      - .offset:         4
        .size:           4
        .value_kind:     by_value
      - .address_space:  global
        .offset:         8
        .size:           8
        .value_kind:     global_buffer
      - .address_space:  global
        .offset:         16
        .size:           8
        .value_kind:     global_buffer
      - .offset:         24
        .size:           4
        .value_kind:     by_value
      - .offset:         32
        .size:           8
        .value_kind:     by_value
      - .address_space:  global
        .offset:         40
        .size:           8
        .value_kind:     global_buffer
      - .offset:         48
        .size:           4
        .value_kind:     by_value
      - .offset:         56
        .size:           8
        .value_kind:     by_value
      - .address_space:  global
        .offset:         64
        .size:           8
        .value_kind:     global_buffer
      - .address_space:  global
        .offset:         72
        .size:           8
        .value_kind:     global_buffer
      - .offset:         80
        .size:           4
        .value_kind:     by_value
      - .offset:         88
        .size:           8
        .value_kind:     by_value
      - .offset:         96
        .size:           4
        .value_kind:     by_value
    .group_segment_fixed_size: 4096
    .kernarg_segment_align: 8
    .kernarg_segment_size: 100
    .language:       OpenCL C
    .language_version:
      - 2
      - 0
    .max_flat_workgroup_size: 256
    .name:           _ZL29rocblas_internal_gemmt_kernelIiLi16ELi32ELi8ELc84ELc84ELc85ELb0ELb0E19rocblas_complex_numIfEPKS1_PKS3_PKPS1_EviT_T9_T10_S9_lSB_S9_lSA_T11_S9_li
    .private_segment_fixed_size: 0
    .sgpr_count:     38
    .sgpr_spill_count: 0
    .symbol:         _ZL29rocblas_internal_gemmt_kernelIiLi16ELi32ELi8ELc84ELc84ELc85ELb0ELb0E19rocblas_complex_numIfEPKS1_PKS3_PKPS1_EviT_T9_T10_S9_lSB_S9_lSA_T11_S9_li.kd
    .uniform_work_group_size: 1
    .uses_dynamic_stack: false
    .vgpr_count:     71
    .vgpr_spill_count: 0
    .wavefront_size: 32
  - .args:
      - .offset:         0
        .size:           4
        .value_kind:     by_value
      - .offset:         4
        .size:           4
        .value_kind:     by_value
      - .address_space:  global
        .offset:         8
        .size:           8
        .value_kind:     global_buffer
      - .address_space:  global
        .offset:         16
        .size:           8
        .value_kind:     global_buffer
      - .offset:         24
        .size:           4
        .value_kind:     by_value
      - .offset:         32
        .size:           8
        .value_kind:     by_value
      - .address_space:  global
        .offset:         40
        .size:           8
        .value_kind:     global_buffer
      - .offset:         48
        .size:           4
        .value_kind:     by_value
      - .offset:         56
        .size:           8
        .value_kind:     by_value
      - .address_space:  global
        .offset:         64
        .size:           8
        .value_kind:     global_buffer
      - .address_space:  global
        .offset:         72
        .size:           8
        .value_kind:     global_buffer
      - .offset:         80
        .size:           4
        .value_kind:     by_value
      - .offset:         88
        .size:           8
        .value_kind:     by_value
      - .offset:         96
        .size:           4
        .value_kind:     by_value
    .group_segment_fixed_size: 4096
    .kernarg_segment_align: 8
    .kernarg_segment_size: 100
    .language:       OpenCL C
    .language_version:
      - 2
      - 0
    .max_flat_workgroup_size: 256
    .name:           _ZL29rocblas_internal_gemmt_kernelIiLi16ELi32ELi8ELc84ELc67ELc85ELb0ELb1E19rocblas_complex_numIfEPKS1_PKS3_PKPS1_EviT_T9_T10_S9_lSB_S9_lSA_T11_S9_li
    .private_segment_fixed_size: 0
    .sgpr_count:     38
    .sgpr_spill_count: 0
    .symbol:         _ZL29rocblas_internal_gemmt_kernelIiLi16ELi32ELi8ELc84ELc67ELc85ELb0ELb1E19rocblas_complex_numIfEPKS1_PKS3_PKPS1_EviT_T9_T10_S9_lSB_S9_lSA_T11_S9_li.kd
    .uniform_work_group_size: 1
    .uses_dynamic_stack: false
    .vgpr_count:     71
    .vgpr_spill_count: 0
    .wavefront_size: 32
  - .args:
      - .offset:         0
        .size:           4
        .value_kind:     by_value
      - .offset:         4
        .size:           4
        .value_kind:     by_value
      - .address_space:  global
        .offset:         8
        .size:           8
        .value_kind:     global_buffer
      - .address_space:  global
        .offset:         16
        .size:           8
        .value_kind:     global_buffer
      - .offset:         24
        .size:           4
        .value_kind:     by_value
      - .offset:         32
        .size:           8
        .value_kind:     by_value
      - .address_space:  global
        .offset:         40
        .size:           8
        .value_kind:     global_buffer
      - .offset:         48
        .size:           4
        .value_kind:     by_value
      - .offset:         56
        .size:           8
        .value_kind:     by_value
      - .address_space:  global
        .offset:         64
        .size:           8
        .value_kind:     global_buffer
      - .address_space:  global
        .offset:         72
        .size:           8
        .value_kind:     global_buffer
      - .offset:         80
        .size:           4
        .value_kind:     by_value
      - .offset:         88
        .size:           8
        .value_kind:     by_value
      - .offset:         96
        .size:           4
        .value_kind:     by_value
    .group_segment_fixed_size: 4096
    .kernarg_segment_align: 8
    .kernarg_segment_size: 100
    .language:       OpenCL C
    .language_version:
      - 2
      - 0
    .max_flat_workgroup_size: 256
    .name:           _ZL29rocblas_internal_gemmt_kernelIiLi16ELi32ELi8ELc67ELc78ELc85ELb1ELb0E19rocblas_complex_numIfEPKS1_PKS3_PKPS1_EviT_T9_T10_S9_lSB_S9_lSA_T11_S9_li
    .private_segment_fixed_size: 0
    .sgpr_count:     37
    .sgpr_spill_count: 0
    .symbol:         _ZL29rocblas_internal_gemmt_kernelIiLi16ELi32ELi8ELc67ELc78ELc85ELb1ELb0E19rocblas_complex_numIfEPKS1_PKS3_PKPS1_EviT_T9_T10_S9_lSB_S9_lSA_T11_S9_li.kd
    .uniform_work_group_size: 1
    .uses_dynamic_stack: false
    .vgpr_count:     72
    .vgpr_spill_count: 0
    .wavefront_size: 32
  - .args:
      - .offset:         0
        .size:           4
        .value_kind:     by_value
      - .offset:         4
        .size:           4
        .value_kind:     by_value
      - .address_space:  global
        .offset:         8
        .size:           8
        .value_kind:     global_buffer
      - .address_space:  global
        .offset:         16
        .size:           8
        .value_kind:     global_buffer
      - .offset:         24
        .size:           4
        .value_kind:     by_value
      - .offset:         32
        .size:           8
        .value_kind:     by_value
      - .address_space:  global
        .offset:         40
        .size:           8
        .value_kind:     global_buffer
      - .offset:         48
        .size:           4
        .value_kind:     by_value
      - .offset:         56
        .size:           8
        .value_kind:     by_value
      - .address_space:  global
        .offset:         64
        .size:           8
        .value_kind:     global_buffer
      - .address_space:  global
        .offset:         72
        .size:           8
        .value_kind:     global_buffer
      - .offset:         80
        .size:           4
        .value_kind:     by_value
      - .offset:         88
        .size:           8
        .value_kind:     by_value
      - .offset:         96
        .size:           4
        .value_kind:     by_value
    .group_segment_fixed_size: 4096
    .kernarg_segment_align: 8
    .kernarg_segment_size: 100
    .language:       OpenCL C
    .language_version:
      - 2
      - 0
    .max_flat_workgroup_size: 256
    .name:           _ZL29rocblas_internal_gemmt_kernelIiLi16ELi32ELi8ELc67ELc84ELc85ELb1ELb0E19rocblas_complex_numIfEPKS1_PKS3_PKPS1_EviT_T9_T10_S9_lSB_S9_lSA_T11_S9_li
    .private_segment_fixed_size: 0
    .sgpr_count:     38
    .sgpr_spill_count: 0
    .symbol:         _ZL29rocblas_internal_gemmt_kernelIiLi16ELi32ELi8ELc67ELc84ELc85ELb1ELb0E19rocblas_complex_numIfEPKS1_PKS3_PKPS1_EviT_T9_T10_S9_lSB_S9_lSA_T11_S9_li.kd
    .uniform_work_group_size: 1
    .uses_dynamic_stack: false
    .vgpr_count:     71
    .vgpr_spill_count: 0
    .wavefront_size: 32
  - .args:
      - .offset:         0
        .size:           4
        .value_kind:     by_value
      - .offset:         4
        .size:           4
        .value_kind:     by_value
      - .address_space:  global
        .offset:         8
        .size:           8
        .value_kind:     global_buffer
      - .address_space:  global
        .offset:         16
        .size:           8
        .value_kind:     global_buffer
      - .offset:         24
        .size:           4
        .value_kind:     by_value
      - .offset:         32
        .size:           8
        .value_kind:     by_value
      - .address_space:  global
        .offset:         40
        .size:           8
        .value_kind:     global_buffer
      - .offset:         48
        .size:           4
        .value_kind:     by_value
      - .offset:         56
        .size:           8
        .value_kind:     by_value
      - .address_space:  global
        .offset:         64
        .size:           8
        .value_kind:     global_buffer
      - .address_space:  global
        .offset:         72
        .size:           8
        .value_kind:     global_buffer
      - .offset:         80
        .size:           4
        .value_kind:     by_value
      - .offset:         88
        .size:           8
        .value_kind:     by_value
      - .offset:         96
        .size:           4
        .value_kind:     by_value
    .group_segment_fixed_size: 4096
    .kernarg_segment_align: 8
    .kernarg_segment_size: 100
    .language:       OpenCL C
    .language_version:
      - 2
      - 0
    .max_flat_workgroup_size: 256
    .name:           _ZL29rocblas_internal_gemmt_kernelIiLi16ELi32ELi8ELc67ELc67ELc85ELb1ELb1E19rocblas_complex_numIfEPKS1_PKS3_PKPS1_EviT_T9_T10_S9_lSB_S9_lSA_T11_S9_li
    .private_segment_fixed_size: 0
    .sgpr_count:     38
    .sgpr_spill_count: 0
    .symbol:         _ZL29rocblas_internal_gemmt_kernelIiLi16ELi32ELi8ELc67ELc67ELc85ELb1ELb1E19rocblas_complex_numIfEPKS1_PKS3_PKPS1_EviT_T9_T10_S9_lSB_S9_lSA_T11_S9_li.kd
    .uniform_work_group_size: 1
    .uses_dynamic_stack: false
    .vgpr_count:     71
    .vgpr_spill_count: 0
    .wavefront_size: 32
  - .args:
      - .offset:         0
        .size:           4
        .value_kind:     by_value
      - .offset:         4
        .size:           4
        .value_kind:     by_value
      - .address_space:  global
        .offset:         8
        .size:           8
        .value_kind:     global_buffer
      - .address_space:  global
        .offset:         16
        .size:           8
        .value_kind:     global_buffer
      - .offset:         24
        .size:           4
        .value_kind:     by_value
      - .offset:         32
        .size:           8
        .value_kind:     by_value
      - .address_space:  global
        .offset:         40
        .size:           8
        .value_kind:     global_buffer
      - .offset:         48
        .size:           4
        .value_kind:     by_value
      - .offset:         56
        .size:           8
        .value_kind:     by_value
      - .address_space:  global
        .offset:         64
        .size:           8
        .value_kind:     global_buffer
      - .address_space:  global
        .offset:         72
        .size:           8
        .value_kind:     global_buffer
      - .offset:         80
        .size:           4
        .value_kind:     by_value
      - .offset:         88
        .size:           8
        .value_kind:     by_value
      - .offset:         96
        .size:           4
        .value_kind:     by_value
    .group_segment_fixed_size: 4096
    .kernarg_segment_align: 8
    .kernarg_segment_size: 100
    .language:       OpenCL C
    .language_version:
      - 2
      - 0
    .max_flat_workgroup_size: 256
    .name:           _ZL29rocblas_internal_gemmt_kernelIiLi16ELi32ELi8ELc78ELc78ELc76ELb0ELb0E19rocblas_complex_numIfEPKS1_PKS3_PKPS1_EviT_T9_T10_S9_lSB_S9_lSA_T11_S9_li
    .private_segment_fixed_size: 0
    .sgpr_count:     38
    .sgpr_spill_count: 0
    .symbol:         _ZL29rocblas_internal_gemmt_kernelIiLi16ELi32ELi8ELc78ELc78ELc76ELb0ELb0E19rocblas_complex_numIfEPKS1_PKS3_PKPS1_EviT_T9_T10_S9_lSB_S9_lSA_T11_S9_li.kd
    .uniform_work_group_size: 1
    .uses_dynamic_stack: false
    .vgpr_count:     71
    .vgpr_spill_count: 0
    .wavefront_size: 32
  - .args:
      - .offset:         0
        .size:           4
        .value_kind:     by_value
      - .offset:         4
        .size:           4
        .value_kind:     by_value
      - .address_space:  global
        .offset:         8
        .size:           8
        .value_kind:     global_buffer
      - .address_space:  global
        .offset:         16
        .size:           8
        .value_kind:     global_buffer
      - .offset:         24
        .size:           4
        .value_kind:     by_value
      - .offset:         32
        .size:           8
        .value_kind:     by_value
      - .address_space:  global
        .offset:         40
        .size:           8
        .value_kind:     global_buffer
      - .offset:         48
        .size:           4
        .value_kind:     by_value
      - .offset:         56
        .size:           8
        .value_kind:     by_value
      - .address_space:  global
        .offset:         64
        .size:           8
        .value_kind:     global_buffer
      - .address_space:  global
        .offset:         72
        .size:           8
        .value_kind:     global_buffer
      - .offset:         80
        .size:           4
        .value_kind:     by_value
      - .offset:         88
        .size:           8
        .value_kind:     by_value
      - .offset:         96
        .size:           4
        .value_kind:     by_value
    .group_segment_fixed_size: 4096
    .kernarg_segment_align: 8
    .kernarg_segment_size: 100
    .language:       OpenCL C
    .language_version:
      - 2
      - 0
    .max_flat_workgroup_size: 256
    .name:           _ZL29rocblas_internal_gemmt_kernelIiLi16ELi32ELi8ELc78ELc84ELc76ELb0ELb0E19rocblas_complex_numIfEPKS1_PKS3_PKPS1_EviT_T9_T10_S9_lSB_S9_lSA_T11_S9_li
    .private_segment_fixed_size: 0
    .sgpr_count:     41
    .sgpr_spill_count: 0
    .symbol:         _ZL29rocblas_internal_gemmt_kernelIiLi16ELi32ELi8ELc78ELc84ELc76ELb0ELb0E19rocblas_complex_numIfEPKS1_PKS3_PKPS1_EviT_T9_T10_S9_lSB_S9_lSA_T11_S9_li.kd
    .uniform_work_group_size: 1
    .uses_dynamic_stack: false
    .vgpr_count:     71
    .vgpr_spill_count: 0
    .wavefront_size: 32
  - .args:
      - .offset:         0
        .size:           4
        .value_kind:     by_value
      - .offset:         4
        .size:           4
        .value_kind:     by_value
      - .address_space:  global
        .offset:         8
        .size:           8
        .value_kind:     global_buffer
      - .address_space:  global
        .offset:         16
        .size:           8
        .value_kind:     global_buffer
      - .offset:         24
        .size:           4
        .value_kind:     by_value
      - .offset:         32
        .size:           8
        .value_kind:     by_value
      - .address_space:  global
        .offset:         40
        .size:           8
        .value_kind:     global_buffer
      - .offset:         48
        .size:           4
        .value_kind:     by_value
      - .offset:         56
        .size:           8
        .value_kind:     by_value
      - .address_space:  global
        .offset:         64
        .size:           8
        .value_kind:     global_buffer
      - .address_space:  global
        .offset:         72
        .size:           8
        .value_kind:     global_buffer
      - .offset:         80
        .size:           4
        .value_kind:     by_value
      - .offset:         88
        .size:           8
        .value_kind:     by_value
      - .offset:         96
        .size:           4
        .value_kind:     by_value
    .group_segment_fixed_size: 4096
    .kernarg_segment_align: 8
    .kernarg_segment_size: 100
    .language:       OpenCL C
    .language_version:
      - 2
      - 0
    .max_flat_workgroup_size: 256
    .name:           _ZL29rocblas_internal_gemmt_kernelIiLi16ELi32ELi8ELc78ELc67ELc76ELb0ELb1E19rocblas_complex_numIfEPKS1_PKS3_PKPS1_EviT_T9_T10_S9_lSB_S9_lSA_T11_S9_li
    .private_segment_fixed_size: 0
    .sgpr_count:     42
    .sgpr_spill_count: 0
    .symbol:         _ZL29rocblas_internal_gemmt_kernelIiLi16ELi32ELi8ELc78ELc67ELc76ELb0ELb1E19rocblas_complex_numIfEPKS1_PKS3_PKPS1_EviT_T9_T10_S9_lSB_S9_lSA_T11_S9_li.kd
    .uniform_work_group_size: 1
    .uses_dynamic_stack: false
    .vgpr_count:     71
    .vgpr_spill_count: 0
    .wavefront_size: 32
  - .args:
      - .offset:         0
        .size:           4
        .value_kind:     by_value
      - .offset:         4
        .size:           4
        .value_kind:     by_value
      - .address_space:  global
        .offset:         8
        .size:           8
        .value_kind:     global_buffer
      - .address_space:  global
        .offset:         16
        .size:           8
        .value_kind:     global_buffer
      - .offset:         24
        .size:           4
        .value_kind:     by_value
      - .offset:         32
        .size:           8
        .value_kind:     by_value
      - .address_space:  global
        .offset:         40
        .size:           8
        .value_kind:     global_buffer
      - .offset:         48
        .size:           4
        .value_kind:     by_value
      - .offset:         56
        .size:           8
        .value_kind:     by_value
      - .address_space:  global
        .offset:         64
        .size:           8
        .value_kind:     global_buffer
      - .address_space:  global
        .offset:         72
        .size:           8
        .value_kind:     global_buffer
      - .offset:         80
        .size:           4
        .value_kind:     by_value
      - .offset:         88
        .size:           8
        .value_kind:     by_value
      - .offset:         96
        .size:           4
        .value_kind:     by_value
    .group_segment_fixed_size: 4096
    .kernarg_segment_align: 8
    .kernarg_segment_size: 100
    .language:       OpenCL C
    .language_version:
      - 2
      - 0
    .max_flat_workgroup_size: 256
    .name:           _ZL29rocblas_internal_gemmt_kernelIiLi16ELi32ELi8ELc84ELc78ELc76ELb0ELb0E19rocblas_complex_numIfEPKS1_PKS3_PKPS1_EviT_T9_T10_S9_lSB_S9_lSA_T11_S9_li
    .private_segment_fixed_size: 0
    .sgpr_count:     38
    .sgpr_spill_count: 0
    .symbol:         _ZL29rocblas_internal_gemmt_kernelIiLi16ELi32ELi8ELc84ELc78ELc76ELb0ELb0E19rocblas_complex_numIfEPKS1_PKS3_PKPS1_EviT_T9_T10_S9_lSB_S9_lSA_T11_S9_li.kd
    .uniform_work_group_size: 1
    .uses_dynamic_stack: false
    .vgpr_count:     72
    .vgpr_spill_count: 0
    .wavefront_size: 32
  - .args:
      - .offset:         0
        .size:           4
        .value_kind:     by_value
      - .offset:         4
        .size:           4
        .value_kind:     by_value
      - .address_space:  global
        .offset:         8
        .size:           8
        .value_kind:     global_buffer
      - .address_space:  global
        .offset:         16
        .size:           8
        .value_kind:     global_buffer
      - .offset:         24
        .size:           4
        .value_kind:     by_value
      - .offset:         32
        .size:           8
        .value_kind:     by_value
      - .address_space:  global
        .offset:         40
        .size:           8
        .value_kind:     global_buffer
      - .offset:         48
        .size:           4
        .value_kind:     by_value
      - .offset:         56
        .size:           8
        .value_kind:     by_value
      - .address_space:  global
        .offset:         64
        .size:           8
        .value_kind:     global_buffer
      - .address_space:  global
        .offset:         72
        .size:           8
        .value_kind:     global_buffer
      - .offset:         80
        .size:           4
        .value_kind:     by_value
      - .offset:         88
        .size:           8
        .value_kind:     by_value
      - .offset:         96
        .size:           4
        .value_kind:     by_value
    .group_segment_fixed_size: 4096
    .kernarg_segment_align: 8
    .kernarg_segment_size: 100
    .language:       OpenCL C
    .language_version:
      - 2
      - 0
    .max_flat_workgroup_size: 256
    .name:           _ZL29rocblas_internal_gemmt_kernelIiLi16ELi32ELi8ELc84ELc84ELc76ELb0ELb0E19rocblas_complex_numIfEPKS1_PKS3_PKPS1_EviT_T9_T10_S9_lSB_S9_lSA_T11_S9_li
    .private_segment_fixed_size: 0
    .sgpr_count:     38
    .sgpr_spill_count: 0
    .symbol:         _ZL29rocblas_internal_gemmt_kernelIiLi16ELi32ELi8ELc84ELc84ELc76ELb0ELb0E19rocblas_complex_numIfEPKS1_PKS3_PKPS1_EviT_T9_T10_S9_lSB_S9_lSA_T11_S9_li.kd
    .uniform_work_group_size: 1
    .uses_dynamic_stack: false
    .vgpr_count:     71
    .vgpr_spill_count: 0
    .wavefront_size: 32
  - .args:
      - .offset:         0
        .size:           4
        .value_kind:     by_value
      - .offset:         4
        .size:           4
        .value_kind:     by_value
      - .address_space:  global
        .offset:         8
        .size:           8
        .value_kind:     global_buffer
      - .address_space:  global
        .offset:         16
        .size:           8
        .value_kind:     global_buffer
      - .offset:         24
        .size:           4
        .value_kind:     by_value
      - .offset:         32
        .size:           8
        .value_kind:     by_value
      - .address_space:  global
        .offset:         40
        .size:           8
        .value_kind:     global_buffer
      - .offset:         48
        .size:           4
        .value_kind:     by_value
      - .offset:         56
        .size:           8
        .value_kind:     by_value
      - .address_space:  global
        .offset:         64
        .size:           8
        .value_kind:     global_buffer
      - .address_space:  global
        .offset:         72
        .size:           8
        .value_kind:     global_buffer
      - .offset:         80
        .size:           4
        .value_kind:     by_value
      - .offset:         88
        .size:           8
        .value_kind:     by_value
      - .offset:         96
        .size:           4
        .value_kind:     by_value
    .group_segment_fixed_size: 4096
    .kernarg_segment_align: 8
    .kernarg_segment_size: 100
    .language:       OpenCL C
    .language_version:
      - 2
      - 0
    .max_flat_workgroup_size: 256
    .name:           _ZL29rocblas_internal_gemmt_kernelIiLi16ELi32ELi8ELc84ELc67ELc76ELb0ELb1E19rocblas_complex_numIfEPKS1_PKS3_PKPS1_EviT_T9_T10_S9_lSB_S9_lSA_T11_S9_li
    .private_segment_fixed_size: 0
    .sgpr_count:     38
    .sgpr_spill_count: 0
    .symbol:         _ZL29rocblas_internal_gemmt_kernelIiLi16ELi32ELi8ELc84ELc67ELc76ELb0ELb1E19rocblas_complex_numIfEPKS1_PKS3_PKPS1_EviT_T9_T10_S9_lSB_S9_lSA_T11_S9_li.kd
    .uniform_work_group_size: 1
    .uses_dynamic_stack: false
    .vgpr_count:     71
    .vgpr_spill_count: 0
    .wavefront_size: 32
  - .args:
      - .offset:         0
        .size:           4
        .value_kind:     by_value
      - .offset:         4
        .size:           4
        .value_kind:     by_value
      - .address_space:  global
        .offset:         8
        .size:           8
        .value_kind:     global_buffer
      - .address_space:  global
        .offset:         16
        .size:           8
        .value_kind:     global_buffer
      - .offset:         24
        .size:           4
        .value_kind:     by_value
      - .offset:         32
        .size:           8
        .value_kind:     by_value
      - .address_space:  global
        .offset:         40
        .size:           8
        .value_kind:     global_buffer
      - .offset:         48
        .size:           4
        .value_kind:     by_value
      - .offset:         56
        .size:           8
        .value_kind:     by_value
      - .address_space:  global
        .offset:         64
        .size:           8
        .value_kind:     global_buffer
      - .address_space:  global
        .offset:         72
        .size:           8
        .value_kind:     global_buffer
      - .offset:         80
        .size:           4
        .value_kind:     by_value
      - .offset:         88
        .size:           8
        .value_kind:     by_value
      - .offset:         96
        .size:           4
        .value_kind:     by_value
    .group_segment_fixed_size: 4096
    .kernarg_segment_align: 8
    .kernarg_segment_size: 100
    .language:       OpenCL C
    .language_version:
      - 2
      - 0
    .max_flat_workgroup_size: 256
    .name:           _ZL29rocblas_internal_gemmt_kernelIiLi16ELi32ELi8ELc67ELc78ELc76ELb1ELb0E19rocblas_complex_numIfEPKS1_PKS3_PKPS1_EviT_T9_T10_S9_lSB_S9_lSA_T11_S9_li
    .private_segment_fixed_size: 0
    .sgpr_count:     37
    .sgpr_spill_count: 0
    .symbol:         _ZL29rocblas_internal_gemmt_kernelIiLi16ELi32ELi8ELc67ELc78ELc76ELb1ELb0E19rocblas_complex_numIfEPKS1_PKS3_PKPS1_EviT_T9_T10_S9_lSB_S9_lSA_T11_S9_li.kd
    .uniform_work_group_size: 1
    .uses_dynamic_stack: false
    .vgpr_count:     72
    .vgpr_spill_count: 0
    .wavefront_size: 32
  - .args:
      - .offset:         0
        .size:           4
        .value_kind:     by_value
      - .offset:         4
        .size:           4
        .value_kind:     by_value
      - .address_space:  global
        .offset:         8
        .size:           8
        .value_kind:     global_buffer
      - .address_space:  global
        .offset:         16
        .size:           8
        .value_kind:     global_buffer
      - .offset:         24
        .size:           4
        .value_kind:     by_value
      - .offset:         32
        .size:           8
        .value_kind:     by_value
      - .address_space:  global
        .offset:         40
        .size:           8
        .value_kind:     global_buffer
      - .offset:         48
        .size:           4
        .value_kind:     by_value
      - .offset:         56
        .size:           8
        .value_kind:     by_value
      - .address_space:  global
        .offset:         64
        .size:           8
        .value_kind:     global_buffer
      - .address_space:  global
        .offset:         72
        .size:           8
        .value_kind:     global_buffer
      - .offset:         80
        .size:           4
        .value_kind:     by_value
      - .offset:         88
        .size:           8
        .value_kind:     by_value
      - .offset:         96
        .size:           4
        .value_kind:     by_value
    .group_segment_fixed_size: 4096
    .kernarg_segment_align: 8
    .kernarg_segment_size: 100
    .language:       OpenCL C
    .language_version:
      - 2
      - 0
    .max_flat_workgroup_size: 256
    .name:           _ZL29rocblas_internal_gemmt_kernelIiLi16ELi32ELi8ELc67ELc84ELc76ELb1ELb0E19rocblas_complex_numIfEPKS1_PKS3_PKPS1_EviT_T9_T10_S9_lSB_S9_lSA_T11_S9_li
    .private_segment_fixed_size: 0
    .sgpr_count:     38
    .sgpr_spill_count: 0
    .symbol:         _ZL29rocblas_internal_gemmt_kernelIiLi16ELi32ELi8ELc67ELc84ELc76ELb1ELb0E19rocblas_complex_numIfEPKS1_PKS3_PKPS1_EviT_T9_T10_S9_lSB_S9_lSA_T11_S9_li.kd
    .uniform_work_group_size: 1
    .uses_dynamic_stack: false
    .vgpr_count:     71
    .vgpr_spill_count: 0
    .wavefront_size: 32
  - .args:
      - .offset:         0
        .size:           4
        .value_kind:     by_value
      - .offset:         4
        .size:           4
        .value_kind:     by_value
      - .address_space:  global
        .offset:         8
        .size:           8
        .value_kind:     global_buffer
      - .address_space:  global
        .offset:         16
        .size:           8
        .value_kind:     global_buffer
      - .offset:         24
        .size:           4
        .value_kind:     by_value
      - .offset:         32
        .size:           8
        .value_kind:     by_value
      - .address_space:  global
        .offset:         40
        .size:           8
        .value_kind:     global_buffer
      - .offset:         48
        .size:           4
        .value_kind:     by_value
      - .offset:         56
        .size:           8
        .value_kind:     by_value
      - .address_space:  global
        .offset:         64
        .size:           8
        .value_kind:     global_buffer
      - .address_space:  global
        .offset:         72
        .size:           8
        .value_kind:     global_buffer
      - .offset:         80
        .size:           4
        .value_kind:     by_value
      - .offset:         88
        .size:           8
        .value_kind:     by_value
      - .offset:         96
        .size:           4
        .value_kind:     by_value
    .group_segment_fixed_size: 4096
    .kernarg_segment_align: 8
    .kernarg_segment_size: 100
    .language:       OpenCL C
    .language_version:
      - 2
      - 0
    .max_flat_workgroup_size: 256
    .name:           _ZL29rocblas_internal_gemmt_kernelIiLi16ELi32ELi8ELc67ELc67ELc76ELb1ELb1E19rocblas_complex_numIfEPKS1_PKS3_PKPS1_EviT_T9_T10_S9_lSB_S9_lSA_T11_S9_li
    .private_segment_fixed_size: 0
    .sgpr_count:     38
    .sgpr_spill_count: 0
    .symbol:         _ZL29rocblas_internal_gemmt_kernelIiLi16ELi32ELi8ELc67ELc67ELc76ELb1ELb1E19rocblas_complex_numIfEPKS1_PKS3_PKPS1_EviT_T9_T10_S9_lSB_S9_lSA_T11_S9_li.kd
    .uniform_work_group_size: 1
    .uses_dynamic_stack: false
    .vgpr_count:     71
    .vgpr_spill_count: 0
    .wavefront_size: 32
  - .args:
      - .offset:         0
        .size:           4
        .value_kind:     by_value
      - .offset:         4
        .size:           4
        .value_kind:     by_value
      - .offset:         8
        .size:           8
        .value_kind:     by_value
      - .address_space:  global
        .offset:         16
        .size:           8
        .value_kind:     global_buffer
      - .offset:         24
        .size:           4
        .value_kind:     by_value
      - .offset:         32
        .size:           8
        .value_kind:     by_value
      - .address_space:  global
        .offset:         40
        .size:           8
        .value_kind:     global_buffer
      - .offset:         48
        .size:           4
        .value_kind:     by_value
      - .offset:         56
        .size:           8
        .value_kind:     by_value
      - .offset:         64
        .size:           8
        .value_kind:     by_value
      - .address_space:  global
        .offset:         72
        .size:           8
        .value_kind:     global_buffer
      - .offset:         80
        .size:           4
        .value_kind:     by_value
      - .offset:         88
        .size:           8
        .value_kind:     by_value
      - .offset:         96
        .size:           4
        .value_kind:     by_value
    .group_segment_fixed_size: 4096
    .kernarg_segment_align: 8
    .kernarg_segment_size: 100
    .language:       OpenCL C
    .language_version:
      - 2
      - 0
    .max_flat_workgroup_size: 256
    .name:           _ZL29rocblas_internal_gemmt_kernelIiLi16ELi32ELi8ELc78ELc78ELc85ELb0ELb0E19rocblas_complex_numIfES1_PKPKS1_PKPS1_EviT_T9_T10_S9_lSB_S9_lSA_T11_S9_li
    .private_segment_fixed_size: 0
    .sgpr_count:     38
    .sgpr_spill_count: 0
    .symbol:         _ZL29rocblas_internal_gemmt_kernelIiLi16ELi32ELi8ELc78ELc78ELc85ELb0ELb0E19rocblas_complex_numIfES1_PKPKS1_PKPS1_EviT_T9_T10_S9_lSB_S9_lSA_T11_S9_li.kd
    .uniform_work_group_size: 1
    .uses_dynamic_stack: false
    .vgpr_count:     71
    .vgpr_spill_count: 0
    .wavefront_size: 32
  - .args:
      - .offset:         0
        .size:           4
        .value_kind:     by_value
      - .offset:         4
        .size:           4
        .value_kind:     by_value
      - .offset:         8
        .size:           8
        .value_kind:     by_value
      - .address_space:  global
        .offset:         16
        .size:           8
        .value_kind:     global_buffer
      - .offset:         24
        .size:           4
        .value_kind:     by_value
      - .offset:         32
        .size:           8
        .value_kind:     by_value
      - .address_space:  global
        .offset:         40
        .size:           8
        .value_kind:     global_buffer
      - .offset:         48
        .size:           4
        .value_kind:     by_value
      - .offset:         56
        .size:           8
        .value_kind:     by_value
      - .offset:         64
        .size:           8
        .value_kind:     by_value
      - .address_space:  global
        .offset:         72
        .size:           8
        .value_kind:     global_buffer
      - .offset:         80
        .size:           4
        .value_kind:     by_value
      - .offset:         88
        .size:           8
        .value_kind:     by_value
      - .offset:         96
        .size:           4
        .value_kind:     by_value
    .group_segment_fixed_size: 4096
    .kernarg_segment_align: 8
    .kernarg_segment_size: 100
    .language:       OpenCL C
    .language_version:
      - 2
      - 0
    .max_flat_workgroup_size: 256
    .name:           _ZL29rocblas_internal_gemmt_kernelIiLi16ELi32ELi8ELc78ELc84ELc85ELb0ELb0E19rocblas_complex_numIfES1_PKPKS1_PKPS1_EviT_T9_T10_S9_lSB_S9_lSA_T11_S9_li
    .private_segment_fixed_size: 0
    .sgpr_count:     41
    .sgpr_spill_count: 0
    .symbol:         _ZL29rocblas_internal_gemmt_kernelIiLi16ELi32ELi8ELc78ELc84ELc85ELb0ELb0E19rocblas_complex_numIfES1_PKPKS1_PKPS1_EviT_T9_T10_S9_lSB_S9_lSA_T11_S9_li.kd
    .uniform_work_group_size: 1
    .uses_dynamic_stack: false
    .vgpr_count:     71
    .vgpr_spill_count: 0
    .wavefront_size: 32
  - .args:
      - .offset:         0
        .size:           4
        .value_kind:     by_value
      - .offset:         4
        .size:           4
        .value_kind:     by_value
      - .offset:         8
        .size:           8
        .value_kind:     by_value
      - .address_space:  global
        .offset:         16
        .size:           8
        .value_kind:     global_buffer
      - .offset:         24
        .size:           4
        .value_kind:     by_value
      - .offset:         32
        .size:           8
        .value_kind:     by_value
      - .address_space:  global
        .offset:         40
        .size:           8
        .value_kind:     global_buffer
      - .offset:         48
        .size:           4
        .value_kind:     by_value
      - .offset:         56
        .size:           8
        .value_kind:     by_value
      - .offset:         64
        .size:           8
        .value_kind:     by_value
      - .address_space:  global
        .offset:         72
        .size:           8
        .value_kind:     global_buffer
      - .offset:         80
        .size:           4
        .value_kind:     by_value
      - .offset:         88
        .size:           8
        .value_kind:     by_value
      - .offset:         96
        .size:           4
        .value_kind:     by_value
    .group_segment_fixed_size: 4096
    .kernarg_segment_align: 8
    .kernarg_segment_size: 100
    .language:       OpenCL C
    .language_version:
      - 2
      - 0
    .max_flat_workgroup_size: 256
    .name:           _ZL29rocblas_internal_gemmt_kernelIiLi16ELi32ELi8ELc78ELc67ELc85ELb0ELb1E19rocblas_complex_numIfES1_PKPKS1_PKPS1_EviT_T9_T10_S9_lSB_S9_lSA_T11_S9_li
    .private_segment_fixed_size: 0
    .sgpr_count:     42
    .sgpr_spill_count: 0
    .symbol:         _ZL29rocblas_internal_gemmt_kernelIiLi16ELi32ELi8ELc78ELc67ELc85ELb0ELb1E19rocblas_complex_numIfES1_PKPKS1_PKPS1_EviT_T9_T10_S9_lSB_S9_lSA_T11_S9_li.kd
    .uniform_work_group_size: 1
    .uses_dynamic_stack: false
    .vgpr_count:     71
    .vgpr_spill_count: 0
    .wavefront_size: 32
  - .args:
      - .offset:         0
        .size:           4
        .value_kind:     by_value
      - .offset:         4
        .size:           4
        .value_kind:     by_value
      - .offset:         8
        .size:           8
        .value_kind:     by_value
      - .address_space:  global
        .offset:         16
        .size:           8
        .value_kind:     global_buffer
      - .offset:         24
        .size:           4
        .value_kind:     by_value
      - .offset:         32
        .size:           8
        .value_kind:     by_value
      - .address_space:  global
        .offset:         40
        .size:           8
        .value_kind:     global_buffer
      - .offset:         48
        .size:           4
        .value_kind:     by_value
      - .offset:         56
        .size:           8
        .value_kind:     by_value
      - .offset:         64
        .size:           8
        .value_kind:     by_value
      - .address_space:  global
        .offset:         72
        .size:           8
        .value_kind:     global_buffer
      - .offset:         80
        .size:           4
        .value_kind:     by_value
      - .offset:         88
        .size:           8
        .value_kind:     by_value
      - .offset:         96
        .size:           4
        .value_kind:     by_value
    .group_segment_fixed_size: 4096
    .kernarg_segment_align: 8
    .kernarg_segment_size: 100
    .language:       OpenCL C
    .language_version:
      - 2
      - 0
    .max_flat_workgroup_size: 256
    .name:           _ZL29rocblas_internal_gemmt_kernelIiLi16ELi32ELi8ELc84ELc78ELc85ELb0ELb0E19rocblas_complex_numIfES1_PKPKS1_PKPS1_EviT_T9_T10_S9_lSB_S9_lSA_T11_S9_li
    .private_segment_fixed_size: 0
    .sgpr_count:     38
    .sgpr_spill_count: 0
    .symbol:         _ZL29rocblas_internal_gemmt_kernelIiLi16ELi32ELi8ELc84ELc78ELc85ELb0ELb0E19rocblas_complex_numIfES1_PKPKS1_PKPS1_EviT_T9_T10_S9_lSB_S9_lSA_T11_S9_li.kd
    .uniform_work_group_size: 1
    .uses_dynamic_stack: false
    .vgpr_count:     72
    .vgpr_spill_count: 0
    .wavefront_size: 32
  - .args:
      - .offset:         0
        .size:           4
        .value_kind:     by_value
      - .offset:         4
        .size:           4
        .value_kind:     by_value
      - .offset:         8
        .size:           8
        .value_kind:     by_value
      - .address_space:  global
        .offset:         16
        .size:           8
        .value_kind:     global_buffer
      - .offset:         24
        .size:           4
        .value_kind:     by_value
      - .offset:         32
        .size:           8
        .value_kind:     by_value
      - .address_space:  global
        .offset:         40
        .size:           8
        .value_kind:     global_buffer
      - .offset:         48
        .size:           4
        .value_kind:     by_value
      - .offset:         56
        .size:           8
        .value_kind:     by_value
      - .offset:         64
        .size:           8
        .value_kind:     by_value
      - .address_space:  global
        .offset:         72
        .size:           8
        .value_kind:     global_buffer
      - .offset:         80
        .size:           4
        .value_kind:     by_value
      - .offset:         88
        .size:           8
        .value_kind:     by_value
      - .offset:         96
        .size:           4
        .value_kind:     by_value
    .group_segment_fixed_size: 4096
    .kernarg_segment_align: 8
    .kernarg_segment_size: 100
    .language:       OpenCL C
    .language_version:
      - 2
      - 0
    .max_flat_workgroup_size: 256
    .name:           _ZL29rocblas_internal_gemmt_kernelIiLi16ELi32ELi8ELc84ELc84ELc85ELb0ELb0E19rocblas_complex_numIfES1_PKPKS1_PKPS1_EviT_T9_T10_S9_lSB_S9_lSA_T11_S9_li
    .private_segment_fixed_size: 0
    .sgpr_count:     40
    .sgpr_spill_count: 0
    .symbol:         _ZL29rocblas_internal_gemmt_kernelIiLi16ELi32ELi8ELc84ELc84ELc85ELb0ELb0E19rocblas_complex_numIfES1_PKPKS1_PKPS1_EviT_T9_T10_S9_lSB_S9_lSA_T11_S9_li.kd
    .uniform_work_group_size: 1
    .uses_dynamic_stack: false
    .vgpr_count:     71
    .vgpr_spill_count: 0
    .wavefront_size: 32
  - .args:
      - .offset:         0
        .size:           4
        .value_kind:     by_value
      - .offset:         4
        .size:           4
        .value_kind:     by_value
      - .offset:         8
        .size:           8
        .value_kind:     by_value
      - .address_space:  global
        .offset:         16
        .size:           8
        .value_kind:     global_buffer
      - .offset:         24
        .size:           4
        .value_kind:     by_value
      - .offset:         32
        .size:           8
        .value_kind:     by_value
      - .address_space:  global
        .offset:         40
        .size:           8
        .value_kind:     global_buffer
      - .offset:         48
        .size:           4
        .value_kind:     by_value
      - .offset:         56
        .size:           8
        .value_kind:     by_value
      - .offset:         64
        .size:           8
        .value_kind:     by_value
      - .address_space:  global
        .offset:         72
        .size:           8
        .value_kind:     global_buffer
      - .offset:         80
        .size:           4
        .value_kind:     by_value
      - .offset:         88
        .size:           8
        .value_kind:     by_value
      - .offset:         96
        .size:           4
        .value_kind:     by_value
    .group_segment_fixed_size: 4096
    .kernarg_segment_align: 8
    .kernarg_segment_size: 100
    .language:       OpenCL C
    .language_version:
      - 2
      - 0
    .max_flat_workgroup_size: 256
    .name:           _ZL29rocblas_internal_gemmt_kernelIiLi16ELi32ELi8ELc84ELc67ELc85ELb0ELb1E19rocblas_complex_numIfES1_PKPKS1_PKPS1_EviT_T9_T10_S9_lSB_S9_lSA_T11_S9_li
    .private_segment_fixed_size: 0
    .sgpr_count:     40
    .sgpr_spill_count: 0
    .symbol:         _ZL29rocblas_internal_gemmt_kernelIiLi16ELi32ELi8ELc84ELc67ELc85ELb0ELb1E19rocblas_complex_numIfES1_PKPKS1_PKPS1_EviT_T9_T10_S9_lSB_S9_lSA_T11_S9_li.kd
    .uniform_work_group_size: 1
    .uses_dynamic_stack: false
    .vgpr_count:     71
    .vgpr_spill_count: 0
    .wavefront_size: 32
  - .args:
      - .offset:         0
        .size:           4
        .value_kind:     by_value
      - .offset:         4
        .size:           4
        .value_kind:     by_value
      - .offset:         8
        .size:           8
        .value_kind:     by_value
      - .address_space:  global
        .offset:         16
        .size:           8
        .value_kind:     global_buffer
      - .offset:         24
        .size:           4
        .value_kind:     by_value
      - .offset:         32
        .size:           8
        .value_kind:     by_value
      - .address_space:  global
        .offset:         40
        .size:           8
        .value_kind:     global_buffer
      - .offset:         48
        .size:           4
        .value_kind:     by_value
      - .offset:         56
        .size:           8
        .value_kind:     by_value
      - .offset:         64
        .size:           8
        .value_kind:     by_value
      - .address_space:  global
        .offset:         72
        .size:           8
        .value_kind:     global_buffer
      - .offset:         80
        .size:           4
        .value_kind:     by_value
      - .offset:         88
        .size:           8
        .value_kind:     by_value
      - .offset:         96
        .size:           4
        .value_kind:     by_value
    .group_segment_fixed_size: 4096
    .kernarg_segment_align: 8
    .kernarg_segment_size: 100
    .language:       OpenCL C
    .language_version:
      - 2
      - 0
    .max_flat_workgroup_size: 256
    .name:           _ZL29rocblas_internal_gemmt_kernelIiLi16ELi32ELi8ELc67ELc78ELc85ELb1ELb0E19rocblas_complex_numIfES1_PKPKS1_PKPS1_EviT_T9_T10_S9_lSB_S9_lSA_T11_S9_li
    .private_segment_fixed_size: 0
    .sgpr_count:     37
    .sgpr_spill_count: 0
    .symbol:         _ZL29rocblas_internal_gemmt_kernelIiLi16ELi32ELi8ELc67ELc78ELc85ELb1ELb0E19rocblas_complex_numIfES1_PKPKS1_PKPS1_EviT_T9_T10_S9_lSB_S9_lSA_T11_S9_li.kd
    .uniform_work_group_size: 1
    .uses_dynamic_stack: false
    .vgpr_count:     72
    .vgpr_spill_count: 0
    .wavefront_size: 32
  - .args:
      - .offset:         0
        .size:           4
        .value_kind:     by_value
      - .offset:         4
        .size:           4
        .value_kind:     by_value
      - .offset:         8
        .size:           8
        .value_kind:     by_value
      - .address_space:  global
        .offset:         16
        .size:           8
        .value_kind:     global_buffer
      - .offset:         24
        .size:           4
        .value_kind:     by_value
      - .offset:         32
        .size:           8
        .value_kind:     by_value
      - .address_space:  global
        .offset:         40
        .size:           8
        .value_kind:     global_buffer
      - .offset:         48
        .size:           4
        .value_kind:     by_value
      - .offset:         56
        .size:           8
        .value_kind:     by_value
      - .offset:         64
        .size:           8
        .value_kind:     by_value
      - .address_space:  global
        .offset:         72
        .size:           8
        .value_kind:     global_buffer
      - .offset:         80
        .size:           4
        .value_kind:     by_value
      - .offset:         88
        .size:           8
        .value_kind:     by_value
      - .offset:         96
        .size:           4
        .value_kind:     by_value
    .group_segment_fixed_size: 4096
    .kernarg_segment_align: 8
    .kernarg_segment_size: 100
    .language:       OpenCL C
    .language_version:
      - 2
      - 0
    .max_flat_workgroup_size: 256
    .name:           _ZL29rocblas_internal_gemmt_kernelIiLi16ELi32ELi8ELc67ELc84ELc85ELb1ELb0E19rocblas_complex_numIfES1_PKPKS1_PKPS1_EviT_T9_T10_S9_lSB_S9_lSA_T11_S9_li
    .private_segment_fixed_size: 0
    .sgpr_count:     40
    .sgpr_spill_count: 0
    .symbol:         _ZL29rocblas_internal_gemmt_kernelIiLi16ELi32ELi8ELc67ELc84ELc85ELb1ELb0E19rocblas_complex_numIfES1_PKPKS1_PKPS1_EviT_T9_T10_S9_lSB_S9_lSA_T11_S9_li.kd
    .uniform_work_group_size: 1
    .uses_dynamic_stack: false
    .vgpr_count:     71
    .vgpr_spill_count: 0
    .wavefront_size: 32
  - .args:
      - .offset:         0
        .size:           4
        .value_kind:     by_value
      - .offset:         4
        .size:           4
        .value_kind:     by_value
      - .offset:         8
        .size:           8
        .value_kind:     by_value
      - .address_space:  global
        .offset:         16
        .size:           8
        .value_kind:     global_buffer
      - .offset:         24
        .size:           4
        .value_kind:     by_value
      - .offset:         32
        .size:           8
        .value_kind:     by_value
      - .address_space:  global
        .offset:         40
        .size:           8
        .value_kind:     global_buffer
      - .offset:         48
        .size:           4
        .value_kind:     by_value
      - .offset:         56
        .size:           8
        .value_kind:     by_value
      - .offset:         64
        .size:           8
        .value_kind:     by_value
      - .address_space:  global
        .offset:         72
        .size:           8
        .value_kind:     global_buffer
      - .offset:         80
        .size:           4
        .value_kind:     by_value
      - .offset:         88
        .size:           8
        .value_kind:     by_value
      - .offset:         96
        .size:           4
        .value_kind:     by_value
    .group_segment_fixed_size: 4096
    .kernarg_segment_align: 8
    .kernarg_segment_size: 100
    .language:       OpenCL C
    .language_version:
      - 2
      - 0
    .max_flat_workgroup_size: 256
    .name:           _ZL29rocblas_internal_gemmt_kernelIiLi16ELi32ELi8ELc67ELc67ELc85ELb1ELb1E19rocblas_complex_numIfES1_PKPKS1_PKPS1_EviT_T9_T10_S9_lSB_S9_lSA_T11_S9_li
    .private_segment_fixed_size: 0
    .sgpr_count:     38
    .sgpr_spill_count: 0
    .symbol:         _ZL29rocblas_internal_gemmt_kernelIiLi16ELi32ELi8ELc67ELc67ELc85ELb1ELb1E19rocblas_complex_numIfES1_PKPKS1_PKPS1_EviT_T9_T10_S9_lSB_S9_lSA_T11_S9_li.kd
    .uniform_work_group_size: 1
    .uses_dynamic_stack: false
    .vgpr_count:     71
    .vgpr_spill_count: 0
    .wavefront_size: 32
  - .args:
      - .offset:         0
        .size:           4
        .value_kind:     by_value
      - .offset:         4
        .size:           4
        .value_kind:     by_value
      - .offset:         8
        .size:           8
        .value_kind:     by_value
      - .address_space:  global
        .offset:         16
        .size:           8
        .value_kind:     global_buffer
      - .offset:         24
        .size:           4
        .value_kind:     by_value
      - .offset:         32
        .size:           8
        .value_kind:     by_value
      - .address_space:  global
        .offset:         40
        .size:           8
        .value_kind:     global_buffer
      - .offset:         48
        .size:           4
        .value_kind:     by_value
      - .offset:         56
        .size:           8
        .value_kind:     by_value
      - .offset:         64
        .size:           8
        .value_kind:     by_value
      - .address_space:  global
        .offset:         72
        .size:           8
        .value_kind:     global_buffer
      - .offset:         80
        .size:           4
        .value_kind:     by_value
      - .offset:         88
        .size:           8
        .value_kind:     by_value
      - .offset:         96
        .size:           4
        .value_kind:     by_value
    .group_segment_fixed_size: 4096
    .kernarg_segment_align: 8
    .kernarg_segment_size: 100
    .language:       OpenCL C
    .language_version:
      - 2
      - 0
    .max_flat_workgroup_size: 256
    .name:           _ZL29rocblas_internal_gemmt_kernelIiLi16ELi32ELi8ELc78ELc78ELc76ELb0ELb0E19rocblas_complex_numIfES1_PKPKS1_PKPS1_EviT_T9_T10_S9_lSB_S9_lSA_T11_S9_li
    .private_segment_fixed_size: 0
    .sgpr_count:     38
    .sgpr_spill_count: 0
    .symbol:         _ZL29rocblas_internal_gemmt_kernelIiLi16ELi32ELi8ELc78ELc78ELc76ELb0ELb0E19rocblas_complex_numIfES1_PKPKS1_PKPS1_EviT_T9_T10_S9_lSB_S9_lSA_T11_S9_li.kd
    .uniform_work_group_size: 1
    .uses_dynamic_stack: false
    .vgpr_count:     71
    .vgpr_spill_count: 0
    .wavefront_size: 32
  - .args:
      - .offset:         0
        .size:           4
        .value_kind:     by_value
      - .offset:         4
        .size:           4
        .value_kind:     by_value
      - .offset:         8
        .size:           8
        .value_kind:     by_value
      - .address_space:  global
        .offset:         16
        .size:           8
        .value_kind:     global_buffer
      - .offset:         24
        .size:           4
        .value_kind:     by_value
      - .offset:         32
        .size:           8
        .value_kind:     by_value
      - .address_space:  global
        .offset:         40
        .size:           8
        .value_kind:     global_buffer
      - .offset:         48
        .size:           4
        .value_kind:     by_value
      - .offset:         56
        .size:           8
        .value_kind:     by_value
      - .offset:         64
        .size:           8
        .value_kind:     by_value
      - .address_space:  global
        .offset:         72
        .size:           8
        .value_kind:     global_buffer
      - .offset:         80
        .size:           4
        .value_kind:     by_value
      - .offset:         88
        .size:           8
        .value_kind:     by_value
      - .offset:         96
        .size:           4
        .value_kind:     by_value
    .group_segment_fixed_size: 4096
    .kernarg_segment_align: 8
    .kernarg_segment_size: 100
    .language:       OpenCL C
    .language_version:
      - 2
      - 0
    .max_flat_workgroup_size: 256
    .name:           _ZL29rocblas_internal_gemmt_kernelIiLi16ELi32ELi8ELc78ELc84ELc76ELb0ELb0E19rocblas_complex_numIfES1_PKPKS1_PKPS1_EviT_T9_T10_S9_lSB_S9_lSA_T11_S9_li
    .private_segment_fixed_size: 0
    .sgpr_count:     41
    .sgpr_spill_count: 0
    .symbol:         _ZL29rocblas_internal_gemmt_kernelIiLi16ELi32ELi8ELc78ELc84ELc76ELb0ELb0E19rocblas_complex_numIfES1_PKPKS1_PKPS1_EviT_T9_T10_S9_lSB_S9_lSA_T11_S9_li.kd
    .uniform_work_group_size: 1
    .uses_dynamic_stack: false
    .vgpr_count:     71
    .vgpr_spill_count: 0
    .wavefront_size: 32
  - .args:
      - .offset:         0
        .size:           4
        .value_kind:     by_value
      - .offset:         4
        .size:           4
        .value_kind:     by_value
      - .offset:         8
        .size:           8
        .value_kind:     by_value
      - .address_space:  global
        .offset:         16
        .size:           8
        .value_kind:     global_buffer
      - .offset:         24
        .size:           4
        .value_kind:     by_value
      - .offset:         32
        .size:           8
        .value_kind:     by_value
      - .address_space:  global
        .offset:         40
        .size:           8
        .value_kind:     global_buffer
      - .offset:         48
        .size:           4
        .value_kind:     by_value
      - .offset:         56
        .size:           8
        .value_kind:     by_value
      - .offset:         64
        .size:           8
        .value_kind:     by_value
      - .address_space:  global
        .offset:         72
        .size:           8
        .value_kind:     global_buffer
      - .offset:         80
        .size:           4
        .value_kind:     by_value
      - .offset:         88
        .size:           8
        .value_kind:     by_value
      - .offset:         96
        .size:           4
        .value_kind:     by_value
    .group_segment_fixed_size: 4096
    .kernarg_segment_align: 8
    .kernarg_segment_size: 100
    .language:       OpenCL C
    .language_version:
      - 2
      - 0
    .max_flat_workgroup_size: 256
    .name:           _ZL29rocblas_internal_gemmt_kernelIiLi16ELi32ELi8ELc78ELc67ELc76ELb0ELb1E19rocblas_complex_numIfES1_PKPKS1_PKPS1_EviT_T9_T10_S9_lSB_S9_lSA_T11_S9_li
    .private_segment_fixed_size: 0
    .sgpr_count:     42
    .sgpr_spill_count: 0
    .symbol:         _ZL29rocblas_internal_gemmt_kernelIiLi16ELi32ELi8ELc78ELc67ELc76ELb0ELb1E19rocblas_complex_numIfES1_PKPKS1_PKPS1_EviT_T9_T10_S9_lSB_S9_lSA_T11_S9_li.kd
    .uniform_work_group_size: 1
    .uses_dynamic_stack: false
    .vgpr_count:     71
    .vgpr_spill_count: 0
    .wavefront_size: 32
  - .args:
      - .offset:         0
        .size:           4
        .value_kind:     by_value
      - .offset:         4
        .size:           4
        .value_kind:     by_value
      - .offset:         8
        .size:           8
        .value_kind:     by_value
      - .address_space:  global
        .offset:         16
        .size:           8
        .value_kind:     global_buffer
      - .offset:         24
        .size:           4
        .value_kind:     by_value
      - .offset:         32
        .size:           8
        .value_kind:     by_value
      - .address_space:  global
        .offset:         40
        .size:           8
        .value_kind:     global_buffer
      - .offset:         48
        .size:           4
        .value_kind:     by_value
      - .offset:         56
        .size:           8
        .value_kind:     by_value
      - .offset:         64
        .size:           8
        .value_kind:     by_value
      - .address_space:  global
        .offset:         72
        .size:           8
        .value_kind:     global_buffer
      - .offset:         80
        .size:           4
        .value_kind:     by_value
      - .offset:         88
        .size:           8
        .value_kind:     by_value
      - .offset:         96
        .size:           4
        .value_kind:     by_value
    .group_segment_fixed_size: 4096
    .kernarg_segment_align: 8
    .kernarg_segment_size: 100
    .language:       OpenCL C
    .language_version:
      - 2
      - 0
    .max_flat_workgroup_size: 256
    .name:           _ZL29rocblas_internal_gemmt_kernelIiLi16ELi32ELi8ELc84ELc78ELc76ELb0ELb0E19rocblas_complex_numIfES1_PKPKS1_PKPS1_EviT_T9_T10_S9_lSB_S9_lSA_T11_S9_li
    .private_segment_fixed_size: 0
    .sgpr_count:     38
    .sgpr_spill_count: 0
    .symbol:         _ZL29rocblas_internal_gemmt_kernelIiLi16ELi32ELi8ELc84ELc78ELc76ELb0ELb0E19rocblas_complex_numIfES1_PKPKS1_PKPS1_EviT_T9_T10_S9_lSB_S9_lSA_T11_S9_li.kd
    .uniform_work_group_size: 1
    .uses_dynamic_stack: false
    .vgpr_count:     72
    .vgpr_spill_count: 0
    .wavefront_size: 32
  - .args:
      - .offset:         0
        .size:           4
        .value_kind:     by_value
      - .offset:         4
        .size:           4
        .value_kind:     by_value
      - .offset:         8
        .size:           8
        .value_kind:     by_value
      - .address_space:  global
        .offset:         16
        .size:           8
        .value_kind:     global_buffer
      - .offset:         24
        .size:           4
        .value_kind:     by_value
      - .offset:         32
        .size:           8
        .value_kind:     by_value
      - .address_space:  global
        .offset:         40
        .size:           8
        .value_kind:     global_buffer
      - .offset:         48
        .size:           4
        .value_kind:     by_value
      - .offset:         56
        .size:           8
        .value_kind:     by_value
      - .offset:         64
        .size:           8
        .value_kind:     by_value
      - .address_space:  global
        .offset:         72
        .size:           8
        .value_kind:     global_buffer
      - .offset:         80
        .size:           4
        .value_kind:     by_value
      - .offset:         88
        .size:           8
        .value_kind:     by_value
      - .offset:         96
        .size:           4
        .value_kind:     by_value
    .group_segment_fixed_size: 4096
    .kernarg_segment_align: 8
    .kernarg_segment_size: 100
    .language:       OpenCL C
    .language_version:
      - 2
      - 0
    .max_flat_workgroup_size: 256
    .name:           _ZL29rocblas_internal_gemmt_kernelIiLi16ELi32ELi8ELc84ELc84ELc76ELb0ELb0E19rocblas_complex_numIfES1_PKPKS1_PKPS1_EviT_T9_T10_S9_lSB_S9_lSA_T11_S9_li
    .private_segment_fixed_size: 0
    .sgpr_count:     40
    .sgpr_spill_count: 0
    .symbol:         _ZL29rocblas_internal_gemmt_kernelIiLi16ELi32ELi8ELc84ELc84ELc76ELb0ELb0E19rocblas_complex_numIfES1_PKPKS1_PKPS1_EviT_T9_T10_S9_lSB_S9_lSA_T11_S9_li.kd
    .uniform_work_group_size: 1
    .uses_dynamic_stack: false
    .vgpr_count:     71
    .vgpr_spill_count: 0
    .wavefront_size: 32
  - .args:
      - .offset:         0
        .size:           4
        .value_kind:     by_value
      - .offset:         4
        .size:           4
        .value_kind:     by_value
      - .offset:         8
        .size:           8
        .value_kind:     by_value
      - .address_space:  global
        .offset:         16
        .size:           8
        .value_kind:     global_buffer
      - .offset:         24
        .size:           4
        .value_kind:     by_value
      - .offset:         32
        .size:           8
        .value_kind:     by_value
      - .address_space:  global
        .offset:         40
        .size:           8
        .value_kind:     global_buffer
      - .offset:         48
        .size:           4
        .value_kind:     by_value
      - .offset:         56
        .size:           8
        .value_kind:     by_value
      - .offset:         64
        .size:           8
        .value_kind:     by_value
      - .address_space:  global
        .offset:         72
        .size:           8
        .value_kind:     global_buffer
      - .offset:         80
        .size:           4
        .value_kind:     by_value
      - .offset:         88
        .size:           8
        .value_kind:     by_value
      - .offset:         96
        .size:           4
        .value_kind:     by_value
    .group_segment_fixed_size: 4096
    .kernarg_segment_align: 8
    .kernarg_segment_size: 100
    .language:       OpenCL C
    .language_version:
      - 2
      - 0
    .max_flat_workgroup_size: 256
    .name:           _ZL29rocblas_internal_gemmt_kernelIiLi16ELi32ELi8ELc84ELc67ELc76ELb0ELb1E19rocblas_complex_numIfES1_PKPKS1_PKPS1_EviT_T9_T10_S9_lSB_S9_lSA_T11_S9_li
    .private_segment_fixed_size: 0
    .sgpr_count:     40
    .sgpr_spill_count: 0
    .symbol:         _ZL29rocblas_internal_gemmt_kernelIiLi16ELi32ELi8ELc84ELc67ELc76ELb0ELb1E19rocblas_complex_numIfES1_PKPKS1_PKPS1_EviT_T9_T10_S9_lSB_S9_lSA_T11_S9_li.kd
    .uniform_work_group_size: 1
    .uses_dynamic_stack: false
    .vgpr_count:     71
    .vgpr_spill_count: 0
    .wavefront_size: 32
  - .args:
      - .offset:         0
        .size:           4
        .value_kind:     by_value
      - .offset:         4
        .size:           4
        .value_kind:     by_value
      - .offset:         8
        .size:           8
        .value_kind:     by_value
      - .address_space:  global
        .offset:         16
        .size:           8
        .value_kind:     global_buffer
      - .offset:         24
        .size:           4
        .value_kind:     by_value
      - .offset:         32
        .size:           8
        .value_kind:     by_value
      - .address_space:  global
        .offset:         40
        .size:           8
        .value_kind:     global_buffer
      - .offset:         48
        .size:           4
        .value_kind:     by_value
      - .offset:         56
        .size:           8
        .value_kind:     by_value
      - .offset:         64
        .size:           8
        .value_kind:     by_value
      - .address_space:  global
        .offset:         72
        .size:           8
        .value_kind:     global_buffer
      - .offset:         80
        .size:           4
        .value_kind:     by_value
      - .offset:         88
        .size:           8
        .value_kind:     by_value
      - .offset:         96
        .size:           4
        .value_kind:     by_value
    .group_segment_fixed_size: 4096
    .kernarg_segment_align: 8
    .kernarg_segment_size: 100
    .language:       OpenCL C
    .language_version:
      - 2
      - 0
    .max_flat_workgroup_size: 256
    .name:           _ZL29rocblas_internal_gemmt_kernelIiLi16ELi32ELi8ELc67ELc78ELc76ELb1ELb0E19rocblas_complex_numIfES1_PKPKS1_PKPS1_EviT_T9_T10_S9_lSB_S9_lSA_T11_S9_li
    .private_segment_fixed_size: 0
    .sgpr_count:     37
    .sgpr_spill_count: 0
    .symbol:         _ZL29rocblas_internal_gemmt_kernelIiLi16ELi32ELi8ELc67ELc78ELc76ELb1ELb0E19rocblas_complex_numIfES1_PKPKS1_PKPS1_EviT_T9_T10_S9_lSB_S9_lSA_T11_S9_li.kd
    .uniform_work_group_size: 1
    .uses_dynamic_stack: false
    .vgpr_count:     72
    .vgpr_spill_count: 0
    .wavefront_size: 32
  - .args:
      - .offset:         0
        .size:           4
        .value_kind:     by_value
      - .offset:         4
        .size:           4
        .value_kind:     by_value
      - .offset:         8
        .size:           8
        .value_kind:     by_value
      - .address_space:  global
        .offset:         16
        .size:           8
        .value_kind:     global_buffer
      - .offset:         24
        .size:           4
        .value_kind:     by_value
      - .offset:         32
        .size:           8
        .value_kind:     by_value
      - .address_space:  global
        .offset:         40
        .size:           8
        .value_kind:     global_buffer
      - .offset:         48
        .size:           4
        .value_kind:     by_value
      - .offset:         56
        .size:           8
        .value_kind:     by_value
      - .offset:         64
        .size:           8
        .value_kind:     by_value
      - .address_space:  global
        .offset:         72
        .size:           8
        .value_kind:     global_buffer
      - .offset:         80
        .size:           4
        .value_kind:     by_value
      - .offset:         88
        .size:           8
        .value_kind:     by_value
      - .offset:         96
        .size:           4
        .value_kind:     by_value
    .group_segment_fixed_size: 4096
    .kernarg_segment_align: 8
    .kernarg_segment_size: 100
    .language:       OpenCL C
    .language_version:
      - 2
      - 0
    .max_flat_workgroup_size: 256
    .name:           _ZL29rocblas_internal_gemmt_kernelIiLi16ELi32ELi8ELc67ELc84ELc76ELb1ELb0E19rocblas_complex_numIfES1_PKPKS1_PKPS1_EviT_T9_T10_S9_lSB_S9_lSA_T11_S9_li
    .private_segment_fixed_size: 0
    .sgpr_count:     40
    .sgpr_spill_count: 0
    .symbol:         _ZL29rocblas_internal_gemmt_kernelIiLi16ELi32ELi8ELc67ELc84ELc76ELb1ELb0E19rocblas_complex_numIfES1_PKPKS1_PKPS1_EviT_T9_T10_S9_lSB_S9_lSA_T11_S9_li.kd
    .uniform_work_group_size: 1
    .uses_dynamic_stack: false
    .vgpr_count:     71
    .vgpr_spill_count: 0
    .wavefront_size: 32
  - .args:
      - .offset:         0
        .size:           4
        .value_kind:     by_value
      - .offset:         4
        .size:           4
        .value_kind:     by_value
      - .offset:         8
        .size:           8
        .value_kind:     by_value
      - .address_space:  global
        .offset:         16
        .size:           8
        .value_kind:     global_buffer
      - .offset:         24
        .size:           4
        .value_kind:     by_value
      - .offset:         32
        .size:           8
        .value_kind:     by_value
      - .address_space:  global
        .offset:         40
        .size:           8
        .value_kind:     global_buffer
      - .offset:         48
        .size:           4
        .value_kind:     by_value
      - .offset:         56
        .size:           8
        .value_kind:     by_value
      - .offset:         64
        .size:           8
        .value_kind:     by_value
      - .address_space:  global
        .offset:         72
        .size:           8
        .value_kind:     global_buffer
      - .offset:         80
        .size:           4
        .value_kind:     by_value
      - .offset:         88
        .size:           8
        .value_kind:     by_value
      - .offset:         96
        .size:           4
        .value_kind:     by_value
    .group_segment_fixed_size: 4096
    .kernarg_segment_align: 8
    .kernarg_segment_size: 100
    .language:       OpenCL C
    .language_version:
      - 2
      - 0
    .max_flat_workgroup_size: 256
    .name:           _ZL29rocblas_internal_gemmt_kernelIiLi16ELi32ELi8ELc67ELc67ELc76ELb1ELb1E19rocblas_complex_numIfES1_PKPKS1_PKPS1_EviT_T9_T10_S9_lSB_S9_lSA_T11_S9_li
    .private_segment_fixed_size: 0
    .sgpr_count:     38
    .sgpr_spill_count: 0
    .symbol:         _ZL29rocblas_internal_gemmt_kernelIiLi16ELi32ELi8ELc67ELc67ELc76ELb1ELb1E19rocblas_complex_numIfES1_PKPKS1_PKPS1_EviT_T9_T10_S9_lSB_S9_lSA_T11_S9_li.kd
    .uniform_work_group_size: 1
    .uses_dynamic_stack: false
    .vgpr_count:     71
    .vgpr_spill_count: 0
    .wavefront_size: 32
  - .args:
      - .offset:         0
        .size:           4
        .value_kind:     by_value
      - .offset:         4
        .size:           4
        .value_kind:     by_value
      - .address_space:  global
        .offset:         8
        .size:           8
        .value_kind:     global_buffer
      - .address_space:  global
        .offset:         16
        .size:           8
        .value_kind:     global_buffer
      - .offset:         24
        .size:           4
        .value_kind:     by_value
      - .offset:         32
        .size:           8
        .value_kind:     by_value
      - .address_space:  global
        .offset:         40
        .size:           8
        .value_kind:     global_buffer
      - .offset:         48
        .size:           4
        .value_kind:     by_value
      - .offset:         56
        .size:           8
        .value_kind:     by_value
      - .address_space:  global
        .offset:         64
        .size:           8
        .value_kind:     global_buffer
      - .address_space:  global
        .offset:         72
        .size:           8
        .value_kind:     global_buffer
      - .offset:         80
        .size:           4
        .value_kind:     by_value
      - .offset:         88
        .size:           8
        .value_kind:     by_value
      - .offset:         96
        .size:           4
        .value_kind:     by_value
    .group_segment_fixed_size: 8192
    .kernarg_segment_align: 8
    .kernarg_segment_size: 100
    .language:       OpenCL C
    .language_version:
      - 2
      - 0
    .max_flat_workgroup_size: 256
    .name:           _ZL29rocblas_internal_gemmt_kernelIiLi16ELi32ELi8ELc78ELc78ELc85ELb0ELb0E19rocblas_complex_numIdEPKS1_PKS3_PKPS1_EviT_T9_T10_S9_lSB_S9_lSA_T11_S9_li
    .private_segment_fixed_size: 0
    .sgpr_count:     43
    .sgpr_spill_count: 0
    .symbol:         _ZL29rocblas_internal_gemmt_kernelIiLi16ELi32ELi8ELc78ELc78ELc85ELb0ELb0E19rocblas_complex_numIdEPKS1_PKS3_PKPS1_EviT_T9_T10_S9_lSB_S9_lSA_T11_S9_li.kd
    .uniform_work_group_size: 1
    .uses_dynamic_stack: false
    .vgpr_count:     132
    .vgpr_spill_count: 0
    .wavefront_size: 32
  - .args:
      - .offset:         0
        .size:           4
        .value_kind:     by_value
      - .offset:         4
        .size:           4
        .value_kind:     by_value
      - .address_space:  global
        .offset:         8
        .size:           8
        .value_kind:     global_buffer
      - .address_space:  global
        .offset:         16
        .size:           8
        .value_kind:     global_buffer
      - .offset:         24
        .size:           4
        .value_kind:     by_value
      - .offset:         32
        .size:           8
        .value_kind:     by_value
      - .address_space:  global
        .offset:         40
        .size:           8
        .value_kind:     global_buffer
      - .offset:         48
        .size:           4
        .value_kind:     by_value
      - .offset:         56
        .size:           8
        .value_kind:     by_value
      - .address_space:  global
        .offset:         64
        .size:           8
        .value_kind:     global_buffer
      - .address_space:  global
        .offset:         72
        .size:           8
        .value_kind:     global_buffer
      - .offset:         80
        .size:           4
        .value_kind:     by_value
      - .offset:         88
        .size:           8
        .value_kind:     by_value
      - .offset:         96
        .size:           4
        .value_kind:     by_value
    .group_segment_fixed_size: 8192
    .kernarg_segment_align: 8
    .kernarg_segment_size: 100
    .language:       OpenCL C
    .language_version:
      - 2
      - 0
    .max_flat_workgroup_size: 256
    .name:           _ZL29rocblas_internal_gemmt_kernelIiLi16ELi32ELi8ELc78ELc84ELc85ELb0ELb0E19rocblas_complex_numIdEPKS1_PKS3_PKPS1_EviT_T9_T10_S9_lSB_S9_lSA_T11_S9_li
    .private_segment_fixed_size: 0
    .sgpr_count:     43
    .sgpr_spill_count: 0
    .symbol:         _ZL29rocblas_internal_gemmt_kernelIiLi16ELi32ELi8ELc78ELc84ELc85ELb0ELb0E19rocblas_complex_numIdEPKS1_PKS3_PKPS1_EviT_T9_T10_S9_lSB_S9_lSA_T11_S9_li.kd
    .uniform_work_group_size: 1
    .uses_dynamic_stack: false
    .vgpr_count:     132
    .vgpr_spill_count: 0
    .wavefront_size: 32
  - .args:
      - .offset:         0
        .size:           4
        .value_kind:     by_value
      - .offset:         4
        .size:           4
        .value_kind:     by_value
      - .address_space:  global
        .offset:         8
        .size:           8
        .value_kind:     global_buffer
      - .address_space:  global
        .offset:         16
        .size:           8
        .value_kind:     global_buffer
      - .offset:         24
        .size:           4
        .value_kind:     by_value
      - .offset:         32
        .size:           8
        .value_kind:     by_value
      - .address_space:  global
        .offset:         40
        .size:           8
        .value_kind:     global_buffer
      - .offset:         48
        .size:           4
        .value_kind:     by_value
      - .offset:         56
        .size:           8
        .value_kind:     by_value
      - .address_space:  global
        .offset:         64
        .size:           8
        .value_kind:     global_buffer
      - .address_space:  global
        .offset:         72
        .size:           8
        .value_kind:     global_buffer
      - .offset:         80
        .size:           4
        .value_kind:     by_value
      - .offset:         88
        .size:           8
        .value_kind:     by_value
      - .offset:         96
        .size:           4
        .value_kind:     by_value
    .group_segment_fixed_size: 8192
    .kernarg_segment_align: 8
    .kernarg_segment_size: 100
    .language:       OpenCL C
    .language_version:
      - 2
      - 0
    .max_flat_workgroup_size: 256
    .name:           _ZL29rocblas_internal_gemmt_kernelIiLi16ELi32ELi8ELc78ELc67ELc85ELb0ELb1E19rocblas_complex_numIdEPKS1_PKS3_PKPS1_EviT_T9_T10_S9_lSB_S9_lSA_T11_S9_li
    .private_segment_fixed_size: 0
    .sgpr_count:     43
    .sgpr_spill_count: 0
    .symbol:         _ZL29rocblas_internal_gemmt_kernelIiLi16ELi32ELi8ELc78ELc67ELc85ELb0ELb1E19rocblas_complex_numIdEPKS1_PKS3_PKPS1_EviT_T9_T10_S9_lSB_S9_lSA_T11_S9_li.kd
    .uniform_work_group_size: 1
    .uses_dynamic_stack: false
    .vgpr_count:     132
    .vgpr_spill_count: 0
    .wavefront_size: 32
  - .args:
      - .offset:         0
        .size:           4
        .value_kind:     by_value
      - .offset:         4
        .size:           4
        .value_kind:     by_value
      - .address_space:  global
        .offset:         8
        .size:           8
        .value_kind:     global_buffer
      - .address_space:  global
        .offset:         16
        .size:           8
        .value_kind:     global_buffer
      - .offset:         24
        .size:           4
        .value_kind:     by_value
      - .offset:         32
        .size:           8
        .value_kind:     by_value
      - .address_space:  global
        .offset:         40
        .size:           8
        .value_kind:     global_buffer
      - .offset:         48
        .size:           4
        .value_kind:     by_value
      - .offset:         56
        .size:           8
        .value_kind:     by_value
      - .address_space:  global
        .offset:         64
        .size:           8
        .value_kind:     global_buffer
      - .address_space:  global
        .offset:         72
        .size:           8
        .value_kind:     global_buffer
      - .offset:         80
        .size:           4
        .value_kind:     by_value
      - .offset:         88
        .size:           8
        .value_kind:     by_value
      - .offset:         96
        .size:           4
        .value_kind:     by_value
    .group_segment_fixed_size: 8192
    .kernarg_segment_align: 8
    .kernarg_segment_size: 100
    .language:       OpenCL C
    .language_version:
      - 2
      - 0
    .max_flat_workgroup_size: 256
    .name:           _ZL29rocblas_internal_gemmt_kernelIiLi16ELi32ELi8ELc84ELc78ELc85ELb0ELb0E19rocblas_complex_numIdEPKS1_PKS3_PKPS1_EviT_T9_T10_S9_lSB_S9_lSA_T11_S9_li
    .private_segment_fixed_size: 0
    .sgpr_count:     43
    .sgpr_spill_count: 0
    .symbol:         _ZL29rocblas_internal_gemmt_kernelIiLi16ELi32ELi8ELc84ELc78ELc85ELb0ELb0E19rocblas_complex_numIdEPKS1_PKS3_PKPS1_EviT_T9_T10_S9_lSB_S9_lSA_T11_S9_li.kd
    .uniform_work_group_size: 1
    .uses_dynamic_stack: false
    .vgpr_count:     132
    .vgpr_spill_count: 0
    .wavefront_size: 32
  - .args:
      - .offset:         0
        .size:           4
        .value_kind:     by_value
      - .offset:         4
        .size:           4
        .value_kind:     by_value
      - .address_space:  global
        .offset:         8
        .size:           8
        .value_kind:     global_buffer
      - .address_space:  global
        .offset:         16
        .size:           8
        .value_kind:     global_buffer
      - .offset:         24
        .size:           4
        .value_kind:     by_value
      - .offset:         32
        .size:           8
        .value_kind:     by_value
      - .address_space:  global
        .offset:         40
        .size:           8
        .value_kind:     global_buffer
      - .offset:         48
        .size:           4
        .value_kind:     by_value
      - .offset:         56
        .size:           8
        .value_kind:     by_value
      - .address_space:  global
        .offset:         64
        .size:           8
        .value_kind:     global_buffer
      - .address_space:  global
        .offset:         72
        .size:           8
        .value_kind:     global_buffer
      - .offset:         80
        .size:           4
        .value_kind:     by_value
      - .offset:         88
        .size:           8
        .value_kind:     by_value
      - .offset:         96
        .size:           4
        .value_kind:     by_value
    .group_segment_fixed_size: 8192
    .kernarg_segment_align: 8
    .kernarg_segment_size: 100
    .language:       OpenCL C
    .language_version:
      - 2
      - 0
    .max_flat_workgroup_size: 256
    .name:           _ZL29rocblas_internal_gemmt_kernelIiLi16ELi32ELi8ELc84ELc84ELc85ELb0ELb0E19rocblas_complex_numIdEPKS1_PKS3_PKPS1_EviT_T9_T10_S9_lSB_S9_lSA_T11_S9_li
    .private_segment_fixed_size: 0
    .sgpr_count:     43
    .sgpr_spill_count: 0
    .symbol:         _ZL29rocblas_internal_gemmt_kernelIiLi16ELi32ELi8ELc84ELc84ELc85ELb0ELb0E19rocblas_complex_numIdEPKS1_PKS3_PKPS1_EviT_T9_T10_S9_lSB_S9_lSA_T11_S9_li.kd
    .uniform_work_group_size: 1
    .uses_dynamic_stack: false
    .vgpr_count:     132
    .vgpr_spill_count: 0
    .wavefront_size: 32
  - .args:
      - .offset:         0
        .size:           4
        .value_kind:     by_value
      - .offset:         4
        .size:           4
        .value_kind:     by_value
      - .address_space:  global
        .offset:         8
        .size:           8
        .value_kind:     global_buffer
      - .address_space:  global
        .offset:         16
        .size:           8
        .value_kind:     global_buffer
      - .offset:         24
        .size:           4
        .value_kind:     by_value
      - .offset:         32
        .size:           8
        .value_kind:     by_value
      - .address_space:  global
        .offset:         40
        .size:           8
        .value_kind:     global_buffer
      - .offset:         48
        .size:           4
        .value_kind:     by_value
      - .offset:         56
        .size:           8
        .value_kind:     by_value
      - .address_space:  global
        .offset:         64
        .size:           8
        .value_kind:     global_buffer
      - .address_space:  global
        .offset:         72
        .size:           8
        .value_kind:     global_buffer
      - .offset:         80
        .size:           4
        .value_kind:     by_value
      - .offset:         88
        .size:           8
        .value_kind:     by_value
      - .offset:         96
        .size:           4
        .value_kind:     by_value
    .group_segment_fixed_size: 8192
    .kernarg_segment_align: 8
    .kernarg_segment_size: 100
    .language:       OpenCL C
    .language_version:
      - 2
      - 0
    .max_flat_workgroup_size: 256
    .name:           _ZL29rocblas_internal_gemmt_kernelIiLi16ELi32ELi8ELc84ELc67ELc85ELb0ELb1E19rocblas_complex_numIdEPKS1_PKS3_PKPS1_EviT_T9_T10_S9_lSB_S9_lSA_T11_S9_li
    .private_segment_fixed_size: 0
    .sgpr_count:     43
    .sgpr_spill_count: 0
    .symbol:         _ZL29rocblas_internal_gemmt_kernelIiLi16ELi32ELi8ELc84ELc67ELc85ELb0ELb1E19rocblas_complex_numIdEPKS1_PKS3_PKPS1_EviT_T9_T10_S9_lSB_S9_lSA_T11_S9_li.kd
    .uniform_work_group_size: 1
    .uses_dynamic_stack: false
    .vgpr_count:     132
    .vgpr_spill_count: 0
    .wavefront_size: 32
  - .args:
      - .offset:         0
        .size:           4
        .value_kind:     by_value
      - .offset:         4
        .size:           4
        .value_kind:     by_value
      - .address_space:  global
        .offset:         8
        .size:           8
        .value_kind:     global_buffer
      - .address_space:  global
        .offset:         16
        .size:           8
        .value_kind:     global_buffer
      - .offset:         24
        .size:           4
        .value_kind:     by_value
      - .offset:         32
        .size:           8
        .value_kind:     by_value
      - .address_space:  global
        .offset:         40
        .size:           8
        .value_kind:     global_buffer
      - .offset:         48
        .size:           4
        .value_kind:     by_value
      - .offset:         56
        .size:           8
        .value_kind:     by_value
      - .address_space:  global
        .offset:         64
        .size:           8
        .value_kind:     global_buffer
      - .address_space:  global
        .offset:         72
        .size:           8
        .value_kind:     global_buffer
      - .offset:         80
        .size:           4
        .value_kind:     by_value
      - .offset:         88
        .size:           8
        .value_kind:     by_value
      - .offset:         96
        .size:           4
        .value_kind:     by_value
    .group_segment_fixed_size: 8192
    .kernarg_segment_align: 8
    .kernarg_segment_size: 100
    .language:       OpenCL C
    .language_version:
      - 2
      - 0
    .max_flat_workgroup_size: 256
    .name:           _ZL29rocblas_internal_gemmt_kernelIiLi16ELi32ELi8ELc67ELc78ELc85ELb1ELb0E19rocblas_complex_numIdEPKS1_PKS3_PKPS1_EviT_T9_T10_S9_lSB_S9_lSA_T11_S9_li
    .private_segment_fixed_size: 0
    .sgpr_count:     41
    .sgpr_spill_count: 0
    .symbol:         _ZL29rocblas_internal_gemmt_kernelIiLi16ELi32ELi8ELc67ELc78ELc85ELb1ELb0E19rocblas_complex_numIdEPKS1_PKS3_PKPS1_EviT_T9_T10_S9_lSB_S9_lSA_T11_S9_li.kd
    .uniform_work_group_size: 1
    .uses_dynamic_stack: false
    .vgpr_count:     132
    .vgpr_spill_count: 0
    .wavefront_size: 32
  - .args:
      - .offset:         0
        .size:           4
        .value_kind:     by_value
      - .offset:         4
        .size:           4
        .value_kind:     by_value
      - .address_space:  global
        .offset:         8
        .size:           8
        .value_kind:     global_buffer
      - .address_space:  global
        .offset:         16
        .size:           8
        .value_kind:     global_buffer
      - .offset:         24
        .size:           4
        .value_kind:     by_value
      - .offset:         32
        .size:           8
        .value_kind:     by_value
      - .address_space:  global
        .offset:         40
        .size:           8
        .value_kind:     global_buffer
      - .offset:         48
        .size:           4
        .value_kind:     by_value
      - .offset:         56
        .size:           8
        .value_kind:     by_value
      - .address_space:  global
        .offset:         64
        .size:           8
        .value_kind:     global_buffer
      - .address_space:  global
        .offset:         72
        .size:           8
        .value_kind:     global_buffer
      - .offset:         80
        .size:           4
        .value_kind:     by_value
      - .offset:         88
        .size:           8
        .value_kind:     by_value
      - .offset:         96
        .size:           4
        .value_kind:     by_value
    .group_segment_fixed_size: 8192
    .kernarg_segment_align: 8
    .kernarg_segment_size: 100
    .language:       OpenCL C
    .language_version:
      - 2
      - 0
    .max_flat_workgroup_size: 256
    .name:           _ZL29rocblas_internal_gemmt_kernelIiLi16ELi32ELi8ELc67ELc84ELc85ELb1ELb0E19rocblas_complex_numIdEPKS1_PKS3_PKPS1_EviT_T9_T10_S9_lSB_S9_lSA_T11_S9_li
    .private_segment_fixed_size: 0
    .sgpr_count:     43
    .sgpr_spill_count: 0
    .symbol:         _ZL29rocblas_internal_gemmt_kernelIiLi16ELi32ELi8ELc67ELc84ELc85ELb1ELb0E19rocblas_complex_numIdEPKS1_PKS3_PKPS1_EviT_T9_T10_S9_lSB_S9_lSA_T11_S9_li.kd
    .uniform_work_group_size: 1
    .uses_dynamic_stack: false
    .vgpr_count:     132
    .vgpr_spill_count: 0
    .wavefront_size: 32
  - .args:
      - .offset:         0
        .size:           4
        .value_kind:     by_value
      - .offset:         4
        .size:           4
        .value_kind:     by_value
      - .address_space:  global
        .offset:         8
        .size:           8
        .value_kind:     global_buffer
      - .address_space:  global
        .offset:         16
        .size:           8
        .value_kind:     global_buffer
      - .offset:         24
        .size:           4
        .value_kind:     by_value
      - .offset:         32
        .size:           8
        .value_kind:     by_value
      - .address_space:  global
        .offset:         40
        .size:           8
        .value_kind:     global_buffer
      - .offset:         48
        .size:           4
        .value_kind:     by_value
      - .offset:         56
        .size:           8
        .value_kind:     by_value
      - .address_space:  global
        .offset:         64
        .size:           8
        .value_kind:     global_buffer
      - .address_space:  global
        .offset:         72
        .size:           8
        .value_kind:     global_buffer
      - .offset:         80
        .size:           4
        .value_kind:     by_value
      - .offset:         88
        .size:           8
        .value_kind:     by_value
      - .offset:         96
        .size:           4
        .value_kind:     by_value
    .group_segment_fixed_size: 8192
    .kernarg_segment_align: 8
    .kernarg_segment_size: 100
    .language:       OpenCL C
    .language_version:
      - 2
      - 0
    .max_flat_workgroup_size: 256
    .name:           _ZL29rocblas_internal_gemmt_kernelIiLi16ELi32ELi8ELc67ELc67ELc85ELb1ELb1E19rocblas_complex_numIdEPKS1_PKS3_PKPS1_EviT_T9_T10_S9_lSB_S9_lSA_T11_S9_li
    .private_segment_fixed_size: 0
    .sgpr_count:     43
    .sgpr_spill_count: 0
    .symbol:         _ZL29rocblas_internal_gemmt_kernelIiLi16ELi32ELi8ELc67ELc67ELc85ELb1ELb1E19rocblas_complex_numIdEPKS1_PKS3_PKPS1_EviT_T9_T10_S9_lSB_S9_lSA_T11_S9_li.kd
    .uniform_work_group_size: 1
    .uses_dynamic_stack: false
    .vgpr_count:     132
    .vgpr_spill_count: 0
    .wavefront_size: 32
  - .args:
      - .offset:         0
        .size:           4
        .value_kind:     by_value
      - .offset:         4
        .size:           4
        .value_kind:     by_value
      - .address_space:  global
        .offset:         8
        .size:           8
        .value_kind:     global_buffer
      - .address_space:  global
        .offset:         16
        .size:           8
        .value_kind:     global_buffer
      - .offset:         24
        .size:           4
        .value_kind:     by_value
      - .offset:         32
        .size:           8
        .value_kind:     by_value
      - .address_space:  global
        .offset:         40
        .size:           8
        .value_kind:     global_buffer
      - .offset:         48
        .size:           4
        .value_kind:     by_value
      - .offset:         56
        .size:           8
        .value_kind:     by_value
      - .address_space:  global
        .offset:         64
        .size:           8
        .value_kind:     global_buffer
      - .address_space:  global
        .offset:         72
        .size:           8
        .value_kind:     global_buffer
      - .offset:         80
        .size:           4
        .value_kind:     by_value
      - .offset:         88
        .size:           8
        .value_kind:     by_value
      - .offset:         96
        .size:           4
        .value_kind:     by_value
    .group_segment_fixed_size: 8192
    .kernarg_segment_align: 8
    .kernarg_segment_size: 100
    .language:       OpenCL C
    .language_version:
      - 2
      - 0
    .max_flat_workgroup_size: 256
    .name:           _ZL29rocblas_internal_gemmt_kernelIiLi16ELi32ELi8ELc78ELc78ELc76ELb0ELb0E19rocblas_complex_numIdEPKS1_PKS3_PKPS1_EviT_T9_T10_S9_lSB_S9_lSA_T11_S9_li
    .private_segment_fixed_size: 0
    .sgpr_count:     43
    .sgpr_spill_count: 0
    .symbol:         _ZL29rocblas_internal_gemmt_kernelIiLi16ELi32ELi8ELc78ELc78ELc76ELb0ELb0E19rocblas_complex_numIdEPKS1_PKS3_PKPS1_EviT_T9_T10_S9_lSB_S9_lSA_T11_S9_li.kd
    .uniform_work_group_size: 1
    .uses_dynamic_stack: false
    .vgpr_count:     132
    .vgpr_spill_count: 0
    .wavefront_size: 32
  - .args:
      - .offset:         0
        .size:           4
        .value_kind:     by_value
      - .offset:         4
        .size:           4
        .value_kind:     by_value
      - .address_space:  global
        .offset:         8
        .size:           8
        .value_kind:     global_buffer
      - .address_space:  global
        .offset:         16
        .size:           8
        .value_kind:     global_buffer
      - .offset:         24
        .size:           4
        .value_kind:     by_value
      - .offset:         32
        .size:           8
        .value_kind:     by_value
      - .address_space:  global
        .offset:         40
        .size:           8
        .value_kind:     global_buffer
      - .offset:         48
        .size:           4
        .value_kind:     by_value
      - .offset:         56
        .size:           8
        .value_kind:     by_value
      - .address_space:  global
        .offset:         64
        .size:           8
        .value_kind:     global_buffer
      - .address_space:  global
        .offset:         72
        .size:           8
        .value_kind:     global_buffer
      - .offset:         80
        .size:           4
        .value_kind:     by_value
      - .offset:         88
        .size:           8
        .value_kind:     by_value
      - .offset:         96
        .size:           4
        .value_kind:     by_value
    .group_segment_fixed_size: 8192
    .kernarg_segment_align: 8
    .kernarg_segment_size: 100
    .language:       OpenCL C
    .language_version:
      - 2
      - 0
    .max_flat_workgroup_size: 256
    .name:           _ZL29rocblas_internal_gemmt_kernelIiLi16ELi32ELi8ELc78ELc84ELc76ELb0ELb0E19rocblas_complex_numIdEPKS1_PKS3_PKPS1_EviT_T9_T10_S9_lSB_S9_lSA_T11_S9_li
    .private_segment_fixed_size: 0
    .sgpr_count:     43
    .sgpr_spill_count: 0
    .symbol:         _ZL29rocblas_internal_gemmt_kernelIiLi16ELi32ELi8ELc78ELc84ELc76ELb0ELb0E19rocblas_complex_numIdEPKS1_PKS3_PKPS1_EviT_T9_T10_S9_lSB_S9_lSA_T11_S9_li.kd
    .uniform_work_group_size: 1
    .uses_dynamic_stack: false
    .vgpr_count:     132
    .vgpr_spill_count: 0
    .wavefront_size: 32
  - .args:
      - .offset:         0
        .size:           4
        .value_kind:     by_value
      - .offset:         4
        .size:           4
        .value_kind:     by_value
      - .address_space:  global
        .offset:         8
        .size:           8
        .value_kind:     global_buffer
      - .address_space:  global
        .offset:         16
        .size:           8
        .value_kind:     global_buffer
      - .offset:         24
        .size:           4
        .value_kind:     by_value
      - .offset:         32
        .size:           8
        .value_kind:     by_value
      - .address_space:  global
        .offset:         40
        .size:           8
        .value_kind:     global_buffer
      - .offset:         48
        .size:           4
        .value_kind:     by_value
      - .offset:         56
        .size:           8
        .value_kind:     by_value
      - .address_space:  global
        .offset:         64
        .size:           8
        .value_kind:     global_buffer
      - .address_space:  global
        .offset:         72
        .size:           8
        .value_kind:     global_buffer
      - .offset:         80
        .size:           4
        .value_kind:     by_value
      - .offset:         88
        .size:           8
        .value_kind:     by_value
      - .offset:         96
        .size:           4
        .value_kind:     by_value
    .group_segment_fixed_size: 8192
    .kernarg_segment_align: 8
    .kernarg_segment_size: 100
    .language:       OpenCL C
    .language_version:
      - 2
      - 0
    .max_flat_workgroup_size: 256
    .name:           _ZL29rocblas_internal_gemmt_kernelIiLi16ELi32ELi8ELc78ELc67ELc76ELb0ELb1E19rocblas_complex_numIdEPKS1_PKS3_PKPS1_EviT_T9_T10_S9_lSB_S9_lSA_T11_S9_li
    .private_segment_fixed_size: 0
    .sgpr_count:     43
    .sgpr_spill_count: 0
    .symbol:         _ZL29rocblas_internal_gemmt_kernelIiLi16ELi32ELi8ELc78ELc67ELc76ELb0ELb1E19rocblas_complex_numIdEPKS1_PKS3_PKPS1_EviT_T9_T10_S9_lSB_S9_lSA_T11_S9_li.kd
    .uniform_work_group_size: 1
    .uses_dynamic_stack: false
    .vgpr_count:     132
    .vgpr_spill_count: 0
    .wavefront_size: 32
  - .args:
      - .offset:         0
        .size:           4
        .value_kind:     by_value
      - .offset:         4
        .size:           4
        .value_kind:     by_value
      - .address_space:  global
        .offset:         8
        .size:           8
        .value_kind:     global_buffer
      - .address_space:  global
        .offset:         16
        .size:           8
        .value_kind:     global_buffer
      - .offset:         24
        .size:           4
        .value_kind:     by_value
      - .offset:         32
        .size:           8
        .value_kind:     by_value
      - .address_space:  global
        .offset:         40
        .size:           8
        .value_kind:     global_buffer
      - .offset:         48
        .size:           4
        .value_kind:     by_value
      - .offset:         56
        .size:           8
        .value_kind:     by_value
      - .address_space:  global
        .offset:         64
        .size:           8
        .value_kind:     global_buffer
      - .address_space:  global
        .offset:         72
        .size:           8
        .value_kind:     global_buffer
      - .offset:         80
        .size:           4
        .value_kind:     by_value
      - .offset:         88
        .size:           8
        .value_kind:     by_value
      - .offset:         96
        .size:           4
        .value_kind:     by_value
    .group_segment_fixed_size: 8192
    .kernarg_segment_align: 8
    .kernarg_segment_size: 100
    .language:       OpenCL C
    .language_version:
      - 2
      - 0
    .max_flat_workgroup_size: 256
    .name:           _ZL29rocblas_internal_gemmt_kernelIiLi16ELi32ELi8ELc84ELc78ELc76ELb0ELb0E19rocblas_complex_numIdEPKS1_PKS3_PKPS1_EviT_T9_T10_S9_lSB_S9_lSA_T11_S9_li
    .private_segment_fixed_size: 0
    .sgpr_count:     43
    .sgpr_spill_count: 0
    .symbol:         _ZL29rocblas_internal_gemmt_kernelIiLi16ELi32ELi8ELc84ELc78ELc76ELb0ELb0E19rocblas_complex_numIdEPKS1_PKS3_PKPS1_EviT_T9_T10_S9_lSB_S9_lSA_T11_S9_li.kd
    .uniform_work_group_size: 1
    .uses_dynamic_stack: false
    .vgpr_count:     132
    .vgpr_spill_count: 0
    .wavefront_size: 32
  - .args:
      - .offset:         0
        .size:           4
        .value_kind:     by_value
      - .offset:         4
        .size:           4
        .value_kind:     by_value
      - .address_space:  global
        .offset:         8
        .size:           8
        .value_kind:     global_buffer
      - .address_space:  global
        .offset:         16
        .size:           8
        .value_kind:     global_buffer
      - .offset:         24
        .size:           4
        .value_kind:     by_value
      - .offset:         32
        .size:           8
        .value_kind:     by_value
      - .address_space:  global
        .offset:         40
        .size:           8
        .value_kind:     global_buffer
      - .offset:         48
        .size:           4
        .value_kind:     by_value
      - .offset:         56
        .size:           8
        .value_kind:     by_value
      - .address_space:  global
        .offset:         64
        .size:           8
        .value_kind:     global_buffer
      - .address_space:  global
        .offset:         72
        .size:           8
        .value_kind:     global_buffer
      - .offset:         80
        .size:           4
        .value_kind:     by_value
      - .offset:         88
        .size:           8
        .value_kind:     by_value
      - .offset:         96
        .size:           4
        .value_kind:     by_value
    .group_segment_fixed_size: 8192
    .kernarg_segment_align: 8
    .kernarg_segment_size: 100
    .language:       OpenCL C
    .language_version:
      - 2
      - 0
    .max_flat_workgroup_size: 256
    .name:           _ZL29rocblas_internal_gemmt_kernelIiLi16ELi32ELi8ELc84ELc84ELc76ELb0ELb0E19rocblas_complex_numIdEPKS1_PKS3_PKPS1_EviT_T9_T10_S9_lSB_S9_lSA_T11_S9_li
    .private_segment_fixed_size: 0
    .sgpr_count:     43
    .sgpr_spill_count: 0
    .symbol:         _ZL29rocblas_internal_gemmt_kernelIiLi16ELi32ELi8ELc84ELc84ELc76ELb0ELb0E19rocblas_complex_numIdEPKS1_PKS3_PKPS1_EviT_T9_T10_S9_lSB_S9_lSA_T11_S9_li.kd
    .uniform_work_group_size: 1
    .uses_dynamic_stack: false
    .vgpr_count:     132
    .vgpr_spill_count: 0
    .wavefront_size: 32
  - .args:
      - .offset:         0
        .size:           4
        .value_kind:     by_value
      - .offset:         4
        .size:           4
        .value_kind:     by_value
      - .address_space:  global
        .offset:         8
        .size:           8
        .value_kind:     global_buffer
      - .address_space:  global
        .offset:         16
        .size:           8
        .value_kind:     global_buffer
      - .offset:         24
        .size:           4
        .value_kind:     by_value
      - .offset:         32
        .size:           8
        .value_kind:     by_value
      - .address_space:  global
        .offset:         40
        .size:           8
        .value_kind:     global_buffer
      - .offset:         48
        .size:           4
        .value_kind:     by_value
      - .offset:         56
        .size:           8
        .value_kind:     by_value
      - .address_space:  global
        .offset:         64
        .size:           8
        .value_kind:     global_buffer
      - .address_space:  global
        .offset:         72
        .size:           8
        .value_kind:     global_buffer
      - .offset:         80
        .size:           4
        .value_kind:     by_value
      - .offset:         88
        .size:           8
        .value_kind:     by_value
      - .offset:         96
        .size:           4
        .value_kind:     by_value
    .group_segment_fixed_size: 8192
    .kernarg_segment_align: 8
    .kernarg_segment_size: 100
    .language:       OpenCL C
    .language_version:
      - 2
      - 0
    .max_flat_workgroup_size: 256
    .name:           _ZL29rocblas_internal_gemmt_kernelIiLi16ELi32ELi8ELc84ELc67ELc76ELb0ELb1E19rocblas_complex_numIdEPKS1_PKS3_PKPS1_EviT_T9_T10_S9_lSB_S9_lSA_T11_S9_li
    .private_segment_fixed_size: 0
    .sgpr_count:     43
    .sgpr_spill_count: 0
    .symbol:         _ZL29rocblas_internal_gemmt_kernelIiLi16ELi32ELi8ELc84ELc67ELc76ELb0ELb1E19rocblas_complex_numIdEPKS1_PKS3_PKPS1_EviT_T9_T10_S9_lSB_S9_lSA_T11_S9_li.kd
    .uniform_work_group_size: 1
    .uses_dynamic_stack: false
    .vgpr_count:     132
    .vgpr_spill_count: 0
    .wavefront_size: 32
  - .args:
      - .offset:         0
        .size:           4
        .value_kind:     by_value
      - .offset:         4
        .size:           4
        .value_kind:     by_value
      - .address_space:  global
        .offset:         8
        .size:           8
        .value_kind:     global_buffer
      - .address_space:  global
        .offset:         16
        .size:           8
        .value_kind:     global_buffer
      - .offset:         24
        .size:           4
        .value_kind:     by_value
      - .offset:         32
        .size:           8
        .value_kind:     by_value
      - .address_space:  global
        .offset:         40
        .size:           8
        .value_kind:     global_buffer
      - .offset:         48
        .size:           4
        .value_kind:     by_value
      - .offset:         56
        .size:           8
        .value_kind:     by_value
      - .address_space:  global
        .offset:         64
        .size:           8
        .value_kind:     global_buffer
      - .address_space:  global
        .offset:         72
        .size:           8
        .value_kind:     global_buffer
      - .offset:         80
        .size:           4
        .value_kind:     by_value
      - .offset:         88
        .size:           8
        .value_kind:     by_value
      - .offset:         96
        .size:           4
        .value_kind:     by_value
    .group_segment_fixed_size: 8192
    .kernarg_segment_align: 8
    .kernarg_segment_size: 100
    .language:       OpenCL C
    .language_version:
      - 2
      - 0
    .max_flat_workgroup_size: 256
    .name:           _ZL29rocblas_internal_gemmt_kernelIiLi16ELi32ELi8ELc67ELc78ELc76ELb1ELb0E19rocblas_complex_numIdEPKS1_PKS3_PKPS1_EviT_T9_T10_S9_lSB_S9_lSA_T11_S9_li
    .private_segment_fixed_size: 0
    .sgpr_count:     41
    .sgpr_spill_count: 0
    .symbol:         _ZL29rocblas_internal_gemmt_kernelIiLi16ELi32ELi8ELc67ELc78ELc76ELb1ELb0E19rocblas_complex_numIdEPKS1_PKS3_PKPS1_EviT_T9_T10_S9_lSB_S9_lSA_T11_S9_li.kd
    .uniform_work_group_size: 1
    .uses_dynamic_stack: false
    .vgpr_count:     132
    .vgpr_spill_count: 0
    .wavefront_size: 32
  - .args:
      - .offset:         0
        .size:           4
        .value_kind:     by_value
      - .offset:         4
        .size:           4
        .value_kind:     by_value
      - .address_space:  global
        .offset:         8
        .size:           8
        .value_kind:     global_buffer
      - .address_space:  global
        .offset:         16
        .size:           8
        .value_kind:     global_buffer
      - .offset:         24
        .size:           4
        .value_kind:     by_value
      - .offset:         32
        .size:           8
        .value_kind:     by_value
      - .address_space:  global
        .offset:         40
        .size:           8
        .value_kind:     global_buffer
      - .offset:         48
        .size:           4
        .value_kind:     by_value
      - .offset:         56
        .size:           8
        .value_kind:     by_value
      - .address_space:  global
        .offset:         64
        .size:           8
        .value_kind:     global_buffer
      - .address_space:  global
        .offset:         72
        .size:           8
        .value_kind:     global_buffer
      - .offset:         80
        .size:           4
        .value_kind:     by_value
      - .offset:         88
        .size:           8
        .value_kind:     by_value
      - .offset:         96
        .size:           4
        .value_kind:     by_value
    .group_segment_fixed_size: 8192
    .kernarg_segment_align: 8
    .kernarg_segment_size: 100
    .language:       OpenCL C
    .language_version:
      - 2
      - 0
    .max_flat_workgroup_size: 256
    .name:           _ZL29rocblas_internal_gemmt_kernelIiLi16ELi32ELi8ELc67ELc84ELc76ELb1ELb0E19rocblas_complex_numIdEPKS1_PKS3_PKPS1_EviT_T9_T10_S9_lSB_S9_lSA_T11_S9_li
    .private_segment_fixed_size: 0
    .sgpr_count:     43
    .sgpr_spill_count: 0
    .symbol:         _ZL29rocblas_internal_gemmt_kernelIiLi16ELi32ELi8ELc67ELc84ELc76ELb1ELb0E19rocblas_complex_numIdEPKS1_PKS3_PKPS1_EviT_T9_T10_S9_lSB_S9_lSA_T11_S9_li.kd
    .uniform_work_group_size: 1
    .uses_dynamic_stack: false
    .vgpr_count:     132
    .vgpr_spill_count: 0
    .wavefront_size: 32
  - .args:
      - .offset:         0
        .size:           4
        .value_kind:     by_value
      - .offset:         4
        .size:           4
        .value_kind:     by_value
      - .address_space:  global
        .offset:         8
        .size:           8
        .value_kind:     global_buffer
      - .address_space:  global
        .offset:         16
        .size:           8
        .value_kind:     global_buffer
      - .offset:         24
        .size:           4
        .value_kind:     by_value
      - .offset:         32
        .size:           8
        .value_kind:     by_value
      - .address_space:  global
        .offset:         40
        .size:           8
        .value_kind:     global_buffer
      - .offset:         48
        .size:           4
        .value_kind:     by_value
      - .offset:         56
        .size:           8
        .value_kind:     by_value
      - .address_space:  global
        .offset:         64
        .size:           8
        .value_kind:     global_buffer
      - .address_space:  global
        .offset:         72
        .size:           8
        .value_kind:     global_buffer
      - .offset:         80
        .size:           4
        .value_kind:     by_value
      - .offset:         88
        .size:           8
        .value_kind:     by_value
      - .offset:         96
        .size:           4
        .value_kind:     by_value
    .group_segment_fixed_size: 8192
    .kernarg_segment_align: 8
    .kernarg_segment_size: 100
    .language:       OpenCL C
    .language_version:
      - 2
      - 0
    .max_flat_workgroup_size: 256
    .name:           _ZL29rocblas_internal_gemmt_kernelIiLi16ELi32ELi8ELc67ELc67ELc76ELb1ELb1E19rocblas_complex_numIdEPKS1_PKS3_PKPS1_EviT_T9_T10_S9_lSB_S9_lSA_T11_S9_li
    .private_segment_fixed_size: 0
    .sgpr_count:     43
    .sgpr_spill_count: 0
    .symbol:         _ZL29rocblas_internal_gemmt_kernelIiLi16ELi32ELi8ELc67ELc67ELc76ELb1ELb1E19rocblas_complex_numIdEPKS1_PKS3_PKPS1_EviT_T9_T10_S9_lSB_S9_lSA_T11_S9_li.kd
    .uniform_work_group_size: 1
    .uses_dynamic_stack: false
    .vgpr_count:     132
    .vgpr_spill_count: 0
    .wavefront_size: 32
  - .args:
      - .offset:         0
        .size:           4
        .value_kind:     by_value
      - .offset:         4
        .size:           4
        .value_kind:     by_value
      - .offset:         8
        .size:           16
        .value_kind:     by_value
      - .address_space:  global
        .offset:         24
        .size:           8
        .value_kind:     global_buffer
      - .offset:         32
        .size:           4
        .value_kind:     by_value
      - .offset:         40
        .size:           8
        .value_kind:     by_value
      - .address_space:  global
        .offset:         48
        .size:           8
        .value_kind:     global_buffer
      - .offset:         56
        .size:           4
        .value_kind:     by_value
      - .offset:         64
        .size:           8
        .value_kind:     by_value
      - .offset:         72
        .size:           16
        .value_kind:     by_value
      - .address_space:  global
        .offset:         88
        .size:           8
        .value_kind:     global_buffer
      - .offset:         96
        .size:           4
        .value_kind:     by_value
      - .offset:         104
        .size:           8
        .value_kind:     by_value
      - .offset:         112
        .size:           4
        .value_kind:     by_value
    .group_segment_fixed_size: 8192
    .kernarg_segment_align: 8
    .kernarg_segment_size: 116
    .language:       OpenCL C
    .language_version:
      - 2
      - 0
    .max_flat_workgroup_size: 256
    .name:           _ZL29rocblas_internal_gemmt_kernelIiLi16ELi32ELi8ELc78ELc78ELc85ELb0ELb0E19rocblas_complex_numIdES1_PKPKS1_PKPS1_EviT_T9_T10_S9_lSB_S9_lSA_T11_S9_li
    .private_segment_fixed_size: 0
    .sgpr_count:     43
    .sgpr_spill_count: 0
    .symbol:         _ZL29rocblas_internal_gemmt_kernelIiLi16ELi32ELi8ELc78ELc78ELc85ELb0ELb0E19rocblas_complex_numIdES1_PKPKS1_PKPS1_EviT_T9_T10_S9_lSB_S9_lSA_T11_S9_li.kd
    .uniform_work_group_size: 1
    .uses_dynamic_stack: false
    .vgpr_count:     132
    .vgpr_spill_count: 0
    .wavefront_size: 32
  - .args:
      - .offset:         0
        .size:           4
        .value_kind:     by_value
      - .offset:         4
        .size:           4
        .value_kind:     by_value
      - .offset:         8
        .size:           16
        .value_kind:     by_value
      - .address_space:  global
        .offset:         24
        .size:           8
        .value_kind:     global_buffer
      - .offset:         32
        .size:           4
        .value_kind:     by_value
      - .offset:         40
        .size:           8
        .value_kind:     by_value
      - .address_space:  global
        .offset:         48
        .size:           8
        .value_kind:     global_buffer
      - .offset:         56
        .size:           4
        .value_kind:     by_value
      - .offset:         64
        .size:           8
        .value_kind:     by_value
      - .offset:         72
        .size:           16
        .value_kind:     by_value
      - .address_space:  global
        .offset:         88
        .size:           8
        .value_kind:     global_buffer
      - .offset:         96
        .size:           4
        .value_kind:     by_value
      - .offset:         104
        .size:           8
        .value_kind:     by_value
      - .offset:         112
        .size:           4
        .value_kind:     by_value
    .group_segment_fixed_size: 8192
    .kernarg_segment_align: 8
    .kernarg_segment_size: 116
    .language:       OpenCL C
    .language_version:
      - 2
      - 0
    .max_flat_workgroup_size: 256
    .name:           _ZL29rocblas_internal_gemmt_kernelIiLi16ELi32ELi8ELc78ELc84ELc85ELb0ELb0E19rocblas_complex_numIdES1_PKPKS1_PKPS1_EviT_T9_T10_S9_lSB_S9_lSA_T11_S9_li
    .private_segment_fixed_size: 0
    .sgpr_count:     43
    .sgpr_spill_count: 0
    .symbol:         _ZL29rocblas_internal_gemmt_kernelIiLi16ELi32ELi8ELc78ELc84ELc85ELb0ELb0E19rocblas_complex_numIdES1_PKPKS1_PKPS1_EviT_T9_T10_S9_lSB_S9_lSA_T11_S9_li.kd
    .uniform_work_group_size: 1
    .uses_dynamic_stack: false
    .vgpr_count:     132
    .vgpr_spill_count: 0
    .wavefront_size: 32
  - .args:
      - .offset:         0
        .size:           4
        .value_kind:     by_value
      - .offset:         4
        .size:           4
        .value_kind:     by_value
      - .offset:         8
        .size:           16
        .value_kind:     by_value
      - .address_space:  global
        .offset:         24
        .size:           8
        .value_kind:     global_buffer
      - .offset:         32
        .size:           4
        .value_kind:     by_value
      - .offset:         40
        .size:           8
        .value_kind:     by_value
      - .address_space:  global
        .offset:         48
        .size:           8
        .value_kind:     global_buffer
      - .offset:         56
        .size:           4
        .value_kind:     by_value
      - .offset:         64
        .size:           8
        .value_kind:     by_value
      - .offset:         72
        .size:           16
        .value_kind:     by_value
      - .address_space:  global
        .offset:         88
        .size:           8
        .value_kind:     global_buffer
      - .offset:         96
        .size:           4
        .value_kind:     by_value
      - .offset:         104
        .size:           8
        .value_kind:     by_value
      - .offset:         112
        .size:           4
        .value_kind:     by_value
    .group_segment_fixed_size: 8192
    .kernarg_segment_align: 8
    .kernarg_segment_size: 116
    .language:       OpenCL C
    .language_version:
      - 2
      - 0
    .max_flat_workgroup_size: 256
    .name:           _ZL29rocblas_internal_gemmt_kernelIiLi16ELi32ELi8ELc78ELc67ELc85ELb0ELb1E19rocblas_complex_numIdES1_PKPKS1_PKPS1_EviT_T9_T10_S9_lSB_S9_lSA_T11_S9_li
    .private_segment_fixed_size: 0
    .sgpr_count:     43
    .sgpr_spill_count: 0
    .symbol:         _ZL29rocblas_internal_gemmt_kernelIiLi16ELi32ELi8ELc78ELc67ELc85ELb0ELb1E19rocblas_complex_numIdES1_PKPKS1_PKPS1_EviT_T9_T10_S9_lSB_S9_lSA_T11_S9_li.kd
    .uniform_work_group_size: 1
    .uses_dynamic_stack: false
    .vgpr_count:     132
    .vgpr_spill_count: 0
    .wavefront_size: 32
  - .args:
      - .offset:         0
        .size:           4
        .value_kind:     by_value
      - .offset:         4
        .size:           4
        .value_kind:     by_value
      - .offset:         8
        .size:           16
        .value_kind:     by_value
      - .address_space:  global
        .offset:         24
        .size:           8
        .value_kind:     global_buffer
      - .offset:         32
        .size:           4
        .value_kind:     by_value
      - .offset:         40
        .size:           8
        .value_kind:     by_value
      - .address_space:  global
        .offset:         48
        .size:           8
        .value_kind:     global_buffer
      - .offset:         56
        .size:           4
        .value_kind:     by_value
      - .offset:         64
        .size:           8
        .value_kind:     by_value
      - .offset:         72
        .size:           16
        .value_kind:     by_value
      - .address_space:  global
        .offset:         88
        .size:           8
        .value_kind:     global_buffer
      - .offset:         96
        .size:           4
        .value_kind:     by_value
      - .offset:         104
        .size:           8
        .value_kind:     by_value
      - .offset:         112
        .size:           4
        .value_kind:     by_value
    .group_segment_fixed_size: 8192
    .kernarg_segment_align: 8
    .kernarg_segment_size: 116
    .language:       OpenCL C
    .language_version:
      - 2
      - 0
    .max_flat_workgroup_size: 256
    .name:           _ZL29rocblas_internal_gemmt_kernelIiLi16ELi32ELi8ELc84ELc78ELc85ELb0ELb0E19rocblas_complex_numIdES1_PKPKS1_PKPS1_EviT_T9_T10_S9_lSB_S9_lSA_T11_S9_li
    .private_segment_fixed_size: 0
    .sgpr_count:     43
    .sgpr_spill_count: 0
    .symbol:         _ZL29rocblas_internal_gemmt_kernelIiLi16ELi32ELi8ELc84ELc78ELc85ELb0ELb0E19rocblas_complex_numIdES1_PKPKS1_PKPS1_EviT_T9_T10_S9_lSB_S9_lSA_T11_S9_li.kd
    .uniform_work_group_size: 1
    .uses_dynamic_stack: false
    .vgpr_count:     132
    .vgpr_spill_count: 0
    .wavefront_size: 32
  - .args:
      - .offset:         0
        .size:           4
        .value_kind:     by_value
      - .offset:         4
        .size:           4
        .value_kind:     by_value
      - .offset:         8
        .size:           16
        .value_kind:     by_value
      - .address_space:  global
        .offset:         24
        .size:           8
        .value_kind:     global_buffer
      - .offset:         32
        .size:           4
        .value_kind:     by_value
      - .offset:         40
        .size:           8
        .value_kind:     by_value
      - .address_space:  global
        .offset:         48
        .size:           8
        .value_kind:     global_buffer
      - .offset:         56
        .size:           4
        .value_kind:     by_value
      - .offset:         64
        .size:           8
        .value_kind:     by_value
      - .offset:         72
        .size:           16
        .value_kind:     by_value
      - .address_space:  global
        .offset:         88
        .size:           8
        .value_kind:     global_buffer
      - .offset:         96
        .size:           4
        .value_kind:     by_value
      - .offset:         104
        .size:           8
        .value_kind:     by_value
      - .offset:         112
        .size:           4
        .value_kind:     by_value
    .group_segment_fixed_size: 8192
    .kernarg_segment_align: 8
    .kernarg_segment_size: 116
    .language:       OpenCL C
    .language_version:
      - 2
      - 0
    .max_flat_workgroup_size: 256
    .name:           _ZL29rocblas_internal_gemmt_kernelIiLi16ELi32ELi8ELc84ELc84ELc85ELb0ELb0E19rocblas_complex_numIdES1_PKPKS1_PKPS1_EviT_T9_T10_S9_lSB_S9_lSA_T11_S9_li
    .private_segment_fixed_size: 0
    .sgpr_count:     43
    .sgpr_spill_count: 0
    .symbol:         _ZL29rocblas_internal_gemmt_kernelIiLi16ELi32ELi8ELc84ELc84ELc85ELb0ELb0E19rocblas_complex_numIdES1_PKPKS1_PKPS1_EviT_T9_T10_S9_lSB_S9_lSA_T11_S9_li.kd
    .uniform_work_group_size: 1
    .uses_dynamic_stack: false
    .vgpr_count:     132
    .vgpr_spill_count: 0
    .wavefront_size: 32
  - .args:
      - .offset:         0
        .size:           4
        .value_kind:     by_value
      - .offset:         4
        .size:           4
        .value_kind:     by_value
      - .offset:         8
        .size:           16
        .value_kind:     by_value
      - .address_space:  global
        .offset:         24
        .size:           8
        .value_kind:     global_buffer
      - .offset:         32
        .size:           4
        .value_kind:     by_value
      - .offset:         40
        .size:           8
        .value_kind:     by_value
      - .address_space:  global
        .offset:         48
        .size:           8
        .value_kind:     global_buffer
      - .offset:         56
        .size:           4
        .value_kind:     by_value
      - .offset:         64
        .size:           8
        .value_kind:     by_value
      - .offset:         72
        .size:           16
        .value_kind:     by_value
      - .address_space:  global
        .offset:         88
        .size:           8
        .value_kind:     global_buffer
      - .offset:         96
        .size:           4
        .value_kind:     by_value
      - .offset:         104
        .size:           8
        .value_kind:     by_value
      - .offset:         112
        .size:           4
        .value_kind:     by_value
    .group_segment_fixed_size: 8192
    .kernarg_segment_align: 8
    .kernarg_segment_size: 116
    .language:       OpenCL C
    .language_version:
      - 2
      - 0
    .max_flat_workgroup_size: 256
    .name:           _ZL29rocblas_internal_gemmt_kernelIiLi16ELi32ELi8ELc84ELc67ELc85ELb0ELb1E19rocblas_complex_numIdES1_PKPKS1_PKPS1_EviT_T9_T10_S9_lSB_S9_lSA_T11_S9_li
    .private_segment_fixed_size: 0
    .sgpr_count:     43
    .sgpr_spill_count: 0
    .symbol:         _ZL29rocblas_internal_gemmt_kernelIiLi16ELi32ELi8ELc84ELc67ELc85ELb0ELb1E19rocblas_complex_numIdES1_PKPKS1_PKPS1_EviT_T9_T10_S9_lSB_S9_lSA_T11_S9_li.kd
    .uniform_work_group_size: 1
    .uses_dynamic_stack: false
    .vgpr_count:     132
    .vgpr_spill_count: 0
    .wavefront_size: 32
  - .args:
      - .offset:         0
        .size:           4
        .value_kind:     by_value
      - .offset:         4
        .size:           4
        .value_kind:     by_value
      - .offset:         8
        .size:           16
        .value_kind:     by_value
      - .address_space:  global
        .offset:         24
        .size:           8
        .value_kind:     global_buffer
      - .offset:         32
        .size:           4
        .value_kind:     by_value
      - .offset:         40
        .size:           8
        .value_kind:     by_value
      - .address_space:  global
        .offset:         48
        .size:           8
        .value_kind:     global_buffer
      - .offset:         56
        .size:           4
        .value_kind:     by_value
      - .offset:         64
        .size:           8
        .value_kind:     by_value
      - .offset:         72
        .size:           16
        .value_kind:     by_value
      - .address_space:  global
        .offset:         88
        .size:           8
        .value_kind:     global_buffer
      - .offset:         96
        .size:           4
        .value_kind:     by_value
      - .offset:         104
        .size:           8
        .value_kind:     by_value
      - .offset:         112
        .size:           4
        .value_kind:     by_value
    .group_segment_fixed_size: 8192
    .kernarg_segment_align: 8
    .kernarg_segment_size: 116
    .language:       OpenCL C
    .language_version:
      - 2
      - 0
    .max_flat_workgroup_size: 256
    .name:           _ZL29rocblas_internal_gemmt_kernelIiLi16ELi32ELi8ELc67ELc78ELc85ELb1ELb0E19rocblas_complex_numIdES1_PKPKS1_PKPS1_EviT_T9_T10_S9_lSB_S9_lSA_T11_S9_li
    .private_segment_fixed_size: 0
    .sgpr_count:     41
    .sgpr_spill_count: 0
    .symbol:         _ZL29rocblas_internal_gemmt_kernelIiLi16ELi32ELi8ELc67ELc78ELc85ELb1ELb0E19rocblas_complex_numIdES1_PKPKS1_PKPS1_EviT_T9_T10_S9_lSB_S9_lSA_T11_S9_li.kd
    .uniform_work_group_size: 1
    .uses_dynamic_stack: false
    .vgpr_count:     132
    .vgpr_spill_count: 0
    .wavefront_size: 32
  - .args:
      - .offset:         0
        .size:           4
        .value_kind:     by_value
      - .offset:         4
        .size:           4
        .value_kind:     by_value
      - .offset:         8
        .size:           16
        .value_kind:     by_value
      - .address_space:  global
        .offset:         24
        .size:           8
        .value_kind:     global_buffer
      - .offset:         32
        .size:           4
        .value_kind:     by_value
      - .offset:         40
        .size:           8
        .value_kind:     by_value
      - .address_space:  global
        .offset:         48
        .size:           8
        .value_kind:     global_buffer
      - .offset:         56
        .size:           4
        .value_kind:     by_value
      - .offset:         64
        .size:           8
        .value_kind:     by_value
      - .offset:         72
        .size:           16
        .value_kind:     by_value
      - .address_space:  global
        .offset:         88
        .size:           8
        .value_kind:     global_buffer
      - .offset:         96
        .size:           4
        .value_kind:     by_value
      - .offset:         104
        .size:           8
        .value_kind:     by_value
      - .offset:         112
        .size:           4
        .value_kind:     by_value
    .group_segment_fixed_size: 8192
    .kernarg_segment_align: 8
    .kernarg_segment_size: 116
    .language:       OpenCL C
    .language_version:
      - 2
      - 0
    .max_flat_workgroup_size: 256
    .name:           _ZL29rocblas_internal_gemmt_kernelIiLi16ELi32ELi8ELc67ELc84ELc85ELb1ELb0E19rocblas_complex_numIdES1_PKPKS1_PKPS1_EviT_T9_T10_S9_lSB_S9_lSA_T11_S9_li
    .private_segment_fixed_size: 0
    .sgpr_count:     43
    .sgpr_spill_count: 0
    .symbol:         _ZL29rocblas_internal_gemmt_kernelIiLi16ELi32ELi8ELc67ELc84ELc85ELb1ELb0E19rocblas_complex_numIdES1_PKPKS1_PKPS1_EviT_T9_T10_S9_lSB_S9_lSA_T11_S9_li.kd
    .uniform_work_group_size: 1
    .uses_dynamic_stack: false
    .vgpr_count:     132
    .vgpr_spill_count: 0
    .wavefront_size: 32
  - .args:
      - .offset:         0
        .size:           4
        .value_kind:     by_value
      - .offset:         4
        .size:           4
        .value_kind:     by_value
      - .offset:         8
        .size:           16
        .value_kind:     by_value
      - .address_space:  global
        .offset:         24
        .size:           8
        .value_kind:     global_buffer
      - .offset:         32
        .size:           4
        .value_kind:     by_value
      - .offset:         40
        .size:           8
        .value_kind:     by_value
      - .address_space:  global
        .offset:         48
        .size:           8
        .value_kind:     global_buffer
      - .offset:         56
        .size:           4
        .value_kind:     by_value
      - .offset:         64
        .size:           8
        .value_kind:     by_value
      - .offset:         72
        .size:           16
        .value_kind:     by_value
      - .address_space:  global
        .offset:         88
        .size:           8
        .value_kind:     global_buffer
      - .offset:         96
        .size:           4
        .value_kind:     by_value
      - .offset:         104
        .size:           8
        .value_kind:     by_value
      - .offset:         112
        .size:           4
        .value_kind:     by_value
    .group_segment_fixed_size: 8192
    .kernarg_segment_align: 8
    .kernarg_segment_size: 116
    .language:       OpenCL C
    .language_version:
      - 2
      - 0
    .max_flat_workgroup_size: 256
    .name:           _ZL29rocblas_internal_gemmt_kernelIiLi16ELi32ELi8ELc67ELc67ELc85ELb1ELb1E19rocblas_complex_numIdES1_PKPKS1_PKPS1_EviT_T9_T10_S9_lSB_S9_lSA_T11_S9_li
    .private_segment_fixed_size: 0
    .sgpr_count:     43
    .sgpr_spill_count: 0
    .symbol:         _ZL29rocblas_internal_gemmt_kernelIiLi16ELi32ELi8ELc67ELc67ELc85ELb1ELb1E19rocblas_complex_numIdES1_PKPKS1_PKPS1_EviT_T9_T10_S9_lSB_S9_lSA_T11_S9_li.kd
    .uniform_work_group_size: 1
    .uses_dynamic_stack: false
    .vgpr_count:     132
    .vgpr_spill_count: 0
    .wavefront_size: 32
  - .args:
      - .offset:         0
        .size:           4
        .value_kind:     by_value
      - .offset:         4
        .size:           4
        .value_kind:     by_value
      - .offset:         8
        .size:           16
        .value_kind:     by_value
      - .address_space:  global
        .offset:         24
        .size:           8
        .value_kind:     global_buffer
      - .offset:         32
        .size:           4
        .value_kind:     by_value
      - .offset:         40
        .size:           8
        .value_kind:     by_value
      - .address_space:  global
        .offset:         48
        .size:           8
        .value_kind:     global_buffer
      - .offset:         56
        .size:           4
        .value_kind:     by_value
      - .offset:         64
        .size:           8
        .value_kind:     by_value
      - .offset:         72
        .size:           16
        .value_kind:     by_value
      - .address_space:  global
        .offset:         88
        .size:           8
        .value_kind:     global_buffer
      - .offset:         96
        .size:           4
        .value_kind:     by_value
      - .offset:         104
        .size:           8
        .value_kind:     by_value
      - .offset:         112
        .size:           4
        .value_kind:     by_value
    .group_segment_fixed_size: 8192
    .kernarg_segment_align: 8
    .kernarg_segment_size: 116
    .language:       OpenCL C
    .language_version:
      - 2
      - 0
    .max_flat_workgroup_size: 256
    .name:           _ZL29rocblas_internal_gemmt_kernelIiLi16ELi32ELi8ELc78ELc78ELc76ELb0ELb0E19rocblas_complex_numIdES1_PKPKS1_PKPS1_EviT_T9_T10_S9_lSB_S9_lSA_T11_S9_li
    .private_segment_fixed_size: 0
    .sgpr_count:     43
    .sgpr_spill_count: 0
    .symbol:         _ZL29rocblas_internal_gemmt_kernelIiLi16ELi32ELi8ELc78ELc78ELc76ELb0ELb0E19rocblas_complex_numIdES1_PKPKS1_PKPS1_EviT_T9_T10_S9_lSB_S9_lSA_T11_S9_li.kd
    .uniform_work_group_size: 1
    .uses_dynamic_stack: false
    .vgpr_count:     132
    .vgpr_spill_count: 0
    .wavefront_size: 32
  - .args:
      - .offset:         0
        .size:           4
        .value_kind:     by_value
      - .offset:         4
        .size:           4
        .value_kind:     by_value
      - .offset:         8
        .size:           16
        .value_kind:     by_value
      - .address_space:  global
        .offset:         24
        .size:           8
        .value_kind:     global_buffer
      - .offset:         32
        .size:           4
        .value_kind:     by_value
      - .offset:         40
        .size:           8
        .value_kind:     by_value
      - .address_space:  global
        .offset:         48
        .size:           8
        .value_kind:     global_buffer
      - .offset:         56
        .size:           4
        .value_kind:     by_value
      - .offset:         64
        .size:           8
        .value_kind:     by_value
      - .offset:         72
        .size:           16
        .value_kind:     by_value
      - .address_space:  global
        .offset:         88
        .size:           8
        .value_kind:     global_buffer
      - .offset:         96
        .size:           4
        .value_kind:     by_value
      - .offset:         104
        .size:           8
        .value_kind:     by_value
      - .offset:         112
        .size:           4
        .value_kind:     by_value
    .group_segment_fixed_size: 8192
    .kernarg_segment_align: 8
    .kernarg_segment_size: 116
    .language:       OpenCL C
    .language_version:
      - 2
      - 0
    .max_flat_workgroup_size: 256
    .name:           _ZL29rocblas_internal_gemmt_kernelIiLi16ELi32ELi8ELc78ELc84ELc76ELb0ELb0E19rocblas_complex_numIdES1_PKPKS1_PKPS1_EviT_T9_T10_S9_lSB_S9_lSA_T11_S9_li
    .private_segment_fixed_size: 0
    .sgpr_count:     43
    .sgpr_spill_count: 0
    .symbol:         _ZL29rocblas_internal_gemmt_kernelIiLi16ELi32ELi8ELc78ELc84ELc76ELb0ELb0E19rocblas_complex_numIdES1_PKPKS1_PKPS1_EviT_T9_T10_S9_lSB_S9_lSA_T11_S9_li.kd
    .uniform_work_group_size: 1
    .uses_dynamic_stack: false
    .vgpr_count:     132
    .vgpr_spill_count: 0
    .wavefront_size: 32
  - .args:
      - .offset:         0
        .size:           4
        .value_kind:     by_value
      - .offset:         4
        .size:           4
        .value_kind:     by_value
      - .offset:         8
        .size:           16
        .value_kind:     by_value
      - .address_space:  global
        .offset:         24
        .size:           8
        .value_kind:     global_buffer
      - .offset:         32
        .size:           4
        .value_kind:     by_value
      - .offset:         40
        .size:           8
        .value_kind:     by_value
      - .address_space:  global
        .offset:         48
        .size:           8
        .value_kind:     global_buffer
      - .offset:         56
        .size:           4
        .value_kind:     by_value
      - .offset:         64
        .size:           8
        .value_kind:     by_value
      - .offset:         72
        .size:           16
        .value_kind:     by_value
      - .address_space:  global
        .offset:         88
        .size:           8
        .value_kind:     global_buffer
      - .offset:         96
        .size:           4
        .value_kind:     by_value
      - .offset:         104
        .size:           8
        .value_kind:     by_value
      - .offset:         112
        .size:           4
        .value_kind:     by_value
    .group_segment_fixed_size: 8192
    .kernarg_segment_align: 8
    .kernarg_segment_size: 116
    .language:       OpenCL C
    .language_version:
      - 2
      - 0
    .max_flat_workgroup_size: 256
    .name:           _ZL29rocblas_internal_gemmt_kernelIiLi16ELi32ELi8ELc78ELc67ELc76ELb0ELb1E19rocblas_complex_numIdES1_PKPKS1_PKPS1_EviT_T9_T10_S9_lSB_S9_lSA_T11_S9_li
    .private_segment_fixed_size: 0
    .sgpr_count:     43
    .sgpr_spill_count: 0
    .symbol:         _ZL29rocblas_internal_gemmt_kernelIiLi16ELi32ELi8ELc78ELc67ELc76ELb0ELb1E19rocblas_complex_numIdES1_PKPKS1_PKPS1_EviT_T9_T10_S9_lSB_S9_lSA_T11_S9_li.kd
    .uniform_work_group_size: 1
    .uses_dynamic_stack: false
    .vgpr_count:     132
    .vgpr_spill_count: 0
    .wavefront_size: 32
  - .args:
      - .offset:         0
        .size:           4
        .value_kind:     by_value
      - .offset:         4
        .size:           4
        .value_kind:     by_value
      - .offset:         8
        .size:           16
        .value_kind:     by_value
      - .address_space:  global
        .offset:         24
        .size:           8
        .value_kind:     global_buffer
      - .offset:         32
        .size:           4
        .value_kind:     by_value
      - .offset:         40
        .size:           8
        .value_kind:     by_value
      - .address_space:  global
        .offset:         48
        .size:           8
        .value_kind:     global_buffer
      - .offset:         56
        .size:           4
        .value_kind:     by_value
      - .offset:         64
        .size:           8
        .value_kind:     by_value
      - .offset:         72
        .size:           16
        .value_kind:     by_value
      - .address_space:  global
        .offset:         88
        .size:           8
        .value_kind:     global_buffer
      - .offset:         96
        .size:           4
        .value_kind:     by_value
      - .offset:         104
        .size:           8
        .value_kind:     by_value
      - .offset:         112
        .size:           4
        .value_kind:     by_value
    .group_segment_fixed_size: 8192
    .kernarg_segment_align: 8
    .kernarg_segment_size: 116
    .language:       OpenCL C
    .language_version:
      - 2
      - 0
    .max_flat_workgroup_size: 256
    .name:           _ZL29rocblas_internal_gemmt_kernelIiLi16ELi32ELi8ELc84ELc78ELc76ELb0ELb0E19rocblas_complex_numIdES1_PKPKS1_PKPS1_EviT_T9_T10_S9_lSB_S9_lSA_T11_S9_li
    .private_segment_fixed_size: 0
    .sgpr_count:     43
    .sgpr_spill_count: 0
    .symbol:         _ZL29rocblas_internal_gemmt_kernelIiLi16ELi32ELi8ELc84ELc78ELc76ELb0ELb0E19rocblas_complex_numIdES1_PKPKS1_PKPS1_EviT_T9_T10_S9_lSB_S9_lSA_T11_S9_li.kd
    .uniform_work_group_size: 1
    .uses_dynamic_stack: false
    .vgpr_count:     132
    .vgpr_spill_count: 0
    .wavefront_size: 32
  - .args:
      - .offset:         0
        .size:           4
        .value_kind:     by_value
      - .offset:         4
        .size:           4
        .value_kind:     by_value
      - .offset:         8
        .size:           16
        .value_kind:     by_value
      - .address_space:  global
        .offset:         24
        .size:           8
        .value_kind:     global_buffer
      - .offset:         32
        .size:           4
        .value_kind:     by_value
      - .offset:         40
        .size:           8
        .value_kind:     by_value
      - .address_space:  global
        .offset:         48
        .size:           8
        .value_kind:     global_buffer
      - .offset:         56
        .size:           4
        .value_kind:     by_value
      - .offset:         64
        .size:           8
        .value_kind:     by_value
      - .offset:         72
        .size:           16
        .value_kind:     by_value
      - .address_space:  global
        .offset:         88
        .size:           8
        .value_kind:     global_buffer
      - .offset:         96
        .size:           4
        .value_kind:     by_value
      - .offset:         104
        .size:           8
        .value_kind:     by_value
      - .offset:         112
        .size:           4
        .value_kind:     by_value
    .group_segment_fixed_size: 8192
    .kernarg_segment_align: 8
    .kernarg_segment_size: 116
    .language:       OpenCL C
    .language_version:
      - 2
      - 0
    .max_flat_workgroup_size: 256
    .name:           _ZL29rocblas_internal_gemmt_kernelIiLi16ELi32ELi8ELc84ELc84ELc76ELb0ELb0E19rocblas_complex_numIdES1_PKPKS1_PKPS1_EviT_T9_T10_S9_lSB_S9_lSA_T11_S9_li
    .private_segment_fixed_size: 0
    .sgpr_count:     43
    .sgpr_spill_count: 0
    .symbol:         _ZL29rocblas_internal_gemmt_kernelIiLi16ELi32ELi8ELc84ELc84ELc76ELb0ELb0E19rocblas_complex_numIdES1_PKPKS1_PKPS1_EviT_T9_T10_S9_lSB_S9_lSA_T11_S9_li.kd
    .uniform_work_group_size: 1
    .uses_dynamic_stack: false
    .vgpr_count:     132
    .vgpr_spill_count: 0
    .wavefront_size: 32
  - .args:
      - .offset:         0
        .size:           4
        .value_kind:     by_value
      - .offset:         4
        .size:           4
        .value_kind:     by_value
      - .offset:         8
        .size:           16
        .value_kind:     by_value
      - .address_space:  global
        .offset:         24
        .size:           8
        .value_kind:     global_buffer
      - .offset:         32
        .size:           4
        .value_kind:     by_value
      - .offset:         40
        .size:           8
        .value_kind:     by_value
      - .address_space:  global
        .offset:         48
        .size:           8
        .value_kind:     global_buffer
      - .offset:         56
        .size:           4
        .value_kind:     by_value
      - .offset:         64
        .size:           8
        .value_kind:     by_value
      - .offset:         72
        .size:           16
        .value_kind:     by_value
      - .address_space:  global
        .offset:         88
        .size:           8
        .value_kind:     global_buffer
      - .offset:         96
        .size:           4
        .value_kind:     by_value
      - .offset:         104
        .size:           8
        .value_kind:     by_value
      - .offset:         112
        .size:           4
        .value_kind:     by_value
    .group_segment_fixed_size: 8192
    .kernarg_segment_align: 8
    .kernarg_segment_size: 116
    .language:       OpenCL C
    .language_version:
      - 2
      - 0
    .max_flat_workgroup_size: 256
    .name:           _ZL29rocblas_internal_gemmt_kernelIiLi16ELi32ELi8ELc84ELc67ELc76ELb0ELb1E19rocblas_complex_numIdES1_PKPKS1_PKPS1_EviT_T9_T10_S9_lSB_S9_lSA_T11_S9_li
    .private_segment_fixed_size: 0
    .sgpr_count:     43
    .sgpr_spill_count: 0
    .symbol:         _ZL29rocblas_internal_gemmt_kernelIiLi16ELi32ELi8ELc84ELc67ELc76ELb0ELb1E19rocblas_complex_numIdES1_PKPKS1_PKPS1_EviT_T9_T10_S9_lSB_S9_lSA_T11_S9_li.kd
    .uniform_work_group_size: 1
    .uses_dynamic_stack: false
    .vgpr_count:     132
    .vgpr_spill_count: 0
    .wavefront_size: 32
  - .args:
      - .offset:         0
        .size:           4
        .value_kind:     by_value
      - .offset:         4
        .size:           4
        .value_kind:     by_value
      - .offset:         8
        .size:           16
        .value_kind:     by_value
      - .address_space:  global
        .offset:         24
        .size:           8
        .value_kind:     global_buffer
      - .offset:         32
        .size:           4
        .value_kind:     by_value
      - .offset:         40
        .size:           8
        .value_kind:     by_value
      - .address_space:  global
        .offset:         48
        .size:           8
        .value_kind:     global_buffer
      - .offset:         56
        .size:           4
        .value_kind:     by_value
      - .offset:         64
        .size:           8
        .value_kind:     by_value
      - .offset:         72
        .size:           16
        .value_kind:     by_value
      - .address_space:  global
        .offset:         88
        .size:           8
        .value_kind:     global_buffer
      - .offset:         96
        .size:           4
        .value_kind:     by_value
      - .offset:         104
        .size:           8
        .value_kind:     by_value
      - .offset:         112
        .size:           4
        .value_kind:     by_value
    .group_segment_fixed_size: 8192
    .kernarg_segment_align: 8
    .kernarg_segment_size: 116
    .language:       OpenCL C
    .language_version:
      - 2
      - 0
    .max_flat_workgroup_size: 256
    .name:           _ZL29rocblas_internal_gemmt_kernelIiLi16ELi32ELi8ELc67ELc78ELc76ELb1ELb0E19rocblas_complex_numIdES1_PKPKS1_PKPS1_EviT_T9_T10_S9_lSB_S9_lSA_T11_S9_li
    .private_segment_fixed_size: 0
    .sgpr_count:     41
    .sgpr_spill_count: 0
    .symbol:         _ZL29rocblas_internal_gemmt_kernelIiLi16ELi32ELi8ELc67ELc78ELc76ELb1ELb0E19rocblas_complex_numIdES1_PKPKS1_PKPS1_EviT_T9_T10_S9_lSB_S9_lSA_T11_S9_li.kd
    .uniform_work_group_size: 1
    .uses_dynamic_stack: false
    .vgpr_count:     132
    .vgpr_spill_count: 0
    .wavefront_size: 32
  - .args:
      - .offset:         0
        .size:           4
        .value_kind:     by_value
      - .offset:         4
        .size:           4
        .value_kind:     by_value
      - .offset:         8
        .size:           16
        .value_kind:     by_value
      - .address_space:  global
        .offset:         24
        .size:           8
        .value_kind:     global_buffer
      - .offset:         32
        .size:           4
        .value_kind:     by_value
      - .offset:         40
        .size:           8
        .value_kind:     by_value
      - .address_space:  global
        .offset:         48
        .size:           8
        .value_kind:     global_buffer
      - .offset:         56
        .size:           4
        .value_kind:     by_value
      - .offset:         64
        .size:           8
        .value_kind:     by_value
      - .offset:         72
        .size:           16
        .value_kind:     by_value
      - .address_space:  global
        .offset:         88
        .size:           8
        .value_kind:     global_buffer
      - .offset:         96
        .size:           4
        .value_kind:     by_value
      - .offset:         104
        .size:           8
        .value_kind:     by_value
      - .offset:         112
        .size:           4
        .value_kind:     by_value
    .group_segment_fixed_size: 8192
    .kernarg_segment_align: 8
    .kernarg_segment_size: 116
    .language:       OpenCL C
    .language_version:
      - 2
      - 0
    .max_flat_workgroup_size: 256
    .name:           _ZL29rocblas_internal_gemmt_kernelIiLi16ELi32ELi8ELc67ELc84ELc76ELb1ELb0E19rocblas_complex_numIdES1_PKPKS1_PKPS1_EviT_T9_T10_S9_lSB_S9_lSA_T11_S9_li
    .private_segment_fixed_size: 0
    .sgpr_count:     43
    .sgpr_spill_count: 0
    .symbol:         _ZL29rocblas_internal_gemmt_kernelIiLi16ELi32ELi8ELc67ELc84ELc76ELb1ELb0E19rocblas_complex_numIdES1_PKPKS1_PKPS1_EviT_T9_T10_S9_lSB_S9_lSA_T11_S9_li.kd
    .uniform_work_group_size: 1
    .uses_dynamic_stack: false
    .vgpr_count:     132
    .vgpr_spill_count: 0
    .wavefront_size: 32
  - .args:
      - .offset:         0
        .size:           4
        .value_kind:     by_value
      - .offset:         4
        .size:           4
        .value_kind:     by_value
      - .offset:         8
        .size:           16
        .value_kind:     by_value
      - .address_space:  global
        .offset:         24
        .size:           8
        .value_kind:     global_buffer
      - .offset:         32
        .size:           4
        .value_kind:     by_value
      - .offset:         40
        .size:           8
        .value_kind:     by_value
      - .address_space:  global
        .offset:         48
        .size:           8
        .value_kind:     global_buffer
      - .offset:         56
        .size:           4
        .value_kind:     by_value
      - .offset:         64
        .size:           8
        .value_kind:     by_value
      - .offset:         72
        .size:           16
        .value_kind:     by_value
      - .address_space:  global
        .offset:         88
        .size:           8
        .value_kind:     global_buffer
      - .offset:         96
        .size:           4
        .value_kind:     by_value
      - .offset:         104
        .size:           8
        .value_kind:     by_value
      - .offset:         112
        .size:           4
        .value_kind:     by_value
    .group_segment_fixed_size: 8192
    .kernarg_segment_align: 8
    .kernarg_segment_size: 116
    .language:       OpenCL C
    .language_version:
      - 2
      - 0
    .max_flat_workgroup_size: 256
    .name:           _ZL29rocblas_internal_gemmt_kernelIiLi16ELi32ELi8ELc67ELc67ELc76ELb1ELb1E19rocblas_complex_numIdES1_PKPKS1_PKPS1_EviT_T9_T10_S9_lSB_S9_lSA_T11_S9_li
    .private_segment_fixed_size: 0
    .sgpr_count:     43
    .sgpr_spill_count: 0
    .symbol:         _ZL29rocblas_internal_gemmt_kernelIiLi16ELi32ELi8ELc67ELc67ELc76ELb1ELb1E19rocblas_complex_numIdES1_PKPKS1_PKPS1_EviT_T9_T10_S9_lSB_S9_lSA_T11_S9_li.kd
    .uniform_work_group_size: 1
    .uses_dynamic_stack: false
    .vgpr_count:     132
    .vgpr_spill_count: 0
    .wavefront_size: 32
  - .args:
      - .offset:         0
        .size:           4
        .value_kind:     by_value
      - .offset:         8
        .size:           8
        .value_kind:     by_value
      - .address_space:  global
        .offset:         16
        .size:           8
        .value_kind:     global_buffer
      - .address_space:  global
        .offset:         24
        .size:           8
        .value_kind:     global_buffer
      - .offset:         32
        .size:           8
        .value_kind:     by_value
      - .offset:         40
        .size:           8
        .value_kind:     by_value
      - .address_space:  global
        .offset:         48
        .size:           8
        .value_kind:     global_buffer
      - .offset:         56
        .size:           8
        .value_kind:     by_value
      - .offset:         64
        .size:           8
        .value_kind:     by_value
      - .address_space:  global
        .offset:         72
        .size:           8
        .value_kind:     global_buffer
      - .address_space:  global
        .offset:         80
        .size:           8
        .value_kind:     global_buffer
      - .offset:         88
        .size:           8
        .value_kind:     by_value
      - .offset:         96
        .size:           8
        .value_kind:     by_value
      - .offset:         104
        .size:           4
        .value_kind:     by_value
    .group_segment_fixed_size: 2048
    .kernarg_segment_align: 8
    .kernarg_segment_size: 108
    .language:       OpenCL C
    .language_version:
      - 2
      - 0
    .max_flat_workgroup_size: 256
    .name:           _ZL29rocblas_internal_gemmt_kernelIlLi16ELi32ELi8ELc78ELc78ELc85ELb0ELb0EfPKfPKS1_PKPfEviT_T9_T10_S7_lS9_S7_lS8_T11_S7_li
    .private_segment_fixed_size: 0
    .sgpr_count:     38
    .sgpr_spill_count: 0
    .symbol:         _ZL29rocblas_internal_gemmt_kernelIlLi16ELi32ELi8ELc78ELc78ELc85ELb0ELb0EfPKfPKS1_PKPfEviT_T9_T10_S7_lS9_S7_lS8_T11_S7_li.kd
    .uniform_work_group_size: 1
    .uses_dynamic_stack: false
    .vgpr_count:     56
    .vgpr_spill_count: 0
    .wavefront_size: 32
  - .args:
      - .offset:         0
        .size:           4
        .value_kind:     by_value
      - .offset:         8
        .size:           8
        .value_kind:     by_value
      - .address_space:  global
        .offset:         16
        .size:           8
        .value_kind:     global_buffer
      - .address_space:  global
        .offset:         24
        .size:           8
        .value_kind:     global_buffer
      - .offset:         32
        .size:           8
        .value_kind:     by_value
      - .offset:         40
        .size:           8
        .value_kind:     by_value
      - .address_space:  global
        .offset:         48
        .size:           8
        .value_kind:     global_buffer
      - .offset:         56
        .size:           8
        .value_kind:     by_value
      - .offset:         64
        .size:           8
        .value_kind:     by_value
      - .address_space:  global
        .offset:         72
        .size:           8
        .value_kind:     global_buffer
      - .address_space:  global
        .offset:         80
        .size:           8
        .value_kind:     global_buffer
      - .offset:         88
        .size:           8
        .value_kind:     by_value
      - .offset:         96
        .size:           8
        .value_kind:     by_value
      - .offset:         104
        .size:           4
        .value_kind:     by_value
    .group_segment_fixed_size: 2048
    .kernarg_segment_align: 8
    .kernarg_segment_size: 108
    .language:       OpenCL C
    .language_version:
      - 2
      - 0
    .max_flat_workgroup_size: 256
    .name:           _ZL29rocblas_internal_gemmt_kernelIlLi16ELi32ELi8ELc78ELc84ELc85ELb0ELb0EfPKfPKS1_PKPfEviT_T9_T10_S7_lS9_S7_lS8_T11_S7_li
    .private_segment_fixed_size: 0
    .sgpr_count:     40
    .sgpr_spill_count: 0
    .symbol:         _ZL29rocblas_internal_gemmt_kernelIlLi16ELi32ELi8ELc78ELc84ELc85ELb0ELb0EfPKfPKS1_PKPfEviT_T9_T10_S7_lS9_S7_lS8_T11_S7_li.kd
    .uniform_work_group_size: 1
    .uses_dynamic_stack: false
    .vgpr_count:     56
    .vgpr_spill_count: 0
    .wavefront_size: 32
  - .args:
      - .offset:         0
        .size:           4
        .value_kind:     by_value
      - .offset:         8
        .size:           8
        .value_kind:     by_value
      - .address_space:  global
        .offset:         16
        .size:           8
        .value_kind:     global_buffer
      - .address_space:  global
        .offset:         24
        .size:           8
        .value_kind:     global_buffer
      - .offset:         32
        .size:           8
        .value_kind:     by_value
      - .offset:         40
        .size:           8
        .value_kind:     by_value
      - .address_space:  global
        .offset:         48
        .size:           8
        .value_kind:     global_buffer
      - .offset:         56
        .size:           8
        .value_kind:     by_value
      - .offset:         64
        .size:           8
        .value_kind:     by_value
      - .address_space:  global
        .offset:         72
        .size:           8
        .value_kind:     global_buffer
      - .address_space:  global
        .offset:         80
        .size:           8
        .value_kind:     global_buffer
      - .offset:         88
        .size:           8
        .value_kind:     by_value
      - .offset:         96
        .size:           8
        .value_kind:     by_value
      - .offset:         104
        .size:           4
        .value_kind:     by_value
    .group_segment_fixed_size: 2048
    .kernarg_segment_align: 8
    .kernarg_segment_size: 108
    .language:       OpenCL C
    .language_version:
      - 2
      - 0
    .max_flat_workgroup_size: 256
    .name:           _ZL29rocblas_internal_gemmt_kernelIlLi16ELi32ELi8ELc78ELc67ELc85ELb0ELb0EfPKfPKS1_PKPfEviT_T9_T10_S7_lS9_S7_lS8_T11_S7_li
    .private_segment_fixed_size: 0
    .sgpr_count:     40
    .sgpr_spill_count: 0
    .symbol:         _ZL29rocblas_internal_gemmt_kernelIlLi16ELi32ELi8ELc78ELc67ELc85ELb0ELb0EfPKfPKS1_PKPfEviT_T9_T10_S7_lS9_S7_lS8_T11_S7_li.kd
    .uniform_work_group_size: 1
    .uses_dynamic_stack: false
    .vgpr_count:     56
    .vgpr_spill_count: 0
    .wavefront_size: 32
  - .args:
      - .offset:         0
        .size:           4
        .value_kind:     by_value
      - .offset:         8
        .size:           8
        .value_kind:     by_value
      - .address_space:  global
        .offset:         16
        .size:           8
        .value_kind:     global_buffer
      - .address_space:  global
        .offset:         24
        .size:           8
        .value_kind:     global_buffer
      - .offset:         32
        .size:           8
        .value_kind:     by_value
      - .offset:         40
        .size:           8
        .value_kind:     by_value
      - .address_space:  global
        .offset:         48
        .size:           8
        .value_kind:     global_buffer
      - .offset:         56
        .size:           8
        .value_kind:     by_value
      - .offset:         64
        .size:           8
        .value_kind:     by_value
      - .address_space:  global
        .offset:         72
        .size:           8
        .value_kind:     global_buffer
      - .address_space:  global
        .offset:         80
        .size:           8
        .value_kind:     global_buffer
      - .offset:         88
        .size:           8
        .value_kind:     by_value
      - .offset:         96
        .size:           8
        .value_kind:     by_value
      - .offset:         104
        .size:           4
        .value_kind:     by_value
    .group_segment_fixed_size: 2048
    .kernarg_segment_align: 8
    .kernarg_segment_size: 108
    .language:       OpenCL C
    .language_version:
      - 2
      - 0
    .max_flat_workgroup_size: 256
    .name:           _ZL29rocblas_internal_gemmt_kernelIlLi16ELi32ELi8ELc84ELc78ELc85ELb0ELb0EfPKfPKS1_PKPfEviT_T9_T10_S7_lS9_S7_lS8_T11_S7_li
    .private_segment_fixed_size: 0
    .sgpr_count:     38
    .sgpr_spill_count: 0
    .symbol:         _ZL29rocblas_internal_gemmt_kernelIlLi16ELi32ELi8ELc84ELc78ELc85ELb0ELb0EfPKfPKS1_PKPfEviT_T9_T10_S7_lS9_S7_lS8_T11_S7_li.kd
    .uniform_work_group_size: 1
    .uses_dynamic_stack: false
    .vgpr_count:     56
    .vgpr_spill_count: 0
    .wavefront_size: 32
  - .args:
      - .offset:         0
        .size:           4
        .value_kind:     by_value
      - .offset:         8
        .size:           8
        .value_kind:     by_value
      - .address_space:  global
        .offset:         16
        .size:           8
        .value_kind:     global_buffer
      - .address_space:  global
        .offset:         24
        .size:           8
        .value_kind:     global_buffer
      - .offset:         32
        .size:           8
        .value_kind:     by_value
      - .offset:         40
        .size:           8
        .value_kind:     by_value
      - .address_space:  global
        .offset:         48
        .size:           8
        .value_kind:     global_buffer
      - .offset:         56
        .size:           8
        .value_kind:     by_value
      - .offset:         64
        .size:           8
        .value_kind:     by_value
      - .address_space:  global
        .offset:         72
        .size:           8
        .value_kind:     global_buffer
      - .address_space:  global
        .offset:         80
        .size:           8
        .value_kind:     global_buffer
      - .offset:         88
        .size:           8
        .value_kind:     by_value
      - .offset:         96
        .size:           8
        .value_kind:     by_value
      - .offset:         104
        .size:           4
        .value_kind:     by_value
    .group_segment_fixed_size: 2048
    .kernarg_segment_align: 8
    .kernarg_segment_size: 108
    .language:       OpenCL C
    .language_version:
      - 2
      - 0
    .max_flat_workgroup_size: 256
    .name:           _ZL29rocblas_internal_gemmt_kernelIlLi16ELi32ELi8ELc84ELc84ELc85ELb0ELb0EfPKfPKS1_PKPfEviT_T9_T10_S7_lS9_S7_lS8_T11_S7_li
    .private_segment_fixed_size: 0
    .sgpr_count:     40
    .sgpr_spill_count: 0
    .symbol:         _ZL29rocblas_internal_gemmt_kernelIlLi16ELi32ELi8ELc84ELc84ELc85ELb0ELb0EfPKfPKS1_PKPfEviT_T9_T10_S7_lS9_S7_lS8_T11_S7_li.kd
    .uniform_work_group_size: 1
    .uses_dynamic_stack: false
    .vgpr_count:     56
    .vgpr_spill_count: 0
    .wavefront_size: 32
  - .args:
      - .offset:         0
        .size:           4
        .value_kind:     by_value
      - .offset:         8
        .size:           8
        .value_kind:     by_value
      - .address_space:  global
        .offset:         16
        .size:           8
        .value_kind:     global_buffer
      - .address_space:  global
        .offset:         24
        .size:           8
        .value_kind:     global_buffer
      - .offset:         32
        .size:           8
        .value_kind:     by_value
      - .offset:         40
        .size:           8
        .value_kind:     by_value
      - .address_space:  global
        .offset:         48
        .size:           8
        .value_kind:     global_buffer
      - .offset:         56
        .size:           8
        .value_kind:     by_value
      - .offset:         64
        .size:           8
        .value_kind:     by_value
      - .address_space:  global
        .offset:         72
        .size:           8
        .value_kind:     global_buffer
      - .address_space:  global
        .offset:         80
        .size:           8
        .value_kind:     global_buffer
      - .offset:         88
        .size:           8
        .value_kind:     by_value
      - .offset:         96
        .size:           8
        .value_kind:     by_value
      - .offset:         104
        .size:           4
        .value_kind:     by_value
    .group_segment_fixed_size: 2048
    .kernarg_segment_align: 8
    .kernarg_segment_size: 108
    .language:       OpenCL C
    .language_version:
      - 2
      - 0
    .max_flat_workgroup_size: 256
    .name:           _ZL29rocblas_internal_gemmt_kernelIlLi16ELi32ELi8ELc84ELc67ELc85ELb0ELb0EfPKfPKS1_PKPfEviT_T9_T10_S7_lS9_S7_lS8_T11_S7_li
    .private_segment_fixed_size: 0
    .sgpr_count:     40
    .sgpr_spill_count: 0
    .symbol:         _ZL29rocblas_internal_gemmt_kernelIlLi16ELi32ELi8ELc84ELc67ELc85ELb0ELb0EfPKfPKS1_PKPfEviT_T9_T10_S7_lS9_S7_lS8_T11_S7_li.kd
    .uniform_work_group_size: 1
    .uses_dynamic_stack: false
    .vgpr_count:     56
    .vgpr_spill_count: 0
    .wavefront_size: 32
  - .args:
      - .offset:         0
        .size:           4
        .value_kind:     by_value
      - .offset:         8
        .size:           8
        .value_kind:     by_value
      - .address_space:  global
        .offset:         16
        .size:           8
        .value_kind:     global_buffer
      - .address_space:  global
        .offset:         24
        .size:           8
        .value_kind:     global_buffer
      - .offset:         32
        .size:           8
        .value_kind:     by_value
      - .offset:         40
        .size:           8
        .value_kind:     by_value
      - .address_space:  global
        .offset:         48
        .size:           8
        .value_kind:     global_buffer
      - .offset:         56
        .size:           8
        .value_kind:     by_value
      - .offset:         64
        .size:           8
        .value_kind:     by_value
      - .address_space:  global
        .offset:         72
        .size:           8
        .value_kind:     global_buffer
      - .address_space:  global
        .offset:         80
        .size:           8
        .value_kind:     global_buffer
      - .offset:         88
        .size:           8
        .value_kind:     by_value
      - .offset:         96
        .size:           8
        .value_kind:     by_value
      - .offset:         104
        .size:           4
        .value_kind:     by_value
    .group_segment_fixed_size: 2048
    .kernarg_segment_align: 8
    .kernarg_segment_size: 108
    .language:       OpenCL C
    .language_version:
      - 2
      - 0
    .max_flat_workgroup_size: 256
    .name:           _ZL29rocblas_internal_gemmt_kernelIlLi16ELi32ELi8ELc67ELc78ELc85ELb0ELb0EfPKfPKS1_PKPfEviT_T9_T10_S7_lS9_S7_lS8_T11_S7_li
    .private_segment_fixed_size: 0
    .sgpr_count:     38
    .sgpr_spill_count: 0
    .symbol:         _ZL29rocblas_internal_gemmt_kernelIlLi16ELi32ELi8ELc67ELc78ELc85ELb0ELb0EfPKfPKS1_PKPfEviT_T9_T10_S7_lS9_S7_lS8_T11_S7_li.kd
    .uniform_work_group_size: 1
    .uses_dynamic_stack: false
    .vgpr_count:     56
    .vgpr_spill_count: 0
    .wavefront_size: 32
  - .args:
      - .offset:         0
        .size:           4
        .value_kind:     by_value
      - .offset:         8
        .size:           8
        .value_kind:     by_value
      - .address_space:  global
        .offset:         16
        .size:           8
        .value_kind:     global_buffer
      - .address_space:  global
        .offset:         24
        .size:           8
        .value_kind:     global_buffer
      - .offset:         32
        .size:           8
        .value_kind:     by_value
      - .offset:         40
        .size:           8
        .value_kind:     by_value
      - .address_space:  global
        .offset:         48
        .size:           8
        .value_kind:     global_buffer
      - .offset:         56
        .size:           8
        .value_kind:     by_value
      - .offset:         64
        .size:           8
        .value_kind:     by_value
      - .address_space:  global
        .offset:         72
        .size:           8
        .value_kind:     global_buffer
      - .address_space:  global
        .offset:         80
        .size:           8
        .value_kind:     global_buffer
      - .offset:         88
        .size:           8
        .value_kind:     by_value
      - .offset:         96
        .size:           8
        .value_kind:     by_value
      - .offset:         104
        .size:           4
        .value_kind:     by_value
    .group_segment_fixed_size: 2048
    .kernarg_segment_align: 8
    .kernarg_segment_size: 108
    .language:       OpenCL C
    .language_version:
      - 2
      - 0
    .max_flat_workgroup_size: 256
    .name:           _ZL29rocblas_internal_gemmt_kernelIlLi16ELi32ELi8ELc67ELc84ELc85ELb0ELb0EfPKfPKS1_PKPfEviT_T9_T10_S7_lS9_S7_lS8_T11_S7_li
    .private_segment_fixed_size: 0
    .sgpr_count:     40
    .sgpr_spill_count: 0
    .symbol:         _ZL29rocblas_internal_gemmt_kernelIlLi16ELi32ELi8ELc67ELc84ELc85ELb0ELb0EfPKfPKS1_PKPfEviT_T9_T10_S7_lS9_S7_lS8_T11_S7_li.kd
    .uniform_work_group_size: 1
    .uses_dynamic_stack: false
    .vgpr_count:     56
    .vgpr_spill_count: 0
    .wavefront_size: 32
  - .args:
      - .offset:         0
        .size:           4
        .value_kind:     by_value
      - .offset:         8
        .size:           8
        .value_kind:     by_value
      - .address_space:  global
        .offset:         16
        .size:           8
        .value_kind:     global_buffer
      - .address_space:  global
        .offset:         24
        .size:           8
        .value_kind:     global_buffer
      - .offset:         32
        .size:           8
        .value_kind:     by_value
      - .offset:         40
        .size:           8
        .value_kind:     by_value
      - .address_space:  global
        .offset:         48
        .size:           8
        .value_kind:     global_buffer
      - .offset:         56
        .size:           8
        .value_kind:     by_value
      - .offset:         64
        .size:           8
        .value_kind:     by_value
      - .address_space:  global
        .offset:         72
        .size:           8
        .value_kind:     global_buffer
      - .address_space:  global
        .offset:         80
        .size:           8
        .value_kind:     global_buffer
      - .offset:         88
        .size:           8
        .value_kind:     by_value
      - .offset:         96
        .size:           8
        .value_kind:     by_value
      - .offset:         104
        .size:           4
        .value_kind:     by_value
    .group_segment_fixed_size: 2048
    .kernarg_segment_align: 8
    .kernarg_segment_size: 108
    .language:       OpenCL C
    .language_version:
      - 2
      - 0
    .max_flat_workgroup_size: 256
    .name:           _ZL29rocblas_internal_gemmt_kernelIlLi16ELi32ELi8ELc67ELc67ELc85ELb0ELb0EfPKfPKS1_PKPfEviT_T9_T10_S7_lS9_S7_lS8_T11_S7_li
    .private_segment_fixed_size: 0
    .sgpr_count:     40
    .sgpr_spill_count: 0
    .symbol:         _ZL29rocblas_internal_gemmt_kernelIlLi16ELi32ELi8ELc67ELc67ELc85ELb0ELb0EfPKfPKS1_PKPfEviT_T9_T10_S7_lS9_S7_lS8_T11_S7_li.kd
    .uniform_work_group_size: 1
    .uses_dynamic_stack: false
    .vgpr_count:     56
    .vgpr_spill_count: 0
    .wavefront_size: 32
  - .args:
      - .offset:         0
        .size:           4
        .value_kind:     by_value
      - .offset:         8
        .size:           8
        .value_kind:     by_value
      - .address_space:  global
        .offset:         16
        .size:           8
        .value_kind:     global_buffer
      - .address_space:  global
        .offset:         24
        .size:           8
        .value_kind:     global_buffer
      - .offset:         32
        .size:           8
        .value_kind:     by_value
      - .offset:         40
        .size:           8
        .value_kind:     by_value
      - .address_space:  global
        .offset:         48
        .size:           8
        .value_kind:     global_buffer
      - .offset:         56
        .size:           8
        .value_kind:     by_value
      - .offset:         64
        .size:           8
        .value_kind:     by_value
      - .address_space:  global
        .offset:         72
        .size:           8
        .value_kind:     global_buffer
      - .address_space:  global
        .offset:         80
        .size:           8
        .value_kind:     global_buffer
      - .offset:         88
        .size:           8
        .value_kind:     by_value
      - .offset:         96
        .size:           8
        .value_kind:     by_value
      - .offset:         104
        .size:           4
        .value_kind:     by_value
    .group_segment_fixed_size: 2048
    .kernarg_segment_align: 8
    .kernarg_segment_size: 108
    .language:       OpenCL C
    .language_version:
      - 2
      - 0
    .max_flat_workgroup_size: 256
    .name:           _ZL29rocblas_internal_gemmt_kernelIlLi16ELi32ELi8ELc78ELc78ELc76ELb0ELb0EfPKfPKS1_PKPfEviT_T9_T10_S7_lS9_S7_lS8_T11_S7_li
    .private_segment_fixed_size: 0
    .sgpr_count:     38
    .sgpr_spill_count: 0
    .symbol:         _ZL29rocblas_internal_gemmt_kernelIlLi16ELi32ELi8ELc78ELc78ELc76ELb0ELb0EfPKfPKS1_PKPfEviT_T9_T10_S7_lS9_S7_lS8_T11_S7_li.kd
    .uniform_work_group_size: 1
    .uses_dynamic_stack: false
    .vgpr_count:     56
    .vgpr_spill_count: 0
    .wavefront_size: 32
  - .args:
      - .offset:         0
        .size:           4
        .value_kind:     by_value
      - .offset:         8
        .size:           8
        .value_kind:     by_value
      - .address_space:  global
        .offset:         16
        .size:           8
        .value_kind:     global_buffer
      - .address_space:  global
        .offset:         24
        .size:           8
        .value_kind:     global_buffer
      - .offset:         32
        .size:           8
        .value_kind:     by_value
      - .offset:         40
        .size:           8
        .value_kind:     by_value
      - .address_space:  global
        .offset:         48
        .size:           8
        .value_kind:     global_buffer
      - .offset:         56
        .size:           8
        .value_kind:     by_value
      - .offset:         64
        .size:           8
        .value_kind:     by_value
      - .address_space:  global
        .offset:         72
        .size:           8
        .value_kind:     global_buffer
      - .address_space:  global
        .offset:         80
        .size:           8
        .value_kind:     global_buffer
      - .offset:         88
        .size:           8
        .value_kind:     by_value
      - .offset:         96
        .size:           8
        .value_kind:     by_value
      - .offset:         104
        .size:           4
        .value_kind:     by_value
    .group_segment_fixed_size: 2048
    .kernarg_segment_align: 8
    .kernarg_segment_size: 108
    .language:       OpenCL C
    .language_version:
      - 2
      - 0
    .max_flat_workgroup_size: 256
    .name:           _ZL29rocblas_internal_gemmt_kernelIlLi16ELi32ELi8ELc78ELc84ELc76ELb0ELb0EfPKfPKS1_PKPfEviT_T9_T10_S7_lS9_S7_lS8_T11_S7_li
    .private_segment_fixed_size: 0
    .sgpr_count:     40
    .sgpr_spill_count: 0
    .symbol:         _ZL29rocblas_internal_gemmt_kernelIlLi16ELi32ELi8ELc78ELc84ELc76ELb0ELb0EfPKfPKS1_PKPfEviT_T9_T10_S7_lS9_S7_lS8_T11_S7_li.kd
    .uniform_work_group_size: 1
    .uses_dynamic_stack: false
    .vgpr_count:     56
    .vgpr_spill_count: 0
    .wavefront_size: 32
  - .args:
      - .offset:         0
        .size:           4
        .value_kind:     by_value
      - .offset:         8
        .size:           8
        .value_kind:     by_value
      - .address_space:  global
        .offset:         16
        .size:           8
        .value_kind:     global_buffer
      - .address_space:  global
        .offset:         24
        .size:           8
        .value_kind:     global_buffer
      - .offset:         32
        .size:           8
        .value_kind:     by_value
      - .offset:         40
        .size:           8
        .value_kind:     by_value
      - .address_space:  global
        .offset:         48
        .size:           8
        .value_kind:     global_buffer
      - .offset:         56
        .size:           8
        .value_kind:     by_value
      - .offset:         64
        .size:           8
        .value_kind:     by_value
      - .address_space:  global
        .offset:         72
        .size:           8
        .value_kind:     global_buffer
      - .address_space:  global
        .offset:         80
        .size:           8
        .value_kind:     global_buffer
      - .offset:         88
        .size:           8
        .value_kind:     by_value
      - .offset:         96
        .size:           8
        .value_kind:     by_value
      - .offset:         104
        .size:           4
        .value_kind:     by_value
    .group_segment_fixed_size: 2048
    .kernarg_segment_align: 8
    .kernarg_segment_size: 108
    .language:       OpenCL C
    .language_version:
      - 2
      - 0
    .max_flat_workgroup_size: 256
    .name:           _ZL29rocblas_internal_gemmt_kernelIlLi16ELi32ELi8ELc78ELc67ELc76ELb0ELb0EfPKfPKS1_PKPfEviT_T9_T10_S7_lS9_S7_lS8_T11_S7_li
    .private_segment_fixed_size: 0
    .sgpr_count:     40
    .sgpr_spill_count: 0
    .symbol:         _ZL29rocblas_internal_gemmt_kernelIlLi16ELi32ELi8ELc78ELc67ELc76ELb0ELb0EfPKfPKS1_PKPfEviT_T9_T10_S7_lS9_S7_lS8_T11_S7_li.kd
    .uniform_work_group_size: 1
    .uses_dynamic_stack: false
    .vgpr_count:     56
    .vgpr_spill_count: 0
    .wavefront_size: 32
  - .args:
      - .offset:         0
        .size:           4
        .value_kind:     by_value
      - .offset:         8
        .size:           8
        .value_kind:     by_value
      - .address_space:  global
        .offset:         16
        .size:           8
        .value_kind:     global_buffer
      - .address_space:  global
        .offset:         24
        .size:           8
        .value_kind:     global_buffer
      - .offset:         32
        .size:           8
        .value_kind:     by_value
      - .offset:         40
        .size:           8
        .value_kind:     by_value
      - .address_space:  global
        .offset:         48
        .size:           8
        .value_kind:     global_buffer
      - .offset:         56
        .size:           8
        .value_kind:     by_value
      - .offset:         64
        .size:           8
        .value_kind:     by_value
      - .address_space:  global
        .offset:         72
        .size:           8
        .value_kind:     global_buffer
      - .address_space:  global
        .offset:         80
        .size:           8
        .value_kind:     global_buffer
      - .offset:         88
        .size:           8
        .value_kind:     by_value
      - .offset:         96
        .size:           8
        .value_kind:     by_value
      - .offset:         104
        .size:           4
        .value_kind:     by_value
    .group_segment_fixed_size: 2048
    .kernarg_segment_align: 8
    .kernarg_segment_size: 108
    .language:       OpenCL C
    .language_version:
      - 2
      - 0
    .max_flat_workgroup_size: 256
    .name:           _ZL29rocblas_internal_gemmt_kernelIlLi16ELi32ELi8ELc84ELc78ELc76ELb0ELb0EfPKfPKS1_PKPfEviT_T9_T10_S7_lS9_S7_lS8_T11_S7_li
    .private_segment_fixed_size: 0
    .sgpr_count:     38
    .sgpr_spill_count: 0
    .symbol:         _ZL29rocblas_internal_gemmt_kernelIlLi16ELi32ELi8ELc84ELc78ELc76ELb0ELb0EfPKfPKS1_PKPfEviT_T9_T10_S7_lS9_S7_lS8_T11_S7_li.kd
    .uniform_work_group_size: 1
    .uses_dynamic_stack: false
    .vgpr_count:     56
    .vgpr_spill_count: 0
    .wavefront_size: 32
  - .args:
      - .offset:         0
        .size:           4
        .value_kind:     by_value
      - .offset:         8
        .size:           8
        .value_kind:     by_value
      - .address_space:  global
        .offset:         16
        .size:           8
        .value_kind:     global_buffer
      - .address_space:  global
        .offset:         24
        .size:           8
        .value_kind:     global_buffer
      - .offset:         32
        .size:           8
        .value_kind:     by_value
      - .offset:         40
        .size:           8
        .value_kind:     by_value
      - .address_space:  global
        .offset:         48
        .size:           8
        .value_kind:     global_buffer
      - .offset:         56
        .size:           8
        .value_kind:     by_value
      - .offset:         64
        .size:           8
        .value_kind:     by_value
      - .address_space:  global
        .offset:         72
        .size:           8
        .value_kind:     global_buffer
      - .address_space:  global
        .offset:         80
        .size:           8
        .value_kind:     global_buffer
      - .offset:         88
        .size:           8
        .value_kind:     by_value
      - .offset:         96
        .size:           8
        .value_kind:     by_value
      - .offset:         104
        .size:           4
        .value_kind:     by_value
    .group_segment_fixed_size: 2048
    .kernarg_segment_align: 8
    .kernarg_segment_size: 108
    .language:       OpenCL C
    .language_version:
      - 2
      - 0
    .max_flat_workgroup_size: 256
    .name:           _ZL29rocblas_internal_gemmt_kernelIlLi16ELi32ELi8ELc84ELc84ELc76ELb0ELb0EfPKfPKS1_PKPfEviT_T9_T10_S7_lS9_S7_lS8_T11_S7_li
    .private_segment_fixed_size: 0
    .sgpr_count:     40
    .sgpr_spill_count: 0
    .symbol:         _ZL29rocblas_internal_gemmt_kernelIlLi16ELi32ELi8ELc84ELc84ELc76ELb0ELb0EfPKfPKS1_PKPfEviT_T9_T10_S7_lS9_S7_lS8_T11_S7_li.kd
    .uniform_work_group_size: 1
    .uses_dynamic_stack: false
    .vgpr_count:     56
    .vgpr_spill_count: 0
    .wavefront_size: 32
  - .args:
      - .offset:         0
        .size:           4
        .value_kind:     by_value
      - .offset:         8
        .size:           8
        .value_kind:     by_value
      - .address_space:  global
        .offset:         16
        .size:           8
        .value_kind:     global_buffer
      - .address_space:  global
        .offset:         24
        .size:           8
        .value_kind:     global_buffer
      - .offset:         32
        .size:           8
        .value_kind:     by_value
      - .offset:         40
        .size:           8
        .value_kind:     by_value
      - .address_space:  global
        .offset:         48
        .size:           8
        .value_kind:     global_buffer
      - .offset:         56
        .size:           8
        .value_kind:     by_value
      - .offset:         64
        .size:           8
        .value_kind:     by_value
      - .address_space:  global
        .offset:         72
        .size:           8
        .value_kind:     global_buffer
      - .address_space:  global
        .offset:         80
        .size:           8
        .value_kind:     global_buffer
      - .offset:         88
        .size:           8
        .value_kind:     by_value
      - .offset:         96
        .size:           8
        .value_kind:     by_value
      - .offset:         104
        .size:           4
        .value_kind:     by_value
    .group_segment_fixed_size: 2048
    .kernarg_segment_align: 8
    .kernarg_segment_size: 108
    .language:       OpenCL C
    .language_version:
      - 2
      - 0
    .max_flat_workgroup_size: 256
    .name:           _ZL29rocblas_internal_gemmt_kernelIlLi16ELi32ELi8ELc84ELc67ELc76ELb0ELb0EfPKfPKS1_PKPfEviT_T9_T10_S7_lS9_S7_lS8_T11_S7_li
    .private_segment_fixed_size: 0
    .sgpr_count:     40
    .sgpr_spill_count: 0
    .symbol:         _ZL29rocblas_internal_gemmt_kernelIlLi16ELi32ELi8ELc84ELc67ELc76ELb0ELb0EfPKfPKS1_PKPfEviT_T9_T10_S7_lS9_S7_lS8_T11_S7_li.kd
    .uniform_work_group_size: 1
    .uses_dynamic_stack: false
    .vgpr_count:     56
    .vgpr_spill_count: 0
    .wavefront_size: 32
  - .args:
      - .offset:         0
        .size:           4
        .value_kind:     by_value
      - .offset:         8
        .size:           8
        .value_kind:     by_value
      - .address_space:  global
        .offset:         16
        .size:           8
        .value_kind:     global_buffer
      - .address_space:  global
        .offset:         24
        .size:           8
        .value_kind:     global_buffer
      - .offset:         32
        .size:           8
        .value_kind:     by_value
      - .offset:         40
        .size:           8
        .value_kind:     by_value
      - .address_space:  global
        .offset:         48
        .size:           8
        .value_kind:     global_buffer
      - .offset:         56
        .size:           8
        .value_kind:     by_value
      - .offset:         64
        .size:           8
        .value_kind:     by_value
      - .address_space:  global
        .offset:         72
        .size:           8
        .value_kind:     global_buffer
      - .address_space:  global
        .offset:         80
        .size:           8
        .value_kind:     global_buffer
      - .offset:         88
        .size:           8
        .value_kind:     by_value
      - .offset:         96
        .size:           8
        .value_kind:     by_value
      - .offset:         104
        .size:           4
        .value_kind:     by_value
    .group_segment_fixed_size: 2048
    .kernarg_segment_align: 8
    .kernarg_segment_size: 108
    .language:       OpenCL C
    .language_version:
      - 2
      - 0
    .max_flat_workgroup_size: 256
    .name:           _ZL29rocblas_internal_gemmt_kernelIlLi16ELi32ELi8ELc67ELc78ELc76ELb0ELb0EfPKfPKS1_PKPfEviT_T9_T10_S7_lS9_S7_lS8_T11_S7_li
    .private_segment_fixed_size: 0
    .sgpr_count:     38
    .sgpr_spill_count: 0
    .symbol:         _ZL29rocblas_internal_gemmt_kernelIlLi16ELi32ELi8ELc67ELc78ELc76ELb0ELb0EfPKfPKS1_PKPfEviT_T9_T10_S7_lS9_S7_lS8_T11_S7_li.kd
    .uniform_work_group_size: 1
    .uses_dynamic_stack: false
    .vgpr_count:     56
    .vgpr_spill_count: 0
    .wavefront_size: 32
  - .args:
      - .offset:         0
        .size:           4
        .value_kind:     by_value
      - .offset:         8
        .size:           8
        .value_kind:     by_value
      - .address_space:  global
        .offset:         16
        .size:           8
        .value_kind:     global_buffer
      - .address_space:  global
        .offset:         24
        .size:           8
        .value_kind:     global_buffer
      - .offset:         32
        .size:           8
        .value_kind:     by_value
      - .offset:         40
        .size:           8
        .value_kind:     by_value
      - .address_space:  global
        .offset:         48
        .size:           8
        .value_kind:     global_buffer
      - .offset:         56
        .size:           8
        .value_kind:     by_value
      - .offset:         64
        .size:           8
        .value_kind:     by_value
      - .address_space:  global
        .offset:         72
        .size:           8
        .value_kind:     global_buffer
      - .address_space:  global
        .offset:         80
        .size:           8
        .value_kind:     global_buffer
      - .offset:         88
        .size:           8
        .value_kind:     by_value
      - .offset:         96
        .size:           8
        .value_kind:     by_value
      - .offset:         104
        .size:           4
        .value_kind:     by_value
    .group_segment_fixed_size: 2048
    .kernarg_segment_align: 8
    .kernarg_segment_size: 108
    .language:       OpenCL C
    .language_version:
      - 2
      - 0
    .max_flat_workgroup_size: 256
    .name:           _ZL29rocblas_internal_gemmt_kernelIlLi16ELi32ELi8ELc67ELc84ELc76ELb0ELb0EfPKfPKS1_PKPfEviT_T9_T10_S7_lS9_S7_lS8_T11_S7_li
    .private_segment_fixed_size: 0
    .sgpr_count:     40
    .sgpr_spill_count: 0
    .symbol:         _ZL29rocblas_internal_gemmt_kernelIlLi16ELi32ELi8ELc67ELc84ELc76ELb0ELb0EfPKfPKS1_PKPfEviT_T9_T10_S7_lS9_S7_lS8_T11_S7_li.kd
    .uniform_work_group_size: 1
    .uses_dynamic_stack: false
    .vgpr_count:     56
    .vgpr_spill_count: 0
    .wavefront_size: 32
  - .args:
      - .offset:         0
        .size:           4
        .value_kind:     by_value
      - .offset:         8
        .size:           8
        .value_kind:     by_value
      - .address_space:  global
        .offset:         16
        .size:           8
        .value_kind:     global_buffer
      - .address_space:  global
        .offset:         24
        .size:           8
        .value_kind:     global_buffer
      - .offset:         32
        .size:           8
        .value_kind:     by_value
      - .offset:         40
        .size:           8
        .value_kind:     by_value
      - .address_space:  global
        .offset:         48
        .size:           8
        .value_kind:     global_buffer
      - .offset:         56
        .size:           8
        .value_kind:     by_value
      - .offset:         64
        .size:           8
        .value_kind:     by_value
      - .address_space:  global
        .offset:         72
        .size:           8
        .value_kind:     global_buffer
      - .address_space:  global
        .offset:         80
        .size:           8
        .value_kind:     global_buffer
      - .offset:         88
        .size:           8
        .value_kind:     by_value
      - .offset:         96
        .size:           8
        .value_kind:     by_value
      - .offset:         104
        .size:           4
        .value_kind:     by_value
    .group_segment_fixed_size: 2048
    .kernarg_segment_align: 8
    .kernarg_segment_size: 108
    .language:       OpenCL C
    .language_version:
      - 2
      - 0
    .max_flat_workgroup_size: 256
    .name:           _ZL29rocblas_internal_gemmt_kernelIlLi16ELi32ELi8ELc67ELc67ELc76ELb0ELb0EfPKfPKS1_PKPfEviT_T9_T10_S7_lS9_S7_lS8_T11_S7_li
    .private_segment_fixed_size: 0
    .sgpr_count:     40
    .sgpr_spill_count: 0
    .symbol:         _ZL29rocblas_internal_gemmt_kernelIlLi16ELi32ELi8ELc67ELc67ELc76ELb0ELb0EfPKfPKS1_PKPfEviT_T9_T10_S7_lS9_S7_lS8_T11_S7_li.kd
    .uniform_work_group_size: 1
    .uses_dynamic_stack: false
    .vgpr_count:     56
    .vgpr_spill_count: 0
    .wavefront_size: 32
  - .args:
      - .offset:         0
        .size:           4
        .value_kind:     by_value
      - .offset:         8
        .size:           8
        .value_kind:     by_value
      - .offset:         16
        .size:           4
        .value_kind:     by_value
      - .address_space:  global
        .offset:         24
        .size:           8
        .value_kind:     global_buffer
      - .offset:         32
        .size:           8
        .value_kind:     by_value
      - .offset:         40
        .size:           8
        .value_kind:     by_value
      - .address_space:  global
        .offset:         48
        .size:           8
        .value_kind:     global_buffer
      - .offset:         56
        .size:           8
        .value_kind:     by_value
      - .offset:         64
        .size:           8
        .value_kind:     by_value
      - .offset:         72
        .size:           4
        .value_kind:     by_value
      - .address_space:  global
        .offset:         80
        .size:           8
        .value_kind:     global_buffer
      - .offset:         88
        .size:           8
        .value_kind:     by_value
      - .offset:         96
        .size:           8
        .value_kind:     by_value
      - .offset:         104
        .size:           4
        .value_kind:     by_value
    .group_segment_fixed_size: 2048
    .kernarg_segment_align: 8
    .kernarg_segment_size: 108
    .language:       OpenCL C
    .language_version:
      - 2
      - 0
    .max_flat_workgroup_size: 256
    .name:           _ZL29rocblas_internal_gemmt_kernelIlLi16ELi32ELi8ELc78ELc78ELc85ELb0ELb0EffPKPKfPKPfEviT_T9_T10_S7_lS9_S7_lS8_T11_S7_li
    .private_segment_fixed_size: 0
    .sgpr_count:     37
    .sgpr_spill_count: 0
    .symbol:         _ZL29rocblas_internal_gemmt_kernelIlLi16ELi32ELi8ELc78ELc78ELc85ELb0ELb0EffPKPKfPKPfEviT_T9_T10_S7_lS9_S7_lS8_T11_S7_li.kd
    .uniform_work_group_size: 1
    .uses_dynamic_stack: false
    .vgpr_count:     56
    .vgpr_spill_count: 0
    .wavefront_size: 32
  - .args:
      - .offset:         0
        .size:           4
        .value_kind:     by_value
      - .offset:         8
        .size:           8
        .value_kind:     by_value
      - .offset:         16
        .size:           4
        .value_kind:     by_value
      - .address_space:  global
        .offset:         24
        .size:           8
        .value_kind:     global_buffer
      - .offset:         32
        .size:           8
        .value_kind:     by_value
      - .offset:         40
        .size:           8
        .value_kind:     by_value
      - .address_space:  global
        .offset:         48
        .size:           8
        .value_kind:     global_buffer
      - .offset:         56
        .size:           8
        .value_kind:     by_value
      - .offset:         64
        .size:           8
        .value_kind:     by_value
      - .offset:         72
        .size:           4
        .value_kind:     by_value
      - .address_space:  global
        .offset:         80
        .size:           8
        .value_kind:     global_buffer
      - .offset:         88
        .size:           8
        .value_kind:     by_value
      - .offset:         96
        .size:           8
        .value_kind:     by_value
      - .offset:         104
        .size:           4
        .value_kind:     by_value
    .group_segment_fixed_size: 2048
    .kernarg_segment_align: 8
    .kernarg_segment_size: 108
    .language:       OpenCL C
    .language_version:
      - 2
      - 0
    .max_flat_workgroup_size: 256
    .name:           _ZL29rocblas_internal_gemmt_kernelIlLi16ELi32ELi8ELc78ELc84ELc85ELb0ELb0EffPKPKfPKPfEviT_T9_T10_S7_lS9_S7_lS8_T11_S7_li
    .private_segment_fixed_size: 0
    .sgpr_count:     39
    .sgpr_spill_count: 0
    .symbol:         _ZL29rocblas_internal_gemmt_kernelIlLi16ELi32ELi8ELc78ELc84ELc85ELb0ELb0EffPKPKfPKPfEviT_T9_T10_S7_lS9_S7_lS8_T11_S7_li.kd
    .uniform_work_group_size: 1
    .uses_dynamic_stack: false
    .vgpr_count:     56
    .vgpr_spill_count: 0
    .wavefront_size: 32
  - .args:
      - .offset:         0
        .size:           4
        .value_kind:     by_value
      - .offset:         8
        .size:           8
        .value_kind:     by_value
      - .offset:         16
        .size:           4
        .value_kind:     by_value
      - .address_space:  global
        .offset:         24
        .size:           8
        .value_kind:     global_buffer
      - .offset:         32
        .size:           8
        .value_kind:     by_value
      - .offset:         40
        .size:           8
        .value_kind:     by_value
      - .address_space:  global
        .offset:         48
        .size:           8
        .value_kind:     global_buffer
      - .offset:         56
        .size:           8
        .value_kind:     by_value
      - .offset:         64
        .size:           8
        .value_kind:     by_value
      - .offset:         72
        .size:           4
        .value_kind:     by_value
      - .address_space:  global
        .offset:         80
        .size:           8
        .value_kind:     global_buffer
      - .offset:         88
        .size:           8
        .value_kind:     by_value
      - .offset:         96
        .size:           8
        .value_kind:     by_value
      - .offset:         104
        .size:           4
        .value_kind:     by_value
    .group_segment_fixed_size: 2048
    .kernarg_segment_align: 8
    .kernarg_segment_size: 108
    .language:       OpenCL C
    .language_version:
      - 2
      - 0
    .max_flat_workgroup_size: 256
    .name:           _ZL29rocblas_internal_gemmt_kernelIlLi16ELi32ELi8ELc78ELc67ELc85ELb0ELb0EffPKPKfPKPfEviT_T9_T10_S7_lS9_S7_lS8_T11_S7_li
    .private_segment_fixed_size: 0
    .sgpr_count:     39
    .sgpr_spill_count: 0
    .symbol:         _ZL29rocblas_internal_gemmt_kernelIlLi16ELi32ELi8ELc78ELc67ELc85ELb0ELb0EffPKPKfPKPfEviT_T9_T10_S7_lS9_S7_lS8_T11_S7_li.kd
    .uniform_work_group_size: 1
    .uses_dynamic_stack: false
    .vgpr_count:     56
    .vgpr_spill_count: 0
    .wavefront_size: 32
  - .args:
      - .offset:         0
        .size:           4
        .value_kind:     by_value
      - .offset:         8
        .size:           8
        .value_kind:     by_value
      - .offset:         16
        .size:           4
        .value_kind:     by_value
      - .address_space:  global
        .offset:         24
        .size:           8
        .value_kind:     global_buffer
      - .offset:         32
        .size:           8
        .value_kind:     by_value
      - .offset:         40
        .size:           8
        .value_kind:     by_value
      - .address_space:  global
        .offset:         48
        .size:           8
        .value_kind:     global_buffer
      - .offset:         56
        .size:           8
        .value_kind:     by_value
      - .offset:         64
        .size:           8
        .value_kind:     by_value
      - .offset:         72
        .size:           4
        .value_kind:     by_value
      - .address_space:  global
        .offset:         80
        .size:           8
        .value_kind:     global_buffer
      - .offset:         88
        .size:           8
        .value_kind:     by_value
      - .offset:         96
        .size:           8
        .value_kind:     by_value
      - .offset:         104
        .size:           4
        .value_kind:     by_value
    .group_segment_fixed_size: 2048
    .kernarg_segment_align: 8
    .kernarg_segment_size: 108
    .language:       OpenCL C
    .language_version:
      - 2
      - 0
    .max_flat_workgroup_size: 256
    .name:           _ZL29rocblas_internal_gemmt_kernelIlLi16ELi32ELi8ELc84ELc78ELc85ELb0ELb0EffPKPKfPKPfEviT_T9_T10_S7_lS9_S7_lS8_T11_S7_li
    .private_segment_fixed_size: 0
    .sgpr_count:     38
    .sgpr_spill_count: 0
    .symbol:         _ZL29rocblas_internal_gemmt_kernelIlLi16ELi32ELi8ELc84ELc78ELc85ELb0ELb0EffPKPKfPKPfEviT_T9_T10_S7_lS9_S7_lS8_T11_S7_li.kd
    .uniform_work_group_size: 1
    .uses_dynamic_stack: false
    .vgpr_count:     56
    .vgpr_spill_count: 0
    .wavefront_size: 32
  - .args:
      - .offset:         0
        .size:           4
        .value_kind:     by_value
      - .offset:         8
        .size:           8
        .value_kind:     by_value
      - .offset:         16
        .size:           4
        .value_kind:     by_value
      - .address_space:  global
        .offset:         24
        .size:           8
        .value_kind:     global_buffer
      - .offset:         32
        .size:           8
        .value_kind:     by_value
      - .offset:         40
        .size:           8
        .value_kind:     by_value
      - .address_space:  global
        .offset:         48
        .size:           8
        .value_kind:     global_buffer
      - .offset:         56
        .size:           8
        .value_kind:     by_value
      - .offset:         64
        .size:           8
        .value_kind:     by_value
      - .offset:         72
        .size:           4
        .value_kind:     by_value
      - .address_space:  global
        .offset:         80
        .size:           8
        .value_kind:     global_buffer
      - .offset:         88
        .size:           8
        .value_kind:     by_value
      - .offset:         96
        .size:           8
        .value_kind:     by_value
      - .offset:         104
        .size:           4
        .value_kind:     by_value
    .group_segment_fixed_size: 2048
    .kernarg_segment_align: 8
    .kernarg_segment_size: 108
    .language:       OpenCL C
    .language_version:
      - 2
      - 0
    .max_flat_workgroup_size: 256
    .name:           _ZL29rocblas_internal_gemmt_kernelIlLi16ELi32ELi8ELc84ELc84ELc85ELb0ELb0EffPKPKfPKPfEviT_T9_T10_S7_lS9_S7_lS8_T11_S7_li
    .private_segment_fixed_size: 0
    .sgpr_count:     39
    .sgpr_spill_count: 0
    .symbol:         _ZL29rocblas_internal_gemmt_kernelIlLi16ELi32ELi8ELc84ELc84ELc85ELb0ELb0EffPKPKfPKPfEviT_T9_T10_S7_lS9_S7_lS8_T11_S7_li.kd
    .uniform_work_group_size: 1
    .uses_dynamic_stack: false
    .vgpr_count:     56
    .vgpr_spill_count: 0
    .wavefront_size: 32
  - .args:
      - .offset:         0
        .size:           4
        .value_kind:     by_value
      - .offset:         8
        .size:           8
        .value_kind:     by_value
      - .offset:         16
        .size:           4
        .value_kind:     by_value
      - .address_space:  global
        .offset:         24
        .size:           8
        .value_kind:     global_buffer
      - .offset:         32
        .size:           8
        .value_kind:     by_value
      - .offset:         40
        .size:           8
        .value_kind:     by_value
      - .address_space:  global
        .offset:         48
        .size:           8
        .value_kind:     global_buffer
      - .offset:         56
        .size:           8
        .value_kind:     by_value
      - .offset:         64
        .size:           8
        .value_kind:     by_value
      - .offset:         72
        .size:           4
        .value_kind:     by_value
      - .address_space:  global
        .offset:         80
        .size:           8
        .value_kind:     global_buffer
      - .offset:         88
        .size:           8
        .value_kind:     by_value
      - .offset:         96
        .size:           8
        .value_kind:     by_value
      - .offset:         104
        .size:           4
        .value_kind:     by_value
    .group_segment_fixed_size: 2048
    .kernarg_segment_align: 8
    .kernarg_segment_size: 108
    .language:       OpenCL C
    .language_version:
      - 2
      - 0
    .max_flat_workgroup_size: 256
    .name:           _ZL29rocblas_internal_gemmt_kernelIlLi16ELi32ELi8ELc84ELc67ELc85ELb0ELb0EffPKPKfPKPfEviT_T9_T10_S7_lS9_S7_lS8_T11_S7_li
    .private_segment_fixed_size: 0
    .sgpr_count:     39
    .sgpr_spill_count: 0
    .symbol:         _ZL29rocblas_internal_gemmt_kernelIlLi16ELi32ELi8ELc84ELc67ELc85ELb0ELb0EffPKPKfPKPfEviT_T9_T10_S7_lS9_S7_lS8_T11_S7_li.kd
    .uniform_work_group_size: 1
    .uses_dynamic_stack: false
    .vgpr_count:     56
    .vgpr_spill_count: 0
    .wavefront_size: 32
  - .args:
      - .offset:         0
        .size:           4
        .value_kind:     by_value
      - .offset:         8
        .size:           8
        .value_kind:     by_value
      - .offset:         16
        .size:           4
        .value_kind:     by_value
      - .address_space:  global
        .offset:         24
        .size:           8
        .value_kind:     global_buffer
      - .offset:         32
        .size:           8
        .value_kind:     by_value
      - .offset:         40
        .size:           8
        .value_kind:     by_value
      - .address_space:  global
        .offset:         48
        .size:           8
        .value_kind:     global_buffer
      - .offset:         56
        .size:           8
        .value_kind:     by_value
      - .offset:         64
        .size:           8
        .value_kind:     by_value
      - .offset:         72
        .size:           4
        .value_kind:     by_value
      - .address_space:  global
        .offset:         80
        .size:           8
        .value_kind:     global_buffer
      - .offset:         88
        .size:           8
        .value_kind:     by_value
      - .offset:         96
        .size:           8
        .value_kind:     by_value
      - .offset:         104
        .size:           4
        .value_kind:     by_value
    .group_segment_fixed_size: 2048
    .kernarg_segment_align: 8
    .kernarg_segment_size: 108
    .language:       OpenCL C
    .language_version:
      - 2
      - 0
    .max_flat_workgroup_size: 256
    .name:           _ZL29rocblas_internal_gemmt_kernelIlLi16ELi32ELi8ELc67ELc78ELc85ELb0ELb0EffPKPKfPKPfEviT_T9_T10_S7_lS9_S7_lS8_T11_S7_li
    .private_segment_fixed_size: 0
    .sgpr_count:     38
    .sgpr_spill_count: 0
    .symbol:         _ZL29rocblas_internal_gemmt_kernelIlLi16ELi32ELi8ELc67ELc78ELc85ELb0ELb0EffPKPKfPKPfEviT_T9_T10_S7_lS9_S7_lS8_T11_S7_li.kd
    .uniform_work_group_size: 1
    .uses_dynamic_stack: false
    .vgpr_count:     56
    .vgpr_spill_count: 0
    .wavefront_size: 32
  - .args:
      - .offset:         0
        .size:           4
        .value_kind:     by_value
      - .offset:         8
        .size:           8
        .value_kind:     by_value
      - .offset:         16
        .size:           4
        .value_kind:     by_value
      - .address_space:  global
        .offset:         24
        .size:           8
        .value_kind:     global_buffer
      - .offset:         32
        .size:           8
        .value_kind:     by_value
      - .offset:         40
        .size:           8
        .value_kind:     by_value
      - .address_space:  global
        .offset:         48
        .size:           8
        .value_kind:     global_buffer
      - .offset:         56
        .size:           8
        .value_kind:     by_value
      - .offset:         64
        .size:           8
        .value_kind:     by_value
      - .offset:         72
        .size:           4
        .value_kind:     by_value
      - .address_space:  global
        .offset:         80
        .size:           8
        .value_kind:     global_buffer
      - .offset:         88
        .size:           8
        .value_kind:     by_value
      - .offset:         96
        .size:           8
        .value_kind:     by_value
      - .offset:         104
        .size:           4
        .value_kind:     by_value
    .group_segment_fixed_size: 2048
    .kernarg_segment_align: 8
    .kernarg_segment_size: 108
    .language:       OpenCL C
    .language_version:
      - 2
      - 0
    .max_flat_workgroup_size: 256
    .name:           _ZL29rocblas_internal_gemmt_kernelIlLi16ELi32ELi8ELc67ELc84ELc85ELb0ELb0EffPKPKfPKPfEviT_T9_T10_S7_lS9_S7_lS8_T11_S7_li
    .private_segment_fixed_size: 0
    .sgpr_count:     39
    .sgpr_spill_count: 0
    .symbol:         _ZL29rocblas_internal_gemmt_kernelIlLi16ELi32ELi8ELc67ELc84ELc85ELb0ELb0EffPKPKfPKPfEviT_T9_T10_S7_lS9_S7_lS8_T11_S7_li.kd
    .uniform_work_group_size: 1
    .uses_dynamic_stack: false
    .vgpr_count:     56
    .vgpr_spill_count: 0
    .wavefront_size: 32
  - .args:
      - .offset:         0
        .size:           4
        .value_kind:     by_value
      - .offset:         8
        .size:           8
        .value_kind:     by_value
      - .offset:         16
        .size:           4
        .value_kind:     by_value
      - .address_space:  global
        .offset:         24
        .size:           8
        .value_kind:     global_buffer
      - .offset:         32
        .size:           8
        .value_kind:     by_value
      - .offset:         40
        .size:           8
        .value_kind:     by_value
      - .address_space:  global
        .offset:         48
        .size:           8
        .value_kind:     global_buffer
      - .offset:         56
        .size:           8
        .value_kind:     by_value
      - .offset:         64
        .size:           8
        .value_kind:     by_value
      - .offset:         72
        .size:           4
        .value_kind:     by_value
      - .address_space:  global
        .offset:         80
        .size:           8
        .value_kind:     global_buffer
      - .offset:         88
        .size:           8
        .value_kind:     by_value
      - .offset:         96
        .size:           8
        .value_kind:     by_value
      - .offset:         104
        .size:           4
        .value_kind:     by_value
    .group_segment_fixed_size: 2048
    .kernarg_segment_align: 8
    .kernarg_segment_size: 108
    .language:       OpenCL C
    .language_version:
      - 2
      - 0
    .max_flat_workgroup_size: 256
    .name:           _ZL29rocblas_internal_gemmt_kernelIlLi16ELi32ELi8ELc67ELc67ELc85ELb0ELb0EffPKPKfPKPfEviT_T9_T10_S7_lS9_S7_lS8_T11_S7_li
    .private_segment_fixed_size: 0
    .sgpr_count:     39
    .sgpr_spill_count: 0
    .symbol:         _ZL29rocblas_internal_gemmt_kernelIlLi16ELi32ELi8ELc67ELc67ELc85ELb0ELb0EffPKPKfPKPfEviT_T9_T10_S7_lS9_S7_lS8_T11_S7_li.kd
    .uniform_work_group_size: 1
    .uses_dynamic_stack: false
    .vgpr_count:     56
    .vgpr_spill_count: 0
    .wavefront_size: 32
  - .args:
      - .offset:         0
        .size:           4
        .value_kind:     by_value
      - .offset:         8
        .size:           8
        .value_kind:     by_value
      - .offset:         16
        .size:           4
        .value_kind:     by_value
      - .address_space:  global
        .offset:         24
        .size:           8
        .value_kind:     global_buffer
      - .offset:         32
        .size:           8
        .value_kind:     by_value
      - .offset:         40
        .size:           8
        .value_kind:     by_value
      - .address_space:  global
        .offset:         48
        .size:           8
        .value_kind:     global_buffer
      - .offset:         56
        .size:           8
        .value_kind:     by_value
      - .offset:         64
        .size:           8
        .value_kind:     by_value
      - .offset:         72
        .size:           4
        .value_kind:     by_value
      - .address_space:  global
        .offset:         80
        .size:           8
        .value_kind:     global_buffer
      - .offset:         88
        .size:           8
        .value_kind:     by_value
      - .offset:         96
        .size:           8
        .value_kind:     by_value
      - .offset:         104
        .size:           4
        .value_kind:     by_value
    .group_segment_fixed_size: 2048
    .kernarg_segment_align: 8
    .kernarg_segment_size: 108
    .language:       OpenCL C
    .language_version:
      - 2
      - 0
    .max_flat_workgroup_size: 256
    .name:           _ZL29rocblas_internal_gemmt_kernelIlLi16ELi32ELi8ELc78ELc78ELc76ELb0ELb0EffPKPKfPKPfEviT_T9_T10_S7_lS9_S7_lS8_T11_S7_li
    .private_segment_fixed_size: 0
    .sgpr_count:     37
    .sgpr_spill_count: 0
    .symbol:         _ZL29rocblas_internal_gemmt_kernelIlLi16ELi32ELi8ELc78ELc78ELc76ELb0ELb0EffPKPKfPKPfEviT_T9_T10_S7_lS9_S7_lS8_T11_S7_li.kd
    .uniform_work_group_size: 1
    .uses_dynamic_stack: false
    .vgpr_count:     56
    .vgpr_spill_count: 0
    .wavefront_size: 32
  - .args:
      - .offset:         0
        .size:           4
        .value_kind:     by_value
      - .offset:         8
        .size:           8
        .value_kind:     by_value
      - .offset:         16
        .size:           4
        .value_kind:     by_value
      - .address_space:  global
        .offset:         24
        .size:           8
        .value_kind:     global_buffer
      - .offset:         32
        .size:           8
        .value_kind:     by_value
      - .offset:         40
        .size:           8
        .value_kind:     by_value
      - .address_space:  global
        .offset:         48
        .size:           8
        .value_kind:     global_buffer
      - .offset:         56
        .size:           8
        .value_kind:     by_value
      - .offset:         64
        .size:           8
        .value_kind:     by_value
      - .offset:         72
        .size:           4
        .value_kind:     by_value
      - .address_space:  global
        .offset:         80
        .size:           8
        .value_kind:     global_buffer
      - .offset:         88
        .size:           8
        .value_kind:     by_value
      - .offset:         96
        .size:           8
        .value_kind:     by_value
      - .offset:         104
        .size:           4
        .value_kind:     by_value
    .group_segment_fixed_size: 2048
    .kernarg_segment_align: 8
    .kernarg_segment_size: 108
    .language:       OpenCL C
    .language_version:
      - 2
      - 0
    .max_flat_workgroup_size: 256
    .name:           _ZL29rocblas_internal_gemmt_kernelIlLi16ELi32ELi8ELc78ELc84ELc76ELb0ELb0EffPKPKfPKPfEviT_T9_T10_S7_lS9_S7_lS8_T11_S7_li
    .private_segment_fixed_size: 0
    .sgpr_count:     39
    .sgpr_spill_count: 0
    .symbol:         _ZL29rocblas_internal_gemmt_kernelIlLi16ELi32ELi8ELc78ELc84ELc76ELb0ELb0EffPKPKfPKPfEviT_T9_T10_S7_lS9_S7_lS8_T11_S7_li.kd
    .uniform_work_group_size: 1
    .uses_dynamic_stack: false
    .vgpr_count:     56
    .vgpr_spill_count: 0
    .wavefront_size: 32
  - .args:
      - .offset:         0
        .size:           4
        .value_kind:     by_value
      - .offset:         8
        .size:           8
        .value_kind:     by_value
      - .offset:         16
        .size:           4
        .value_kind:     by_value
      - .address_space:  global
        .offset:         24
        .size:           8
        .value_kind:     global_buffer
      - .offset:         32
        .size:           8
        .value_kind:     by_value
      - .offset:         40
        .size:           8
        .value_kind:     by_value
      - .address_space:  global
        .offset:         48
        .size:           8
        .value_kind:     global_buffer
      - .offset:         56
        .size:           8
        .value_kind:     by_value
      - .offset:         64
        .size:           8
        .value_kind:     by_value
      - .offset:         72
        .size:           4
        .value_kind:     by_value
      - .address_space:  global
        .offset:         80
        .size:           8
        .value_kind:     global_buffer
      - .offset:         88
        .size:           8
        .value_kind:     by_value
      - .offset:         96
        .size:           8
        .value_kind:     by_value
      - .offset:         104
        .size:           4
        .value_kind:     by_value
    .group_segment_fixed_size: 2048
    .kernarg_segment_align: 8
    .kernarg_segment_size: 108
    .language:       OpenCL C
    .language_version:
      - 2
      - 0
    .max_flat_workgroup_size: 256
    .name:           _ZL29rocblas_internal_gemmt_kernelIlLi16ELi32ELi8ELc78ELc67ELc76ELb0ELb0EffPKPKfPKPfEviT_T9_T10_S7_lS9_S7_lS8_T11_S7_li
    .private_segment_fixed_size: 0
    .sgpr_count:     39
    .sgpr_spill_count: 0
    .symbol:         _ZL29rocblas_internal_gemmt_kernelIlLi16ELi32ELi8ELc78ELc67ELc76ELb0ELb0EffPKPKfPKPfEviT_T9_T10_S7_lS9_S7_lS8_T11_S7_li.kd
    .uniform_work_group_size: 1
    .uses_dynamic_stack: false
    .vgpr_count:     56
    .vgpr_spill_count: 0
    .wavefront_size: 32
  - .args:
      - .offset:         0
        .size:           4
        .value_kind:     by_value
      - .offset:         8
        .size:           8
        .value_kind:     by_value
      - .offset:         16
        .size:           4
        .value_kind:     by_value
      - .address_space:  global
        .offset:         24
        .size:           8
        .value_kind:     global_buffer
      - .offset:         32
        .size:           8
        .value_kind:     by_value
      - .offset:         40
        .size:           8
        .value_kind:     by_value
      - .address_space:  global
        .offset:         48
        .size:           8
        .value_kind:     global_buffer
      - .offset:         56
        .size:           8
        .value_kind:     by_value
      - .offset:         64
        .size:           8
        .value_kind:     by_value
      - .offset:         72
        .size:           4
        .value_kind:     by_value
      - .address_space:  global
        .offset:         80
        .size:           8
        .value_kind:     global_buffer
      - .offset:         88
        .size:           8
        .value_kind:     by_value
      - .offset:         96
        .size:           8
        .value_kind:     by_value
      - .offset:         104
        .size:           4
        .value_kind:     by_value
    .group_segment_fixed_size: 2048
    .kernarg_segment_align: 8
    .kernarg_segment_size: 108
    .language:       OpenCL C
    .language_version:
      - 2
      - 0
    .max_flat_workgroup_size: 256
    .name:           _ZL29rocblas_internal_gemmt_kernelIlLi16ELi32ELi8ELc84ELc78ELc76ELb0ELb0EffPKPKfPKPfEviT_T9_T10_S7_lS9_S7_lS8_T11_S7_li
    .private_segment_fixed_size: 0
    .sgpr_count:     38
    .sgpr_spill_count: 0
    .symbol:         _ZL29rocblas_internal_gemmt_kernelIlLi16ELi32ELi8ELc84ELc78ELc76ELb0ELb0EffPKPKfPKPfEviT_T9_T10_S7_lS9_S7_lS8_T11_S7_li.kd
    .uniform_work_group_size: 1
    .uses_dynamic_stack: false
    .vgpr_count:     56
    .vgpr_spill_count: 0
    .wavefront_size: 32
  - .args:
      - .offset:         0
        .size:           4
        .value_kind:     by_value
      - .offset:         8
        .size:           8
        .value_kind:     by_value
      - .offset:         16
        .size:           4
        .value_kind:     by_value
      - .address_space:  global
        .offset:         24
        .size:           8
        .value_kind:     global_buffer
      - .offset:         32
        .size:           8
        .value_kind:     by_value
      - .offset:         40
        .size:           8
        .value_kind:     by_value
      - .address_space:  global
        .offset:         48
        .size:           8
        .value_kind:     global_buffer
      - .offset:         56
        .size:           8
        .value_kind:     by_value
      - .offset:         64
        .size:           8
        .value_kind:     by_value
      - .offset:         72
        .size:           4
        .value_kind:     by_value
      - .address_space:  global
        .offset:         80
        .size:           8
        .value_kind:     global_buffer
      - .offset:         88
        .size:           8
        .value_kind:     by_value
      - .offset:         96
        .size:           8
        .value_kind:     by_value
      - .offset:         104
        .size:           4
        .value_kind:     by_value
    .group_segment_fixed_size: 2048
    .kernarg_segment_align: 8
    .kernarg_segment_size: 108
    .language:       OpenCL C
    .language_version:
      - 2
      - 0
    .max_flat_workgroup_size: 256
    .name:           _ZL29rocblas_internal_gemmt_kernelIlLi16ELi32ELi8ELc84ELc84ELc76ELb0ELb0EffPKPKfPKPfEviT_T9_T10_S7_lS9_S7_lS8_T11_S7_li
    .private_segment_fixed_size: 0
    .sgpr_count:     39
    .sgpr_spill_count: 0
    .symbol:         _ZL29rocblas_internal_gemmt_kernelIlLi16ELi32ELi8ELc84ELc84ELc76ELb0ELb0EffPKPKfPKPfEviT_T9_T10_S7_lS9_S7_lS8_T11_S7_li.kd
    .uniform_work_group_size: 1
    .uses_dynamic_stack: false
    .vgpr_count:     56
    .vgpr_spill_count: 0
    .wavefront_size: 32
  - .args:
      - .offset:         0
        .size:           4
        .value_kind:     by_value
      - .offset:         8
        .size:           8
        .value_kind:     by_value
      - .offset:         16
        .size:           4
        .value_kind:     by_value
      - .address_space:  global
        .offset:         24
        .size:           8
        .value_kind:     global_buffer
      - .offset:         32
        .size:           8
        .value_kind:     by_value
      - .offset:         40
        .size:           8
        .value_kind:     by_value
      - .address_space:  global
        .offset:         48
        .size:           8
        .value_kind:     global_buffer
      - .offset:         56
        .size:           8
        .value_kind:     by_value
      - .offset:         64
        .size:           8
        .value_kind:     by_value
      - .offset:         72
        .size:           4
        .value_kind:     by_value
      - .address_space:  global
        .offset:         80
        .size:           8
        .value_kind:     global_buffer
      - .offset:         88
        .size:           8
        .value_kind:     by_value
      - .offset:         96
        .size:           8
        .value_kind:     by_value
      - .offset:         104
        .size:           4
        .value_kind:     by_value
    .group_segment_fixed_size: 2048
    .kernarg_segment_align: 8
    .kernarg_segment_size: 108
    .language:       OpenCL C
    .language_version:
      - 2
      - 0
    .max_flat_workgroup_size: 256
    .name:           _ZL29rocblas_internal_gemmt_kernelIlLi16ELi32ELi8ELc84ELc67ELc76ELb0ELb0EffPKPKfPKPfEviT_T9_T10_S7_lS9_S7_lS8_T11_S7_li
    .private_segment_fixed_size: 0
    .sgpr_count:     39
    .sgpr_spill_count: 0
    .symbol:         _ZL29rocblas_internal_gemmt_kernelIlLi16ELi32ELi8ELc84ELc67ELc76ELb0ELb0EffPKPKfPKPfEviT_T9_T10_S7_lS9_S7_lS8_T11_S7_li.kd
    .uniform_work_group_size: 1
    .uses_dynamic_stack: false
    .vgpr_count:     56
    .vgpr_spill_count: 0
    .wavefront_size: 32
  - .args:
      - .offset:         0
        .size:           4
        .value_kind:     by_value
      - .offset:         8
        .size:           8
        .value_kind:     by_value
      - .offset:         16
        .size:           4
        .value_kind:     by_value
      - .address_space:  global
        .offset:         24
        .size:           8
        .value_kind:     global_buffer
      - .offset:         32
        .size:           8
        .value_kind:     by_value
      - .offset:         40
        .size:           8
        .value_kind:     by_value
      - .address_space:  global
        .offset:         48
        .size:           8
        .value_kind:     global_buffer
      - .offset:         56
        .size:           8
        .value_kind:     by_value
      - .offset:         64
        .size:           8
        .value_kind:     by_value
      - .offset:         72
        .size:           4
        .value_kind:     by_value
      - .address_space:  global
        .offset:         80
        .size:           8
        .value_kind:     global_buffer
      - .offset:         88
        .size:           8
        .value_kind:     by_value
      - .offset:         96
        .size:           8
        .value_kind:     by_value
      - .offset:         104
        .size:           4
        .value_kind:     by_value
    .group_segment_fixed_size: 2048
    .kernarg_segment_align: 8
    .kernarg_segment_size: 108
    .language:       OpenCL C
    .language_version:
      - 2
      - 0
    .max_flat_workgroup_size: 256
    .name:           _ZL29rocblas_internal_gemmt_kernelIlLi16ELi32ELi8ELc67ELc78ELc76ELb0ELb0EffPKPKfPKPfEviT_T9_T10_S7_lS9_S7_lS8_T11_S7_li
    .private_segment_fixed_size: 0
    .sgpr_count:     38
    .sgpr_spill_count: 0
    .symbol:         _ZL29rocblas_internal_gemmt_kernelIlLi16ELi32ELi8ELc67ELc78ELc76ELb0ELb0EffPKPKfPKPfEviT_T9_T10_S7_lS9_S7_lS8_T11_S7_li.kd
    .uniform_work_group_size: 1
    .uses_dynamic_stack: false
    .vgpr_count:     56
    .vgpr_spill_count: 0
    .wavefront_size: 32
  - .args:
      - .offset:         0
        .size:           4
        .value_kind:     by_value
      - .offset:         8
        .size:           8
        .value_kind:     by_value
      - .offset:         16
        .size:           4
        .value_kind:     by_value
      - .address_space:  global
        .offset:         24
        .size:           8
        .value_kind:     global_buffer
      - .offset:         32
        .size:           8
        .value_kind:     by_value
      - .offset:         40
        .size:           8
        .value_kind:     by_value
      - .address_space:  global
        .offset:         48
        .size:           8
        .value_kind:     global_buffer
      - .offset:         56
        .size:           8
        .value_kind:     by_value
      - .offset:         64
        .size:           8
        .value_kind:     by_value
      - .offset:         72
        .size:           4
        .value_kind:     by_value
      - .address_space:  global
        .offset:         80
        .size:           8
        .value_kind:     global_buffer
      - .offset:         88
        .size:           8
        .value_kind:     by_value
      - .offset:         96
        .size:           8
        .value_kind:     by_value
      - .offset:         104
        .size:           4
        .value_kind:     by_value
    .group_segment_fixed_size: 2048
    .kernarg_segment_align: 8
    .kernarg_segment_size: 108
    .language:       OpenCL C
    .language_version:
      - 2
      - 0
    .max_flat_workgroup_size: 256
    .name:           _ZL29rocblas_internal_gemmt_kernelIlLi16ELi32ELi8ELc67ELc84ELc76ELb0ELb0EffPKPKfPKPfEviT_T9_T10_S7_lS9_S7_lS8_T11_S7_li
    .private_segment_fixed_size: 0
    .sgpr_count:     39
    .sgpr_spill_count: 0
    .symbol:         _ZL29rocblas_internal_gemmt_kernelIlLi16ELi32ELi8ELc67ELc84ELc76ELb0ELb0EffPKPKfPKPfEviT_T9_T10_S7_lS9_S7_lS8_T11_S7_li.kd
    .uniform_work_group_size: 1
    .uses_dynamic_stack: false
    .vgpr_count:     56
    .vgpr_spill_count: 0
    .wavefront_size: 32
  - .args:
      - .offset:         0
        .size:           4
        .value_kind:     by_value
      - .offset:         8
        .size:           8
        .value_kind:     by_value
      - .offset:         16
        .size:           4
        .value_kind:     by_value
      - .address_space:  global
        .offset:         24
        .size:           8
        .value_kind:     global_buffer
      - .offset:         32
        .size:           8
        .value_kind:     by_value
      - .offset:         40
        .size:           8
        .value_kind:     by_value
      - .address_space:  global
        .offset:         48
        .size:           8
        .value_kind:     global_buffer
      - .offset:         56
        .size:           8
        .value_kind:     by_value
      - .offset:         64
        .size:           8
        .value_kind:     by_value
      - .offset:         72
        .size:           4
        .value_kind:     by_value
      - .address_space:  global
        .offset:         80
        .size:           8
        .value_kind:     global_buffer
      - .offset:         88
        .size:           8
        .value_kind:     by_value
      - .offset:         96
        .size:           8
        .value_kind:     by_value
      - .offset:         104
        .size:           4
        .value_kind:     by_value
    .group_segment_fixed_size: 2048
    .kernarg_segment_align: 8
    .kernarg_segment_size: 108
    .language:       OpenCL C
    .language_version:
      - 2
      - 0
    .max_flat_workgroup_size: 256
    .name:           _ZL29rocblas_internal_gemmt_kernelIlLi16ELi32ELi8ELc67ELc67ELc76ELb0ELb0EffPKPKfPKPfEviT_T9_T10_S7_lS9_S7_lS8_T11_S7_li
    .private_segment_fixed_size: 0
    .sgpr_count:     39
    .sgpr_spill_count: 0
    .symbol:         _ZL29rocblas_internal_gemmt_kernelIlLi16ELi32ELi8ELc67ELc67ELc76ELb0ELb0EffPKPKfPKPfEviT_T9_T10_S7_lS9_S7_lS8_T11_S7_li.kd
    .uniform_work_group_size: 1
    .uses_dynamic_stack: false
    .vgpr_count:     56
    .vgpr_spill_count: 0
    .wavefront_size: 32
  - .args:
      - .offset:         0
        .size:           4
        .value_kind:     by_value
      - .offset:         8
        .size:           8
        .value_kind:     by_value
      - .address_space:  global
        .offset:         16
        .size:           8
        .value_kind:     global_buffer
      - .address_space:  global
        .offset:         24
        .size:           8
        .value_kind:     global_buffer
      - .offset:         32
        .size:           8
        .value_kind:     by_value
      - .offset:         40
        .size:           8
        .value_kind:     by_value
      - .address_space:  global
        .offset:         48
        .size:           8
        .value_kind:     global_buffer
      - .offset:         56
        .size:           8
        .value_kind:     by_value
      - .offset:         64
        .size:           8
        .value_kind:     by_value
      - .address_space:  global
        .offset:         72
        .size:           8
        .value_kind:     global_buffer
      - .address_space:  global
        .offset:         80
        .size:           8
        .value_kind:     global_buffer
      - .offset:         88
        .size:           8
        .value_kind:     by_value
      - .offset:         96
        .size:           8
        .value_kind:     by_value
      - .offset:         104
        .size:           4
        .value_kind:     by_value
    .group_segment_fixed_size: 4096
    .kernarg_segment_align: 8
    .kernarg_segment_size: 108
    .language:       OpenCL C
    .language_version:
      - 2
      - 0
    .max_flat_workgroup_size: 256
    .name:           _ZL29rocblas_internal_gemmt_kernelIlLi16ELi32ELi8ELc78ELc78ELc85ELb0ELb0EdPKdPKS1_PKPdEviT_T9_T10_S7_lS9_S7_lS8_T11_S7_li
    .private_segment_fixed_size: 0
    .sgpr_count:     40
    .sgpr_spill_count: 0
    .symbol:         _ZL29rocblas_internal_gemmt_kernelIlLi16ELi32ELi8ELc78ELc78ELc85ELb0ELb0EdPKdPKS1_PKPdEviT_T9_T10_S7_lS9_S7_lS8_T11_S7_li.kd
    .uniform_work_group_size: 1
    .uses_dynamic_stack: false
    .vgpr_count:     54
    .vgpr_spill_count: 0
    .wavefront_size: 32
  - .args:
      - .offset:         0
        .size:           4
        .value_kind:     by_value
      - .offset:         8
        .size:           8
        .value_kind:     by_value
      - .address_space:  global
        .offset:         16
        .size:           8
        .value_kind:     global_buffer
      - .address_space:  global
        .offset:         24
        .size:           8
        .value_kind:     global_buffer
      - .offset:         32
        .size:           8
        .value_kind:     by_value
      - .offset:         40
        .size:           8
        .value_kind:     by_value
      - .address_space:  global
        .offset:         48
        .size:           8
        .value_kind:     global_buffer
      - .offset:         56
        .size:           8
        .value_kind:     by_value
      - .offset:         64
        .size:           8
        .value_kind:     by_value
      - .address_space:  global
        .offset:         72
        .size:           8
        .value_kind:     global_buffer
      - .address_space:  global
        .offset:         80
        .size:           8
        .value_kind:     global_buffer
      - .offset:         88
        .size:           8
        .value_kind:     by_value
      - .offset:         96
        .size:           8
        .value_kind:     by_value
      - .offset:         104
        .size:           4
        .value_kind:     by_value
    .group_segment_fixed_size: 4096
    .kernarg_segment_align: 8
    .kernarg_segment_size: 108
    .language:       OpenCL C
    .language_version:
      - 2
      - 0
    .max_flat_workgroup_size: 256
    .name:           _ZL29rocblas_internal_gemmt_kernelIlLi16ELi32ELi8ELc78ELc84ELc85ELb0ELb0EdPKdPKS1_PKPdEviT_T9_T10_S7_lS9_S7_lS8_T11_S7_li
    .private_segment_fixed_size: 0
    .sgpr_count:     41
    .sgpr_spill_count: 0
    .symbol:         _ZL29rocblas_internal_gemmt_kernelIlLi16ELi32ELi8ELc78ELc84ELc85ELb0ELb0EdPKdPKS1_PKPdEviT_T9_T10_S7_lS9_S7_lS8_T11_S7_li.kd
    .uniform_work_group_size: 1
    .uses_dynamic_stack: false
    .vgpr_count:     54
    .vgpr_spill_count: 0
    .wavefront_size: 32
  - .args:
      - .offset:         0
        .size:           4
        .value_kind:     by_value
      - .offset:         8
        .size:           8
        .value_kind:     by_value
      - .address_space:  global
        .offset:         16
        .size:           8
        .value_kind:     global_buffer
      - .address_space:  global
        .offset:         24
        .size:           8
        .value_kind:     global_buffer
      - .offset:         32
        .size:           8
        .value_kind:     by_value
      - .offset:         40
        .size:           8
        .value_kind:     by_value
      - .address_space:  global
        .offset:         48
        .size:           8
        .value_kind:     global_buffer
      - .offset:         56
        .size:           8
        .value_kind:     by_value
      - .offset:         64
        .size:           8
        .value_kind:     by_value
      - .address_space:  global
        .offset:         72
        .size:           8
        .value_kind:     global_buffer
      - .address_space:  global
        .offset:         80
        .size:           8
        .value_kind:     global_buffer
      - .offset:         88
        .size:           8
        .value_kind:     by_value
      - .offset:         96
        .size:           8
        .value_kind:     by_value
      - .offset:         104
        .size:           4
        .value_kind:     by_value
    .group_segment_fixed_size: 4096
    .kernarg_segment_align: 8
    .kernarg_segment_size: 108
    .language:       OpenCL C
    .language_version:
      - 2
      - 0
    .max_flat_workgroup_size: 256
    .name:           _ZL29rocblas_internal_gemmt_kernelIlLi16ELi32ELi8ELc78ELc67ELc85ELb0ELb0EdPKdPKS1_PKPdEviT_T9_T10_S7_lS9_S7_lS8_T11_S7_li
    .private_segment_fixed_size: 0
    .sgpr_count:     41
    .sgpr_spill_count: 0
    .symbol:         _ZL29rocblas_internal_gemmt_kernelIlLi16ELi32ELi8ELc78ELc67ELc85ELb0ELb0EdPKdPKS1_PKPdEviT_T9_T10_S7_lS9_S7_lS8_T11_S7_li.kd
    .uniform_work_group_size: 1
    .uses_dynamic_stack: false
    .vgpr_count:     54
    .vgpr_spill_count: 0
    .wavefront_size: 32
  - .args:
      - .offset:         0
        .size:           4
        .value_kind:     by_value
      - .offset:         8
        .size:           8
        .value_kind:     by_value
      - .address_space:  global
        .offset:         16
        .size:           8
        .value_kind:     global_buffer
      - .address_space:  global
        .offset:         24
        .size:           8
        .value_kind:     global_buffer
      - .offset:         32
        .size:           8
        .value_kind:     by_value
      - .offset:         40
        .size:           8
        .value_kind:     by_value
      - .address_space:  global
        .offset:         48
        .size:           8
        .value_kind:     global_buffer
      - .offset:         56
        .size:           8
        .value_kind:     by_value
      - .offset:         64
        .size:           8
        .value_kind:     by_value
      - .address_space:  global
        .offset:         72
        .size:           8
        .value_kind:     global_buffer
      - .address_space:  global
        .offset:         80
        .size:           8
        .value_kind:     global_buffer
      - .offset:         88
        .size:           8
        .value_kind:     by_value
      - .offset:         96
        .size:           8
        .value_kind:     by_value
      - .offset:         104
        .size:           4
        .value_kind:     by_value
    .group_segment_fixed_size: 4096
    .kernarg_segment_align: 8
    .kernarg_segment_size: 108
    .language:       OpenCL C
    .language_version:
      - 2
      - 0
    .max_flat_workgroup_size: 256
    .name:           _ZL29rocblas_internal_gemmt_kernelIlLi16ELi32ELi8ELc84ELc78ELc85ELb0ELb0EdPKdPKS1_PKPdEviT_T9_T10_S7_lS9_S7_lS8_T11_S7_li
    .private_segment_fixed_size: 0
    .sgpr_count:     38
    .sgpr_spill_count: 0
    .symbol:         _ZL29rocblas_internal_gemmt_kernelIlLi16ELi32ELi8ELc84ELc78ELc85ELb0ELb0EdPKdPKS1_PKPdEviT_T9_T10_S7_lS9_S7_lS8_T11_S7_li.kd
    .uniform_work_group_size: 1
    .uses_dynamic_stack: false
    .vgpr_count:     54
    .vgpr_spill_count: 0
    .wavefront_size: 32
  - .args:
      - .offset:         0
        .size:           4
        .value_kind:     by_value
      - .offset:         8
        .size:           8
        .value_kind:     by_value
      - .address_space:  global
        .offset:         16
        .size:           8
        .value_kind:     global_buffer
      - .address_space:  global
        .offset:         24
        .size:           8
        .value_kind:     global_buffer
      - .offset:         32
        .size:           8
        .value_kind:     by_value
      - .offset:         40
        .size:           8
        .value_kind:     by_value
      - .address_space:  global
        .offset:         48
        .size:           8
        .value_kind:     global_buffer
      - .offset:         56
        .size:           8
        .value_kind:     by_value
      - .offset:         64
        .size:           8
        .value_kind:     by_value
      - .address_space:  global
        .offset:         72
        .size:           8
        .value_kind:     global_buffer
      - .address_space:  global
        .offset:         80
        .size:           8
        .value_kind:     global_buffer
      - .offset:         88
        .size:           8
        .value_kind:     by_value
      - .offset:         96
        .size:           8
        .value_kind:     by_value
      - .offset:         104
        .size:           4
        .value_kind:     by_value
    .group_segment_fixed_size: 4096
    .kernarg_segment_align: 8
    .kernarg_segment_size: 108
    .language:       OpenCL C
    .language_version:
      - 2
      - 0
    .max_flat_workgroup_size: 256
    .name:           _ZL29rocblas_internal_gemmt_kernelIlLi16ELi32ELi8ELc84ELc84ELc85ELb0ELb0EdPKdPKS1_PKPdEviT_T9_T10_S7_lS9_S7_lS8_T11_S7_li
    .private_segment_fixed_size: 0
    .sgpr_count:     40
    .sgpr_spill_count: 0
    .symbol:         _ZL29rocblas_internal_gemmt_kernelIlLi16ELi32ELi8ELc84ELc84ELc85ELb0ELb0EdPKdPKS1_PKPdEviT_T9_T10_S7_lS9_S7_lS8_T11_S7_li.kd
    .uniform_work_group_size: 1
    .uses_dynamic_stack: false
    .vgpr_count:     54
    .vgpr_spill_count: 0
    .wavefront_size: 32
  - .args:
      - .offset:         0
        .size:           4
        .value_kind:     by_value
      - .offset:         8
        .size:           8
        .value_kind:     by_value
      - .address_space:  global
        .offset:         16
        .size:           8
        .value_kind:     global_buffer
      - .address_space:  global
        .offset:         24
        .size:           8
        .value_kind:     global_buffer
      - .offset:         32
        .size:           8
        .value_kind:     by_value
      - .offset:         40
        .size:           8
        .value_kind:     by_value
      - .address_space:  global
        .offset:         48
        .size:           8
        .value_kind:     global_buffer
      - .offset:         56
        .size:           8
        .value_kind:     by_value
      - .offset:         64
        .size:           8
        .value_kind:     by_value
      - .address_space:  global
        .offset:         72
        .size:           8
        .value_kind:     global_buffer
      - .address_space:  global
        .offset:         80
        .size:           8
        .value_kind:     global_buffer
      - .offset:         88
        .size:           8
        .value_kind:     by_value
      - .offset:         96
        .size:           8
        .value_kind:     by_value
      - .offset:         104
        .size:           4
        .value_kind:     by_value
    .group_segment_fixed_size: 4096
    .kernarg_segment_align: 8
    .kernarg_segment_size: 108
    .language:       OpenCL C
    .language_version:
      - 2
      - 0
    .max_flat_workgroup_size: 256
    .name:           _ZL29rocblas_internal_gemmt_kernelIlLi16ELi32ELi8ELc84ELc67ELc85ELb0ELb0EdPKdPKS1_PKPdEviT_T9_T10_S7_lS9_S7_lS8_T11_S7_li
    .private_segment_fixed_size: 0
    .sgpr_count:     40
    .sgpr_spill_count: 0
    .symbol:         _ZL29rocblas_internal_gemmt_kernelIlLi16ELi32ELi8ELc84ELc67ELc85ELb0ELb0EdPKdPKS1_PKPdEviT_T9_T10_S7_lS9_S7_lS8_T11_S7_li.kd
    .uniform_work_group_size: 1
    .uses_dynamic_stack: false
    .vgpr_count:     54
    .vgpr_spill_count: 0
    .wavefront_size: 32
  - .args:
      - .offset:         0
        .size:           4
        .value_kind:     by_value
      - .offset:         8
        .size:           8
        .value_kind:     by_value
      - .address_space:  global
        .offset:         16
        .size:           8
        .value_kind:     global_buffer
      - .address_space:  global
        .offset:         24
        .size:           8
        .value_kind:     global_buffer
      - .offset:         32
        .size:           8
        .value_kind:     by_value
      - .offset:         40
        .size:           8
        .value_kind:     by_value
      - .address_space:  global
        .offset:         48
        .size:           8
        .value_kind:     global_buffer
      - .offset:         56
        .size:           8
        .value_kind:     by_value
      - .offset:         64
        .size:           8
        .value_kind:     by_value
      - .address_space:  global
        .offset:         72
        .size:           8
        .value_kind:     global_buffer
      - .address_space:  global
        .offset:         80
        .size:           8
        .value_kind:     global_buffer
      - .offset:         88
        .size:           8
        .value_kind:     by_value
      - .offset:         96
        .size:           8
        .value_kind:     by_value
      - .offset:         104
        .size:           4
        .value_kind:     by_value
    .group_segment_fixed_size: 4096
    .kernarg_segment_align: 8
    .kernarg_segment_size: 108
    .language:       OpenCL C
    .language_version:
      - 2
      - 0
    .max_flat_workgroup_size: 256
    .name:           _ZL29rocblas_internal_gemmt_kernelIlLi16ELi32ELi8ELc67ELc78ELc85ELb0ELb0EdPKdPKS1_PKPdEviT_T9_T10_S7_lS9_S7_lS8_T11_S7_li
    .private_segment_fixed_size: 0
    .sgpr_count:     38
    .sgpr_spill_count: 0
    .symbol:         _ZL29rocblas_internal_gemmt_kernelIlLi16ELi32ELi8ELc67ELc78ELc85ELb0ELb0EdPKdPKS1_PKPdEviT_T9_T10_S7_lS9_S7_lS8_T11_S7_li.kd
    .uniform_work_group_size: 1
    .uses_dynamic_stack: false
    .vgpr_count:     54
    .vgpr_spill_count: 0
    .wavefront_size: 32
  - .args:
      - .offset:         0
        .size:           4
        .value_kind:     by_value
      - .offset:         8
        .size:           8
        .value_kind:     by_value
      - .address_space:  global
        .offset:         16
        .size:           8
        .value_kind:     global_buffer
      - .address_space:  global
        .offset:         24
        .size:           8
        .value_kind:     global_buffer
      - .offset:         32
        .size:           8
        .value_kind:     by_value
      - .offset:         40
        .size:           8
        .value_kind:     by_value
      - .address_space:  global
        .offset:         48
        .size:           8
        .value_kind:     global_buffer
      - .offset:         56
        .size:           8
        .value_kind:     by_value
      - .offset:         64
        .size:           8
        .value_kind:     by_value
      - .address_space:  global
        .offset:         72
        .size:           8
        .value_kind:     global_buffer
      - .address_space:  global
        .offset:         80
        .size:           8
        .value_kind:     global_buffer
      - .offset:         88
        .size:           8
        .value_kind:     by_value
      - .offset:         96
        .size:           8
        .value_kind:     by_value
      - .offset:         104
        .size:           4
        .value_kind:     by_value
    .group_segment_fixed_size: 4096
    .kernarg_segment_align: 8
    .kernarg_segment_size: 108
    .language:       OpenCL C
    .language_version:
      - 2
      - 0
    .max_flat_workgroup_size: 256
    .name:           _ZL29rocblas_internal_gemmt_kernelIlLi16ELi32ELi8ELc67ELc84ELc85ELb0ELb0EdPKdPKS1_PKPdEviT_T9_T10_S7_lS9_S7_lS8_T11_S7_li
    .private_segment_fixed_size: 0
    .sgpr_count:     40
    .sgpr_spill_count: 0
    .symbol:         _ZL29rocblas_internal_gemmt_kernelIlLi16ELi32ELi8ELc67ELc84ELc85ELb0ELb0EdPKdPKS1_PKPdEviT_T9_T10_S7_lS9_S7_lS8_T11_S7_li.kd
    .uniform_work_group_size: 1
    .uses_dynamic_stack: false
    .vgpr_count:     54
    .vgpr_spill_count: 0
    .wavefront_size: 32
  - .args:
      - .offset:         0
        .size:           4
        .value_kind:     by_value
      - .offset:         8
        .size:           8
        .value_kind:     by_value
      - .address_space:  global
        .offset:         16
        .size:           8
        .value_kind:     global_buffer
      - .address_space:  global
        .offset:         24
        .size:           8
        .value_kind:     global_buffer
      - .offset:         32
        .size:           8
        .value_kind:     by_value
      - .offset:         40
        .size:           8
        .value_kind:     by_value
      - .address_space:  global
        .offset:         48
        .size:           8
        .value_kind:     global_buffer
      - .offset:         56
        .size:           8
        .value_kind:     by_value
      - .offset:         64
        .size:           8
        .value_kind:     by_value
      - .address_space:  global
        .offset:         72
        .size:           8
        .value_kind:     global_buffer
      - .address_space:  global
        .offset:         80
        .size:           8
        .value_kind:     global_buffer
      - .offset:         88
        .size:           8
        .value_kind:     by_value
      - .offset:         96
        .size:           8
        .value_kind:     by_value
      - .offset:         104
        .size:           4
        .value_kind:     by_value
    .group_segment_fixed_size: 4096
    .kernarg_segment_align: 8
    .kernarg_segment_size: 108
    .language:       OpenCL C
    .language_version:
      - 2
      - 0
    .max_flat_workgroup_size: 256
    .name:           _ZL29rocblas_internal_gemmt_kernelIlLi16ELi32ELi8ELc67ELc67ELc85ELb0ELb0EdPKdPKS1_PKPdEviT_T9_T10_S7_lS9_S7_lS8_T11_S7_li
    .private_segment_fixed_size: 0
    .sgpr_count:     40
    .sgpr_spill_count: 0
    .symbol:         _ZL29rocblas_internal_gemmt_kernelIlLi16ELi32ELi8ELc67ELc67ELc85ELb0ELb0EdPKdPKS1_PKPdEviT_T9_T10_S7_lS9_S7_lS8_T11_S7_li.kd
    .uniform_work_group_size: 1
    .uses_dynamic_stack: false
    .vgpr_count:     54
    .vgpr_spill_count: 0
    .wavefront_size: 32
  - .args:
      - .offset:         0
        .size:           4
        .value_kind:     by_value
      - .offset:         8
        .size:           8
        .value_kind:     by_value
      - .address_space:  global
        .offset:         16
        .size:           8
        .value_kind:     global_buffer
      - .address_space:  global
        .offset:         24
        .size:           8
        .value_kind:     global_buffer
      - .offset:         32
        .size:           8
        .value_kind:     by_value
      - .offset:         40
        .size:           8
        .value_kind:     by_value
      - .address_space:  global
        .offset:         48
        .size:           8
        .value_kind:     global_buffer
      - .offset:         56
        .size:           8
        .value_kind:     by_value
      - .offset:         64
        .size:           8
        .value_kind:     by_value
      - .address_space:  global
        .offset:         72
        .size:           8
        .value_kind:     global_buffer
      - .address_space:  global
        .offset:         80
        .size:           8
        .value_kind:     global_buffer
      - .offset:         88
        .size:           8
        .value_kind:     by_value
      - .offset:         96
        .size:           8
        .value_kind:     by_value
      - .offset:         104
        .size:           4
        .value_kind:     by_value
    .group_segment_fixed_size: 4096
    .kernarg_segment_align: 8
    .kernarg_segment_size: 108
    .language:       OpenCL C
    .language_version:
      - 2
      - 0
    .max_flat_workgroup_size: 256
    .name:           _ZL29rocblas_internal_gemmt_kernelIlLi16ELi32ELi8ELc78ELc78ELc76ELb0ELb0EdPKdPKS1_PKPdEviT_T9_T10_S7_lS9_S7_lS8_T11_S7_li
    .private_segment_fixed_size: 0
    .sgpr_count:     40
    .sgpr_spill_count: 0
    .symbol:         _ZL29rocblas_internal_gemmt_kernelIlLi16ELi32ELi8ELc78ELc78ELc76ELb0ELb0EdPKdPKS1_PKPdEviT_T9_T10_S7_lS9_S7_lS8_T11_S7_li.kd
    .uniform_work_group_size: 1
    .uses_dynamic_stack: false
    .vgpr_count:     54
    .vgpr_spill_count: 0
    .wavefront_size: 32
  - .args:
      - .offset:         0
        .size:           4
        .value_kind:     by_value
      - .offset:         8
        .size:           8
        .value_kind:     by_value
      - .address_space:  global
        .offset:         16
        .size:           8
        .value_kind:     global_buffer
      - .address_space:  global
        .offset:         24
        .size:           8
        .value_kind:     global_buffer
      - .offset:         32
        .size:           8
        .value_kind:     by_value
      - .offset:         40
        .size:           8
        .value_kind:     by_value
      - .address_space:  global
        .offset:         48
        .size:           8
        .value_kind:     global_buffer
      - .offset:         56
        .size:           8
        .value_kind:     by_value
      - .offset:         64
        .size:           8
        .value_kind:     by_value
      - .address_space:  global
        .offset:         72
        .size:           8
        .value_kind:     global_buffer
      - .address_space:  global
        .offset:         80
        .size:           8
        .value_kind:     global_buffer
      - .offset:         88
        .size:           8
        .value_kind:     by_value
      - .offset:         96
        .size:           8
        .value_kind:     by_value
      - .offset:         104
        .size:           4
        .value_kind:     by_value
    .group_segment_fixed_size: 4096
    .kernarg_segment_align: 8
    .kernarg_segment_size: 108
    .language:       OpenCL C
    .language_version:
      - 2
      - 0
    .max_flat_workgroup_size: 256
    .name:           _ZL29rocblas_internal_gemmt_kernelIlLi16ELi32ELi8ELc78ELc84ELc76ELb0ELb0EdPKdPKS1_PKPdEviT_T9_T10_S7_lS9_S7_lS8_T11_S7_li
    .private_segment_fixed_size: 0
    .sgpr_count:     41
    .sgpr_spill_count: 0
    .symbol:         _ZL29rocblas_internal_gemmt_kernelIlLi16ELi32ELi8ELc78ELc84ELc76ELb0ELb0EdPKdPKS1_PKPdEviT_T9_T10_S7_lS9_S7_lS8_T11_S7_li.kd
    .uniform_work_group_size: 1
    .uses_dynamic_stack: false
    .vgpr_count:     54
    .vgpr_spill_count: 0
    .wavefront_size: 32
  - .args:
      - .offset:         0
        .size:           4
        .value_kind:     by_value
      - .offset:         8
        .size:           8
        .value_kind:     by_value
      - .address_space:  global
        .offset:         16
        .size:           8
        .value_kind:     global_buffer
      - .address_space:  global
        .offset:         24
        .size:           8
        .value_kind:     global_buffer
      - .offset:         32
        .size:           8
        .value_kind:     by_value
      - .offset:         40
        .size:           8
        .value_kind:     by_value
      - .address_space:  global
        .offset:         48
        .size:           8
        .value_kind:     global_buffer
      - .offset:         56
        .size:           8
        .value_kind:     by_value
      - .offset:         64
        .size:           8
        .value_kind:     by_value
      - .address_space:  global
        .offset:         72
        .size:           8
        .value_kind:     global_buffer
      - .address_space:  global
        .offset:         80
        .size:           8
        .value_kind:     global_buffer
      - .offset:         88
        .size:           8
        .value_kind:     by_value
      - .offset:         96
        .size:           8
        .value_kind:     by_value
      - .offset:         104
        .size:           4
        .value_kind:     by_value
    .group_segment_fixed_size: 4096
    .kernarg_segment_align: 8
    .kernarg_segment_size: 108
    .language:       OpenCL C
    .language_version:
      - 2
      - 0
    .max_flat_workgroup_size: 256
    .name:           _ZL29rocblas_internal_gemmt_kernelIlLi16ELi32ELi8ELc78ELc67ELc76ELb0ELb0EdPKdPKS1_PKPdEviT_T9_T10_S7_lS9_S7_lS8_T11_S7_li
    .private_segment_fixed_size: 0
    .sgpr_count:     41
    .sgpr_spill_count: 0
    .symbol:         _ZL29rocblas_internal_gemmt_kernelIlLi16ELi32ELi8ELc78ELc67ELc76ELb0ELb0EdPKdPKS1_PKPdEviT_T9_T10_S7_lS9_S7_lS8_T11_S7_li.kd
    .uniform_work_group_size: 1
    .uses_dynamic_stack: false
    .vgpr_count:     54
    .vgpr_spill_count: 0
    .wavefront_size: 32
  - .args:
      - .offset:         0
        .size:           4
        .value_kind:     by_value
      - .offset:         8
        .size:           8
        .value_kind:     by_value
      - .address_space:  global
        .offset:         16
        .size:           8
        .value_kind:     global_buffer
      - .address_space:  global
        .offset:         24
        .size:           8
        .value_kind:     global_buffer
      - .offset:         32
        .size:           8
        .value_kind:     by_value
      - .offset:         40
        .size:           8
        .value_kind:     by_value
      - .address_space:  global
        .offset:         48
        .size:           8
        .value_kind:     global_buffer
      - .offset:         56
        .size:           8
        .value_kind:     by_value
      - .offset:         64
        .size:           8
        .value_kind:     by_value
      - .address_space:  global
        .offset:         72
        .size:           8
        .value_kind:     global_buffer
      - .address_space:  global
        .offset:         80
        .size:           8
        .value_kind:     global_buffer
      - .offset:         88
        .size:           8
        .value_kind:     by_value
      - .offset:         96
        .size:           8
        .value_kind:     by_value
      - .offset:         104
        .size:           4
        .value_kind:     by_value
    .group_segment_fixed_size: 4096
    .kernarg_segment_align: 8
    .kernarg_segment_size: 108
    .language:       OpenCL C
    .language_version:
      - 2
      - 0
    .max_flat_workgroup_size: 256
    .name:           _ZL29rocblas_internal_gemmt_kernelIlLi16ELi32ELi8ELc84ELc78ELc76ELb0ELb0EdPKdPKS1_PKPdEviT_T9_T10_S7_lS9_S7_lS8_T11_S7_li
    .private_segment_fixed_size: 0
    .sgpr_count:     38
    .sgpr_spill_count: 0
    .symbol:         _ZL29rocblas_internal_gemmt_kernelIlLi16ELi32ELi8ELc84ELc78ELc76ELb0ELb0EdPKdPKS1_PKPdEviT_T9_T10_S7_lS9_S7_lS8_T11_S7_li.kd
    .uniform_work_group_size: 1
    .uses_dynamic_stack: false
    .vgpr_count:     54
    .vgpr_spill_count: 0
    .wavefront_size: 32
  - .args:
      - .offset:         0
        .size:           4
        .value_kind:     by_value
      - .offset:         8
        .size:           8
        .value_kind:     by_value
      - .address_space:  global
        .offset:         16
        .size:           8
        .value_kind:     global_buffer
      - .address_space:  global
        .offset:         24
        .size:           8
        .value_kind:     global_buffer
      - .offset:         32
        .size:           8
        .value_kind:     by_value
      - .offset:         40
        .size:           8
        .value_kind:     by_value
      - .address_space:  global
        .offset:         48
        .size:           8
        .value_kind:     global_buffer
      - .offset:         56
        .size:           8
        .value_kind:     by_value
      - .offset:         64
        .size:           8
        .value_kind:     by_value
      - .address_space:  global
        .offset:         72
        .size:           8
        .value_kind:     global_buffer
      - .address_space:  global
        .offset:         80
        .size:           8
        .value_kind:     global_buffer
      - .offset:         88
        .size:           8
        .value_kind:     by_value
      - .offset:         96
        .size:           8
        .value_kind:     by_value
      - .offset:         104
        .size:           4
        .value_kind:     by_value
    .group_segment_fixed_size: 4096
    .kernarg_segment_align: 8
    .kernarg_segment_size: 108
    .language:       OpenCL C
    .language_version:
      - 2
      - 0
    .max_flat_workgroup_size: 256
    .name:           _ZL29rocblas_internal_gemmt_kernelIlLi16ELi32ELi8ELc84ELc84ELc76ELb0ELb0EdPKdPKS1_PKPdEviT_T9_T10_S7_lS9_S7_lS8_T11_S7_li
    .private_segment_fixed_size: 0
    .sgpr_count:     40
    .sgpr_spill_count: 0
    .symbol:         _ZL29rocblas_internal_gemmt_kernelIlLi16ELi32ELi8ELc84ELc84ELc76ELb0ELb0EdPKdPKS1_PKPdEviT_T9_T10_S7_lS9_S7_lS8_T11_S7_li.kd
    .uniform_work_group_size: 1
    .uses_dynamic_stack: false
    .vgpr_count:     54
    .vgpr_spill_count: 0
    .wavefront_size: 32
  - .args:
      - .offset:         0
        .size:           4
        .value_kind:     by_value
      - .offset:         8
        .size:           8
        .value_kind:     by_value
      - .address_space:  global
        .offset:         16
        .size:           8
        .value_kind:     global_buffer
      - .address_space:  global
        .offset:         24
        .size:           8
        .value_kind:     global_buffer
      - .offset:         32
        .size:           8
        .value_kind:     by_value
      - .offset:         40
        .size:           8
        .value_kind:     by_value
      - .address_space:  global
        .offset:         48
        .size:           8
        .value_kind:     global_buffer
      - .offset:         56
        .size:           8
        .value_kind:     by_value
      - .offset:         64
        .size:           8
        .value_kind:     by_value
      - .address_space:  global
        .offset:         72
        .size:           8
        .value_kind:     global_buffer
      - .address_space:  global
        .offset:         80
        .size:           8
        .value_kind:     global_buffer
      - .offset:         88
        .size:           8
        .value_kind:     by_value
      - .offset:         96
        .size:           8
        .value_kind:     by_value
      - .offset:         104
        .size:           4
        .value_kind:     by_value
    .group_segment_fixed_size: 4096
    .kernarg_segment_align: 8
    .kernarg_segment_size: 108
    .language:       OpenCL C
    .language_version:
      - 2
      - 0
    .max_flat_workgroup_size: 256
    .name:           _ZL29rocblas_internal_gemmt_kernelIlLi16ELi32ELi8ELc84ELc67ELc76ELb0ELb0EdPKdPKS1_PKPdEviT_T9_T10_S7_lS9_S7_lS8_T11_S7_li
    .private_segment_fixed_size: 0
    .sgpr_count:     40
    .sgpr_spill_count: 0
    .symbol:         _ZL29rocblas_internal_gemmt_kernelIlLi16ELi32ELi8ELc84ELc67ELc76ELb0ELb0EdPKdPKS1_PKPdEviT_T9_T10_S7_lS9_S7_lS8_T11_S7_li.kd
    .uniform_work_group_size: 1
    .uses_dynamic_stack: false
    .vgpr_count:     54
    .vgpr_spill_count: 0
    .wavefront_size: 32
  - .args:
      - .offset:         0
        .size:           4
        .value_kind:     by_value
      - .offset:         8
        .size:           8
        .value_kind:     by_value
      - .address_space:  global
        .offset:         16
        .size:           8
        .value_kind:     global_buffer
      - .address_space:  global
        .offset:         24
        .size:           8
        .value_kind:     global_buffer
      - .offset:         32
        .size:           8
        .value_kind:     by_value
      - .offset:         40
        .size:           8
        .value_kind:     by_value
      - .address_space:  global
        .offset:         48
        .size:           8
        .value_kind:     global_buffer
      - .offset:         56
        .size:           8
        .value_kind:     by_value
      - .offset:         64
        .size:           8
        .value_kind:     by_value
      - .address_space:  global
        .offset:         72
        .size:           8
        .value_kind:     global_buffer
      - .address_space:  global
        .offset:         80
        .size:           8
        .value_kind:     global_buffer
      - .offset:         88
        .size:           8
        .value_kind:     by_value
      - .offset:         96
        .size:           8
        .value_kind:     by_value
      - .offset:         104
        .size:           4
        .value_kind:     by_value
    .group_segment_fixed_size: 4096
    .kernarg_segment_align: 8
    .kernarg_segment_size: 108
    .language:       OpenCL C
    .language_version:
      - 2
      - 0
    .max_flat_workgroup_size: 256
    .name:           _ZL29rocblas_internal_gemmt_kernelIlLi16ELi32ELi8ELc67ELc78ELc76ELb0ELb0EdPKdPKS1_PKPdEviT_T9_T10_S7_lS9_S7_lS8_T11_S7_li
    .private_segment_fixed_size: 0
    .sgpr_count:     38
    .sgpr_spill_count: 0
    .symbol:         _ZL29rocblas_internal_gemmt_kernelIlLi16ELi32ELi8ELc67ELc78ELc76ELb0ELb0EdPKdPKS1_PKPdEviT_T9_T10_S7_lS9_S7_lS8_T11_S7_li.kd
    .uniform_work_group_size: 1
    .uses_dynamic_stack: false
    .vgpr_count:     54
    .vgpr_spill_count: 0
    .wavefront_size: 32
  - .args:
      - .offset:         0
        .size:           4
        .value_kind:     by_value
      - .offset:         8
        .size:           8
        .value_kind:     by_value
      - .address_space:  global
        .offset:         16
        .size:           8
        .value_kind:     global_buffer
      - .address_space:  global
        .offset:         24
        .size:           8
        .value_kind:     global_buffer
      - .offset:         32
        .size:           8
        .value_kind:     by_value
      - .offset:         40
        .size:           8
        .value_kind:     by_value
      - .address_space:  global
        .offset:         48
        .size:           8
        .value_kind:     global_buffer
      - .offset:         56
        .size:           8
        .value_kind:     by_value
      - .offset:         64
        .size:           8
        .value_kind:     by_value
      - .address_space:  global
        .offset:         72
        .size:           8
        .value_kind:     global_buffer
      - .address_space:  global
        .offset:         80
        .size:           8
        .value_kind:     global_buffer
      - .offset:         88
        .size:           8
        .value_kind:     by_value
      - .offset:         96
        .size:           8
        .value_kind:     by_value
      - .offset:         104
        .size:           4
        .value_kind:     by_value
    .group_segment_fixed_size: 4096
    .kernarg_segment_align: 8
    .kernarg_segment_size: 108
    .language:       OpenCL C
    .language_version:
      - 2
      - 0
    .max_flat_workgroup_size: 256
    .name:           _ZL29rocblas_internal_gemmt_kernelIlLi16ELi32ELi8ELc67ELc84ELc76ELb0ELb0EdPKdPKS1_PKPdEviT_T9_T10_S7_lS9_S7_lS8_T11_S7_li
    .private_segment_fixed_size: 0
    .sgpr_count:     40
    .sgpr_spill_count: 0
    .symbol:         _ZL29rocblas_internal_gemmt_kernelIlLi16ELi32ELi8ELc67ELc84ELc76ELb0ELb0EdPKdPKS1_PKPdEviT_T9_T10_S7_lS9_S7_lS8_T11_S7_li.kd
    .uniform_work_group_size: 1
    .uses_dynamic_stack: false
    .vgpr_count:     54
    .vgpr_spill_count: 0
    .wavefront_size: 32
  - .args:
      - .offset:         0
        .size:           4
        .value_kind:     by_value
      - .offset:         8
        .size:           8
        .value_kind:     by_value
      - .address_space:  global
        .offset:         16
        .size:           8
        .value_kind:     global_buffer
      - .address_space:  global
        .offset:         24
        .size:           8
        .value_kind:     global_buffer
      - .offset:         32
        .size:           8
        .value_kind:     by_value
      - .offset:         40
        .size:           8
        .value_kind:     by_value
      - .address_space:  global
        .offset:         48
        .size:           8
        .value_kind:     global_buffer
      - .offset:         56
        .size:           8
        .value_kind:     by_value
      - .offset:         64
        .size:           8
        .value_kind:     by_value
      - .address_space:  global
        .offset:         72
        .size:           8
        .value_kind:     global_buffer
      - .address_space:  global
        .offset:         80
        .size:           8
        .value_kind:     global_buffer
      - .offset:         88
        .size:           8
        .value_kind:     by_value
      - .offset:         96
        .size:           8
        .value_kind:     by_value
      - .offset:         104
        .size:           4
        .value_kind:     by_value
    .group_segment_fixed_size: 4096
    .kernarg_segment_align: 8
    .kernarg_segment_size: 108
    .language:       OpenCL C
    .language_version:
      - 2
      - 0
    .max_flat_workgroup_size: 256
    .name:           _ZL29rocblas_internal_gemmt_kernelIlLi16ELi32ELi8ELc67ELc67ELc76ELb0ELb0EdPKdPKS1_PKPdEviT_T9_T10_S7_lS9_S7_lS8_T11_S7_li
    .private_segment_fixed_size: 0
    .sgpr_count:     40
    .sgpr_spill_count: 0
    .symbol:         _ZL29rocblas_internal_gemmt_kernelIlLi16ELi32ELi8ELc67ELc67ELc76ELb0ELb0EdPKdPKS1_PKPdEviT_T9_T10_S7_lS9_S7_lS8_T11_S7_li.kd
    .uniform_work_group_size: 1
    .uses_dynamic_stack: false
    .vgpr_count:     54
    .vgpr_spill_count: 0
    .wavefront_size: 32
  - .args:
      - .offset:         0
        .size:           4
        .value_kind:     by_value
      - .offset:         8
        .size:           8
        .value_kind:     by_value
      - .offset:         16
        .size:           8
        .value_kind:     by_value
      - .address_space:  global
        .offset:         24
        .size:           8
        .value_kind:     global_buffer
      - .offset:         32
        .size:           8
        .value_kind:     by_value
      - .offset:         40
        .size:           8
        .value_kind:     by_value
      - .address_space:  global
        .offset:         48
        .size:           8
        .value_kind:     global_buffer
      - .offset:         56
        .size:           8
        .value_kind:     by_value
      - .offset:         64
        .size:           8
        .value_kind:     by_value
      - .offset:         72
        .size:           8
        .value_kind:     by_value
      - .address_space:  global
        .offset:         80
        .size:           8
        .value_kind:     global_buffer
      - .offset:         88
        .size:           8
        .value_kind:     by_value
      - .offset:         96
        .size:           8
        .value_kind:     by_value
      - .offset:         104
        .size:           4
        .value_kind:     by_value
    .group_segment_fixed_size: 4096
    .kernarg_segment_align: 8
    .kernarg_segment_size: 108
    .language:       OpenCL C
    .language_version:
      - 2
      - 0
    .max_flat_workgroup_size: 256
    .name:           _ZL29rocblas_internal_gemmt_kernelIlLi16ELi32ELi8ELc78ELc78ELc85ELb0ELb0EddPKPKdPKPdEviT_T9_T10_S7_lS9_S7_lS8_T11_S7_li
    .private_segment_fixed_size: 0
    .sgpr_count:     40
    .sgpr_spill_count: 0
    .symbol:         _ZL29rocblas_internal_gemmt_kernelIlLi16ELi32ELi8ELc78ELc78ELc85ELb0ELb0EddPKPKdPKPdEviT_T9_T10_S7_lS9_S7_lS8_T11_S7_li.kd
    .uniform_work_group_size: 1
    .uses_dynamic_stack: false
    .vgpr_count:     54
    .vgpr_spill_count: 0
    .wavefront_size: 32
  - .args:
      - .offset:         0
        .size:           4
        .value_kind:     by_value
      - .offset:         8
        .size:           8
        .value_kind:     by_value
      - .offset:         16
        .size:           8
        .value_kind:     by_value
      - .address_space:  global
        .offset:         24
        .size:           8
        .value_kind:     global_buffer
      - .offset:         32
        .size:           8
        .value_kind:     by_value
      - .offset:         40
        .size:           8
        .value_kind:     by_value
      - .address_space:  global
        .offset:         48
        .size:           8
        .value_kind:     global_buffer
      - .offset:         56
        .size:           8
        .value_kind:     by_value
      - .offset:         64
        .size:           8
        .value_kind:     by_value
      - .offset:         72
        .size:           8
        .value_kind:     by_value
      - .address_space:  global
        .offset:         80
        .size:           8
        .value_kind:     global_buffer
      - .offset:         88
        .size:           8
        .value_kind:     by_value
      - .offset:         96
        .size:           8
        .value_kind:     by_value
      - .offset:         104
        .size:           4
        .value_kind:     by_value
    .group_segment_fixed_size: 4096
    .kernarg_segment_align: 8
    .kernarg_segment_size: 108
    .language:       OpenCL C
    .language_version:
      - 2
      - 0
    .max_flat_workgroup_size: 256
    .name:           _ZL29rocblas_internal_gemmt_kernelIlLi16ELi32ELi8ELc78ELc84ELc85ELb0ELb0EddPKPKdPKPdEviT_T9_T10_S7_lS9_S7_lS8_T11_S7_li
    .private_segment_fixed_size: 0
    .sgpr_count:     41
    .sgpr_spill_count: 0
    .symbol:         _ZL29rocblas_internal_gemmt_kernelIlLi16ELi32ELi8ELc78ELc84ELc85ELb0ELb0EddPKPKdPKPdEviT_T9_T10_S7_lS9_S7_lS8_T11_S7_li.kd
    .uniform_work_group_size: 1
    .uses_dynamic_stack: false
    .vgpr_count:     54
    .vgpr_spill_count: 0
    .wavefront_size: 32
  - .args:
      - .offset:         0
        .size:           4
        .value_kind:     by_value
      - .offset:         8
        .size:           8
        .value_kind:     by_value
      - .offset:         16
        .size:           8
        .value_kind:     by_value
      - .address_space:  global
        .offset:         24
        .size:           8
        .value_kind:     global_buffer
      - .offset:         32
        .size:           8
        .value_kind:     by_value
      - .offset:         40
        .size:           8
        .value_kind:     by_value
      - .address_space:  global
        .offset:         48
        .size:           8
        .value_kind:     global_buffer
      - .offset:         56
        .size:           8
        .value_kind:     by_value
      - .offset:         64
        .size:           8
        .value_kind:     by_value
      - .offset:         72
        .size:           8
        .value_kind:     by_value
      - .address_space:  global
        .offset:         80
        .size:           8
        .value_kind:     global_buffer
      - .offset:         88
        .size:           8
        .value_kind:     by_value
      - .offset:         96
        .size:           8
        .value_kind:     by_value
      - .offset:         104
        .size:           4
        .value_kind:     by_value
    .group_segment_fixed_size: 4096
    .kernarg_segment_align: 8
    .kernarg_segment_size: 108
    .language:       OpenCL C
    .language_version:
      - 2
      - 0
    .max_flat_workgroup_size: 256
    .name:           _ZL29rocblas_internal_gemmt_kernelIlLi16ELi32ELi8ELc78ELc67ELc85ELb0ELb0EddPKPKdPKPdEviT_T9_T10_S7_lS9_S7_lS8_T11_S7_li
    .private_segment_fixed_size: 0
    .sgpr_count:     41
    .sgpr_spill_count: 0
    .symbol:         _ZL29rocblas_internal_gemmt_kernelIlLi16ELi32ELi8ELc78ELc67ELc85ELb0ELb0EddPKPKdPKPdEviT_T9_T10_S7_lS9_S7_lS8_T11_S7_li.kd
    .uniform_work_group_size: 1
    .uses_dynamic_stack: false
    .vgpr_count:     54
    .vgpr_spill_count: 0
    .wavefront_size: 32
  - .args:
      - .offset:         0
        .size:           4
        .value_kind:     by_value
      - .offset:         8
        .size:           8
        .value_kind:     by_value
      - .offset:         16
        .size:           8
        .value_kind:     by_value
      - .address_space:  global
        .offset:         24
        .size:           8
        .value_kind:     global_buffer
      - .offset:         32
        .size:           8
        .value_kind:     by_value
      - .offset:         40
        .size:           8
        .value_kind:     by_value
      - .address_space:  global
        .offset:         48
        .size:           8
        .value_kind:     global_buffer
      - .offset:         56
        .size:           8
        .value_kind:     by_value
      - .offset:         64
        .size:           8
        .value_kind:     by_value
      - .offset:         72
        .size:           8
        .value_kind:     by_value
      - .address_space:  global
        .offset:         80
        .size:           8
        .value_kind:     global_buffer
      - .offset:         88
        .size:           8
        .value_kind:     by_value
      - .offset:         96
        .size:           8
        .value_kind:     by_value
      - .offset:         104
        .size:           4
        .value_kind:     by_value
    .group_segment_fixed_size: 4096
    .kernarg_segment_align: 8
    .kernarg_segment_size: 108
    .language:       OpenCL C
    .language_version:
      - 2
      - 0
    .max_flat_workgroup_size: 256
    .name:           _ZL29rocblas_internal_gemmt_kernelIlLi16ELi32ELi8ELc84ELc78ELc85ELb0ELb0EddPKPKdPKPdEviT_T9_T10_S7_lS9_S7_lS8_T11_S7_li
    .private_segment_fixed_size: 0
    .sgpr_count:     38
    .sgpr_spill_count: 0
    .symbol:         _ZL29rocblas_internal_gemmt_kernelIlLi16ELi32ELi8ELc84ELc78ELc85ELb0ELb0EddPKPKdPKPdEviT_T9_T10_S7_lS9_S7_lS8_T11_S7_li.kd
    .uniform_work_group_size: 1
    .uses_dynamic_stack: false
    .vgpr_count:     54
    .vgpr_spill_count: 0
    .wavefront_size: 32
  - .args:
      - .offset:         0
        .size:           4
        .value_kind:     by_value
      - .offset:         8
        .size:           8
        .value_kind:     by_value
      - .offset:         16
        .size:           8
        .value_kind:     by_value
      - .address_space:  global
        .offset:         24
        .size:           8
        .value_kind:     global_buffer
      - .offset:         32
        .size:           8
        .value_kind:     by_value
      - .offset:         40
        .size:           8
        .value_kind:     by_value
      - .address_space:  global
        .offset:         48
        .size:           8
        .value_kind:     global_buffer
      - .offset:         56
        .size:           8
        .value_kind:     by_value
      - .offset:         64
        .size:           8
        .value_kind:     by_value
      - .offset:         72
        .size:           8
        .value_kind:     by_value
      - .address_space:  global
        .offset:         80
        .size:           8
        .value_kind:     global_buffer
      - .offset:         88
        .size:           8
        .value_kind:     by_value
      - .offset:         96
        .size:           8
        .value_kind:     by_value
      - .offset:         104
        .size:           4
        .value_kind:     by_value
    .group_segment_fixed_size: 4096
    .kernarg_segment_align: 8
    .kernarg_segment_size: 108
    .language:       OpenCL C
    .language_version:
      - 2
      - 0
    .max_flat_workgroup_size: 256
    .name:           _ZL29rocblas_internal_gemmt_kernelIlLi16ELi32ELi8ELc84ELc84ELc85ELb0ELb0EddPKPKdPKPdEviT_T9_T10_S7_lS9_S7_lS8_T11_S7_li
    .private_segment_fixed_size: 0
    .sgpr_count:     40
    .sgpr_spill_count: 0
    .symbol:         _ZL29rocblas_internal_gemmt_kernelIlLi16ELi32ELi8ELc84ELc84ELc85ELb0ELb0EddPKPKdPKPdEviT_T9_T10_S7_lS9_S7_lS8_T11_S7_li.kd
    .uniform_work_group_size: 1
    .uses_dynamic_stack: false
    .vgpr_count:     54
    .vgpr_spill_count: 0
    .wavefront_size: 32
  - .args:
      - .offset:         0
        .size:           4
        .value_kind:     by_value
      - .offset:         8
        .size:           8
        .value_kind:     by_value
      - .offset:         16
        .size:           8
        .value_kind:     by_value
      - .address_space:  global
        .offset:         24
        .size:           8
        .value_kind:     global_buffer
      - .offset:         32
        .size:           8
        .value_kind:     by_value
      - .offset:         40
        .size:           8
        .value_kind:     by_value
      - .address_space:  global
        .offset:         48
        .size:           8
        .value_kind:     global_buffer
      - .offset:         56
        .size:           8
        .value_kind:     by_value
      - .offset:         64
        .size:           8
        .value_kind:     by_value
      - .offset:         72
        .size:           8
        .value_kind:     by_value
      - .address_space:  global
        .offset:         80
        .size:           8
        .value_kind:     global_buffer
      - .offset:         88
        .size:           8
        .value_kind:     by_value
      - .offset:         96
        .size:           8
        .value_kind:     by_value
      - .offset:         104
        .size:           4
        .value_kind:     by_value
    .group_segment_fixed_size: 4096
    .kernarg_segment_align: 8
    .kernarg_segment_size: 108
    .language:       OpenCL C
    .language_version:
      - 2
      - 0
    .max_flat_workgroup_size: 256
    .name:           _ZL29rocblas_internal_gemmt_kernelIlLi16ELi32ELi8ELc84ELc67ELc85ELb0ELb0EddPKPKdPKPdEviT_T9_T10_S7_lS9_S7_lS8_T11_S7_li
    .private_segment_fixed_size: 0
    .sgpr_count:     40
    .sgpr_spill_count: 0
    .symbol:         _ZL29rocblas_internal_gemmt_kernelIlLi16ELi32ELi8ELc84ELc67ELc85ELb0ELb0EddPKPKdPKPdEviT_T9_T10_S7_lS9_S7_lS8_T11_S7_li.kd
    .uniform_work_group_size: 1
    .uses_dynamic_stack: false
    .vgpr_count:     54
    .vgpr_spill_count: 0
    .wavefront_size: 32
  - .args:
      - .offset:         0
        .size:           4
        .value_kind:     by_value
      - .offset:         8
        .size:           8
        .value_kind:     by_value
      - .offset:         16
        .size:           8
        .value_kind:     by_value
      - .address_space:  global
        .offset:         24
        .size:           8
        .value_kind:     global_buffer
      - .offset:         32
        .size:           8
        .value_kind:     by_value
      - .offset:         40
        .size:           8
        .value_kind:     by_value
      - .address_space:  global
        .offset:         48
        .size:           8
        .value_kind:     global_buffer
      - .offset:         56
        .size:           8
        .value_kind:     by_value
      - .offset:         64
        .size:           8
        .value_kind:     by_value
      - .offset:         72
        .size:           8
        .value_kind:     by_value
      - .address_space:  global
        .offset:         80
        .size:           8
        .value_kind:     global_buffer
      - .offset:         88
        .size:           8
        .value_kind:     by_value
      - .offset:         96
        .size:           8
        .value_kind:     by_value
      - .offset:         104
        .size:           4
        .value_kind:     by_value
    .group_segment_fixed_size: 4096
    .kernarg_segment_align: 8
    .kernarg_segment_size: 108
    .language:       OpenCL C
    .language_version:
      - 2
      - 0
    .max_flat_workgroup_size: 256
    .name:           _ZL29rocblas_internal_gemmt_kernelIlLi16ELi32ELi8ELc67ELc78ELc85ELb0ELb0EddPKPKdPKPdEviT_T9_T10_S7_lS9_S7_lS8_T11_S7_li
    .private_segment_fixed_size: 0
    .sgpr_count:     38
    .sgpr_spill_count: 0
    .symbol:         _ZL29rocblas_internal_gemmt_kernelIlLi16ELi32ELi8ELc67ELc78ELc85ELb0ELb0EddPKPKdPKPdEviT_T9_T10_S7_lS9_S7_lS8_T11_S7_li.kd
    .uniform_work_group_size: 1
    .uses_dynamic_stack: false
    .vgpr_count:     54
    .vgpr_spill_count: 0
    .wavefront_size: 32
  - .args:
      - .offset:         0
        .size:           4
        .value_kind:     by_value
      - .offset:         8
        .size:           8
        .value_kind:     by_value
      - .offset:         16
        .size:           8
        .value_kind:     by_value
      - .address_space:  global
        .offset:         24
        .size:           8
        .value_kind:     global_buffer
      - .offset:         32
        .size:           8
        .value_kind:     by_value
      - .offset:         40
        .size:           8
        .value_kind:     by_value
      - .address_space:  global
        .offset:         48
        .size:           8
        .value_kind:     global_buffer
      - .offset:         56
        .size:           8
        .value_kind:     by_value
      - .offset:         64
        .size:           8
        .value_kind:     by_value
      - .offset:         72
        .size:           8
        .value_kind:     by_value
      - .address_space:  global
        .offset:         80
        .size:           8
        .value_kind:     global_buffer
      - .offset:         88
        .size:           8
        .value_kind:     by_value
      - .offset:         96
        .size:           8
        .value_kind:     by_value
      - .offset:         104
        .size:           4
        .value_kind:     by_value
    .group_segment_fixed_size: 4096
    .kernarg_segment_align: 8
    .kernarg_segment_size: 108
    .language:       OpenCL C
    .language_version:
      - 2
      - 0
    .max_flat_workgroup_size: 256
    .name:           _ZL29rocblas_internal_gemmt_kernelIlLi16ELi32ELi8ELc67ELc84ELc85ELb0ELb0EddPKPKdPKPdEviT_T9_T10_S7_lS9_S7_lS8_T11_S7_li
    .private_segment_fixed_size: 0
    .sgpr_count:     40
    .sgpr_spill_count: 0
    .symbol:         _ZL29rocblas_internal_gemmt_kernelIlLi16ELi32ELi8ELc67ELc84ELc85ELb0ELb0EddPKPKdPKPdEviT_T9_T10_S7_lS9_S7_lS8_T11_S7_li.kd
    .uniform_work_group_size: 1
    .uses_dynamic_stack: false
    .vgpr_count:     54
    .vgpr_spill_count: 0
    .wavefront_size: 32
  - .args:
      - .offset:         0
        .size:           4
        .value_kind:     by_value
      - .offset:         8
        .size:           8
        .value_kind:     by_value
      - .offset:         16
        .size:           8
        .value_kind:     by_value
      - .address_space:  global
        .offset:         24
        .size:           8
        .value_kind:     global_buffer
      - .offset:         32
        .size:           8
        .value_kind:     by_value
      - .offset:         40
        .size:           8
        .value_kind:     by_value
      - .address_space:  global
        .offset:         48
        .size:           8
        .value_kind:     global_buffer
      - .offset:         56
        .size:           8
        .value_kind:     by_value
      - .offset:         64
        .size:           8
        .value_kind:     by_value
      - .offset:         72
        .size:           8
        .value_kind:     by_value
      - .address_space:  global
        .offset:         80
        .size:           8
        .value_kind:     global_buffer
      - .offset:         88
        .size:           8
        .value_kind:     by_value
      - .offset:         96
        .size:           8
        .value_kind:     by_value
      - .offset:         104
        .size:           4
        .value_kind:     by_value
    .group_segment_fixed_size: 4096
    .kernarg_segment_align: 8
    .kernarg_segment_size: 108
    .language:       OpenCL C
    .language_version:
      - 2
      - 0
    .max_flat_workgroup_size: 256
    .name:           _ZL29rocblas_internal_gemmt_kernelIlLi16ELi32ELi8ELc67ELc67ELc85ELb0ELb0EddPKPKdPKPdEviT_T9_T10_S7_lS9_S7_lS8_T11_S7_li
    .private_segment_fixed_size: 0
    .sgpr_count:     40
    .sgpr_spill_count: 0
    .symbol:         _ZL29rocblas_internal_gemmt_kernelIlLi16ELi32ELi8ELc67ELc67ELc85ELb0ELb0EddPKPKdPKPdEviT_T9_T10_S7_lS9_S7_lS8_T11_S7_li.kd
    .uniform_work_group_size: 1
    .uses_dynamic_stack: false
    .vgpr_count:     54
    .vgpr_spill_count: 0
    .wavefront_size: 32
  - .args:
      - .offset:         0
        .size:           4
        .value_kind:     by_value
      - .offset:         8
        .size:           8
        .value_kind:     by_value
      - .offset:         16
        .size:           8
        .value_kind:     by_value
      - .address_space:  global
        .offset:         24
        .size:           8
        .value_kind:     global_buffer
      - .offset:         32
        .size:           8
        .value_kind:     by_value
      - .offset:         40
        .size:           8
        .value_kind:     by_value
      - .address_space:  global
        .offset:         48
        .size:           8
        .value_kind:     global_buffer
      - .offset:         56
        .size:           8
        .value_kind:     by_value
      - .offset:         64
        .size:           8
        .value_kind:     by_value
      - .offset:         72
        .size:           8
        .value_kind:     by_value
      - .address_space:  global
        .offset:         80
        .size:           8
        .value_kind:     global_buffer
      - .offset:         88
        .size:           8
        .value_kind:     by_value
      - .offset:         96
        .size:           8
        .value_kind:     by_value
      - .offset:         104
        .size:           4
        .value_kind:     by_value
    .group_segment_fixed_size: 4096
    .kernarg_segment_align: 8
    .kernarg_segment_size: 108
    .language:       OpenCL C
    .language_version:
      - 2
      - 0
    .max_flat_workgroup_size: 256
    .name:           _ZL29rocblas_internal_gemmt_kernelIlLi16ELi32ELi8ELc78ELc78ELc76ELb0ELb0EddPKPKdPKPdEviT_T9_T10_S7_lS9_S7_lS8_T11_S7_li
    .private_segment_fixed_size: 0
    .sgpr_count:     40
    .sgpr_spill_count: 0
    .symbol:         _ZL29rocblas_internal_gemmt_kernelIlLi16ELi32ELi8ELc78ELc78ELc76ELb0ELb0EddPKPKdPKPdEviT_T9_T10_S7_lS9_S7_lS8_T11_S7_li.kd
    .uniform_work_group_size: 1
    .uses_dynamic_stack: false
    .vgpr_count:     54
    .vgpr_spill_count: 0
    .wavefront_size: 32
  - .args:
      - .offset:         0
        .size:           4
        .value_kind:     by_value
      - .offset:         8
        .size:           8
        .value_kind:     by_value
      - .offset:         16
        .size:           8
        .value_kind:     by_value
      - .address_space:  global
        .offset:         24
        .size:           8
        .value_kind:     global_buffer
      - .offset:         32
        .size:           8
        .value_kind:     by_value
      - .offset:         40
        .size:           8
        .value_kind:     by_value
      - .address_space:  global
        .offset:         48
        .size:           8
        .value_kind:     global_buffer
      - .offset:         56
        .size:           8
        .value_kind:     by_value
      - .offset:         64
        .size:           8
        .value_kind:     by_value
      - .offset:         72
        .size:           8
        .value_kind:     by_value
      - .address_space:  global
        .offset:         80
        .size:           8
        .value_kind:     global_buffer
      - .offset:         88
        .size:           8
        .value_kind:     by_value
      - .offset:         96
        .size:           8
        .value_kind:     by_value
      - .offset:         104
        .size:           4
        .value_kind:     by_value
    .group_segment_fixed_size: 4096
    .kernarg_segment_align: 8
    .kernarg_segment_size: 108
    .language:       OpenCL C
    .language_version:
      - 2
      - 0
    .max_flat_workgroup_size: 256
    .name:           _ZL29rocblas_internal_gemmt_kernelIlLi16ELi32ELi8ELc78ELc84ELc76ELb0ELb0EddPKPKdPKPdEviT_T9_T10_S7_lS9_S7_lS8_T11_S7_li
    .private_segment_fixed_size: 0
    .sgpr_count:     41
    .sgpr_spill_count: 0
    .symbol:         _ZL29rocblas_internal_gemmt_kernelIlLi16ELi32ELi8ELc78ELc84ELc76ELb0ELb0EddPKPKdPKPdEviT_T9_T10_S7_lS9_S7_lS8_T11_S7_li.kd
    .uniform_work_group_size: 1
    .uses_dynamic_stack: false
    .vgpr_count:     54
    .vgpr_spill_count: 0
    .wavefront_size: 32
  - .args:
      - .offset:         0
        .size:           4
        .value_kind:     by_value
      - .offset:         8
        .size:           8
        .value_kind:     by_value
      - .offset:         16
        .size:           8
        .value_kind:     by_value
      - .address_space:  global
        .offset:         24
        .size:           8
        .value_kind:     global_buffer
      - .offset:         32
        .size:           8
        .value_kind:     by_value
      - .offset:         40
        .size:           8
        .value_kind:     by_value
      - .address_space:  global
        .offset:         48
        .size:           8
        .value_kind:     global_buffer
      - .offset:         56
        .size:           8
        .value_kind:     by_value
      - .offset:         64
        .size:           8
        .value_kind:     by_value
      - .offset:         72
        .size:           8
        .value_kind:     by_value
      - .address_space:  global
        .offset:         80
        .size:           8
        .value_kind:     global_buffer
      - .offset:         88
        .size:           8
        .value_kind:     by_value
      - .offset:         96
        .size:           8
        .value_kind:     by_value
      - .offset:         104
        .size:           4
        .value_kind:     by_value
    .group_segment_fixed_size: 4096
    .kernarg_segment_align: 8
    .kernarg_segment_size: 108
    .language:       OpenCL C
    .language_version:
      - 2
      - 0
    .max_flat_workgroup_size: 256
    .name:           _ZL29rocblas_internal_gemmt_kernelIlLi16ELi32ELi8ELc78ELc67ELc76ELb0ELb0EddPKPKdPKPdEviT_T9_T10_S7_lS9_S7_lS8_T11_S7_li
    .private_segment_fixed_size: 0
    .sgpr_count:     41
    .sgpr_spill_count: 0
    .symbol:         _ZL29rocblas_internal_gemmt_kernelIlLi16ELi32ELi8ELc78ELc67ELc76ELb0ELb0EddPKPKdPKPdEviT_T9_T10_S7_lS9_S7_lS8_T11_S7_li.kd
    .uniform_work_group_size: 1
    .uses_dynamic_stack: false
    .vgpr_count:     54
    .vgpr_spill_count: 0
    .wavefront_size: 32
  - .args:
      - .offset:         0
        .size:           4
        .value_kind:     by_value
      - .offset:         8
        .size:           8
        .value_kind:     by_value
      - .offset:         16
        .size:           8
        .value_kind:     by_value
      - .address_space:  global
        .offset:         24
        .size:           8
        .value_kind:     global_buffer
      - .offset:         32
        .size:           8
        .value_kind:     by_value
      - .offset:         40
        .size:           8
        .value_kind:     by_value
      - .address_space:  global
        .offset:         48
        .size:           8
        .value_kind:     global_buffer
      - .offset:         56
        .size:           8
        .value_kind:     by_value
      - .offset:         64
        .size:           8
        .value_kind:     by_value
      - .offset:         72
        .size:           8
        .value_kind:     by_value
      - .address_space:  global
        .offset:         80
        .size:           8
        .value_kind:     global_buffer
      - .offset:         88
        .size:           8
        .value_kind:     by_value
      - .offset:         96
        .size:           8
        .value_kind:     by_value
      - .offset:         104
        .size:           4
        .value_kind:     by_value
    .group_segment_fixed_size: 4096
    .kernarg_segment_align: 8
    .kernarg_segment_size: 108
    .language:       OpenCL C
    .language_version:
      - 2
      - 0
    .max_flat_workgroup_size: 256
    .name:           _ZL29rocblas_internal_gemmt_kernelIlLi16ELi32ELi8ELc84ELc78ELc76ELb0ELb0EddPKPKdPKPdEviT_T9_T10_S7_lS9_S7_lS8_T11_S7_li
    .private_segment_fixed_size: 0
    .sgpr_count:     38
    .sgpr_spill_count: 0
    .symbol:         _ZL29rocblas_internal_gemmt_kernelIlLi16ELi32ELi8ELc84ELc78ELc76ELb0ELb0EddPKPKdPKPdEviT_T9_T10_S7_lS9_S7_lS8_T11_S7_li.kd
    .uniform_work_group_size: 1
    .uses_dynamic_stack: false
    .vgpr_count:     54
    .vgpr_spill_count: 0
    .wavefront_size: 32
  - .args:
      - .offset:         0
        .size:           4
        .value_kind:     by_value
      - .offset:         8
        .size:           8
        .value_kind:     by_value
      - .offset:         16
        .size:           8
        .value_kind:     by_value
      - .address_space:  global
        .offset:         24
        .size:           8
        .value_kind:     global_buffer
      - .offset:         32
        .size:           8
        .value_kind:     by_value
      - .offset:         40
        .size:           8
        .value_kind:     by_value
      - .address_space:  global
        .offset:         48
        .size:           8
        .value_kind:     global_buffer
      - .offset:         56
        .size:           8
        .value_kind:     by_value
      - .offset:         64
        .size:           8
        .value_kind:     by_value
      - .offset:         72
        .size:           8
        .value_kind:     by_value
      - .address_space:  global
        .offset:         80
        .size:           8
        .value_kind:     global_buffer
      - .offset:         88
        .size:           8
        .value_kind:     by_value
      - .offset:         96
        .size:           8
        .value_kind:     by_value
      - .offset:         104
        .size:           4
        .value_kind:     by_value
    .group_segment_fixed_size: 4096
    .kernarg_segment_align: 8
    .kernarg_segment_size: 108
    .language:       OpenCL C
    .language_version:
      - 2
      - 0
    .max_flat_workgroup_size: 256
    .name:           _ZL29rocblas_internal_gemmt_kernelIlLi16ELi32ELi8ELc84ELc84ELc76ELb0ELb0EddPKPKdPKPdEviT_T9_T10_S7_lS9_S7_lS8_T11_S7_li
    .private_segment_fixed_size: 0
    .sgpr_count:     40
    .sgpr_spill_count: 0
    .symbol:         _ZL29rocblas_internal_gemmt_kernelIlLi16ELi32ELi8ELc84ELc84ELc76ELb0ELb0EddPKPKdPKPdEviT_T9_T10_S7_lS9_S7_lS8_T11_S7_li.kd
    .uniform_work_group_size: 1
    .uses_dynamic_stack: false
    .vgpr_count:     54
    .vgpr_spill_count: 0
    .wavefront_size: 32
  - .args:
      - .offset:         0
        .size:           4
        .value_kind:     by_value
      - .offset:         8
        .size:           8
        .value_kind:     by_value
      - .offset:         16
        .size:           8
        .value_kind:     by_value
      - .address_space:  global
        .offset:         24
        .size:           8
        .value_kind:     global_buffer
      - .offset:         32
        .size:           8
        .value_kind:     by_value
      - .offset:         40
        .size:           8
        .value_kind:     by_value
      - .address_space:  global
        .offset:         48
        .size:           8
        .value_kind:     global_buffer
      - .offset:         56
        .size:           8
        .value_kind:     by_value
      - .offset:         64
        .size:           8
        .value_kind:     by_value
      - .offset:         72
        .size:           8
        .value_kind:     by_value
      - .address_space:  global
        .offset:         80
        .size:           8
        .value_kind:     global_buffer
      - .offset:         88
        .size:           8
        .value_kind:     by_value
      - .offset:         96
        .size:           8
        .value_kind:     by_value
      - .offset:         104
        .size:           4
        .value_kind:     by_value
    .group_segment_fixed_size: 4096
    .kernarg_segment_align: 8
    .kernarg_segment_size: 108
    .language:       OpenCL C
    .language_version:
      - 2
      - 0
    .max_flat_workgroup_size: 256
    .name:           _ZL29rocblas_internal_gemmt_kernelIlLi16ELi32ELi8ELc84ELc67ELc76ELb0ELb0EddPKPKdPKPdEviT_T9_T10_S7_lS9_S7_lS8_T11_S7_li
    .private_segment_fixed_size: 0
    .sgpr_count:     40
    .sgpr_spill_count: 0
    .symbol:         _ZL29rocblas_internal_gemmt_kernelIlLi16ELi32ELi8ELc84ELc67ELc76ELb0ELb0EddPKPKdPKPdEviT_T9_T10_S7_lS9_S7_lS8_T11_S7_li.kd
    .uniform_work_group_size: 1
    .uses_dynamic_stack: false
    .vgpr_count:     54
    .vgpr_spill_count: 0
    .wavefront_size: 32
  - .args:
      - .offset:         0
        .size:           4
        .value_kind:     by_value
      - .offset:         8
        .size:           8
        .value_kind:     by_value
      - .offset:         16
        .size:           8
        .value_kind:     by_value
      - .address_space:  global
        .offset:         24
        .size:           8
        .value_kind:     global_buffer
      - .offset:         32
        .size:           8
        .value_kind:     by_value
      - .offset:         40
        .size:           8
        .value_kind:     by_value
      - .address_space:  global
        .offset:         48
        .size:           8
        .value_kind:     global_buffer
      - .offset:         56
        .size:           8
        .value_kind:     by_value
      - .offset:         64
        .size:           8
        .value_kind:     by_value
      - .offset:         72
        .size:           8
        .value_kind:     by_value
      - .address_space:  global
        .offset:         80
        .size:           8
        .value_kind:     global_buffer
      - .offset:         88
        .size:           8
        .value_kind:     by_value
      - .offset:         96
        .size:           8
        .value_kind:     by_value
      - .offset:         104
        .size:           4
        .value_kind:     by_value
    .group_segment_fixed_size: 4096
    .kernarg_segment_align: 8
    .kernarg_segment_size: 108
    .language:       OpenCL C
    .language_version:
      - 2
      - 0
    .max_flat_workgroup_size: 256
    .name:           _ZL29rocblas_internal_gemmt_kernelIlLi16ELi32ELi8ELc67ELc78ELc76ELb0ELb0EddPKPKdPKPdEviT_T9_T10_S7_lS9_S7_lS8_T11_S7_li
    .private_segment_fixed_size: 0
    .sgpr_count:     38
    .sgpr_spill_count: 0
    .symbol:         _ZL29rocblas_internal_gemmt_kernelIlLi16ELi32ELi8ELc67ELc78ELc76ELb0ELb0EddPKPKdPKPdEviT_T9_T10_S7_lS9_S7_lS8_T11_S7_li.kd
    .uniform_work_group_size: 1
    .uses_dynamic_stack: false
    .vgpr_count:     54
    .vgpr_spill_count: 0
    .wavefront_size: 32
  - .args:
      - .offset:         0
        .size:           4
        .value_kind:     by_value
      - .offset:         8
        .size:           8
        .value_kind:     by_value
      - .offset:         16
        .size:           8
        .value_kind:     by_value
      - .address_space:  global
        .offset:         24
        .size:           8
        .value_kind:     global_buffer
      - .offset:         32
        .size:           8
        .value_kind:     by_value
      - .offset:         40
        .size:           8
        .value_kind:     by_value
      - .address_space:  global
        .offset:         48
        .size:           8
        .value_kind:     global_buffer
      - .offset:         56
        .size:           8
        .value_kind:     by_value
      - .offset:         64
        .size:           8
        .value_kind:     by_value
      - .offset:         72
        .size:           8
        .value_kind:     by_value
      - .address_space:  global
        .offset:         80
        .size:           8
        .value_kind:     global_buffer
      - .offset:         88
        .size:           8
        .value_kind:     by_value
      - .offset:         96
        .size:           8
        .value_kind:     by_value
      - .offset:         104
        .size:           4
        .value_kind:     by_value
    .group_segment_fixed_size: 4096
    .kernarg_segment_align: 8
    .kernarg_segment_size: 108
    .language:       OpenCL C
    .language_version:
      - 2
      - 0
    .max_flat_workgroup_size: 256
    .name:           _ZL29rocblas_internal_gemmt_kernelIlLi16ELi32ELi8ELc67ELc84ELc76ELb0ELb0EddPKPKdPKPdEviT_T9_T10_S7_lS9_S7_lS8_T11_S7_li
    .private_segment_fixed_size: 0
    .sgpr_count:     40
    .sgpr_spill_count: 0
    .symbol:         _ZL29rocblas_internal_gemmt_kernelIlLi16ELi32ELi8ELc67ELc84ELc76ELb0ELb0EddPKPKdPKPdEviT_T9_T10_S7_lS9_S7_lS8_T11_S7_li.kd
    .uniform_work_group_size: 1
    .uses_dynamic_stack: false
    .vgpr_count:     54
    .vgpr_spill_count: 0
    .wavefront_size: 32
  - .args:
      - .offset:         0
        .size:           4
        .value_kind:     by_value
      - .offset:         8
        .size:           8
        .value_kind:     by_value
      - .offset:         16
        .size:           8
        .value_kind:     by_value
      - .address_space:  global
        .offset:         24
        .size:           8
        .value_kind:     global_buffer
      - .offset:         32
        .size:           8
        .value_kind:     by_value
      - .offset:         40
        .size:           8
        .value_kind:     by_value
      - .address_space:  global
        .offset:         48
        .size:           8
        .value_kind:     global_buffer
      - .offset:         56
        .size:           8
        .value_kind:     by_value
      - .offset:         64
        .size:           8
        .value_kind:     by_value
      - .offset:         72
        .size:           8
        .value_kind:     by_value
      - .address_space:  global
        .offset:         80
        .size:           8
        .value_kind:     global_buffer
      - .offset:         88
        .size:           8
        .value_kind:     by_value
      - .offset:         96
        .size:           8
        .value_kind:     by_value
      - .offset:         104
        .size:           4
        .value_kind:     by_value
    .group_segment_fixed_size: 4096
    .kernarg_segment_align: 8
    .kernarg_segment_size: 108
    .language:       OpenCL C
    .language_version:
      - 2
      - 0
    .max_flat_workgroup_size: 256
    .name:           _ZL29rocblas_internal_gemmt_kernelIlLi16ELi32ELi8ELc67ELc67ELc76ELb0ELb0EddPKPKdPKPdEviT_T9_T10_S7_lS9_S7_lS8_T11_S7_li
    .private_segment_fixed_size: 0
    .sgpr_count:     40
    .sgpr_spill_count: 0
    .symbol:         _ZL29rocblas_internal_gemmt_kernelIlLi16ELi32ELi8ELc67ELc67ELc76ELb0ELb0EddPKPKdPKPdEviT_T9_T10_S7_lS9_S7_lS8_T11_S7_li.kd
    .uniform_work_group_size: 1
    .uses_dynamic_stack: false
    .vgpr_count:     54
    .vgpr_spill_count: 0
    .wavefront_size: 32
  - .args:
      - .offset:         0
        .size:           4
        .value_kind:     by_value
      - .offset:         8
        .size:           8
        .value_kind:     by_value
      - .address_space:  global
        .offset:         16
        .size:           8
        .value_kind:     global_buffer
      - .address_space:  global
        .offset:         24
        .size:           8
        .value_kind:     global_buffer
      - .offset:         32
        .size:           8
        .value_kind:     by_value
      - .offset:         40
        .size:           8
        .value_kind:     by_value
      - .address_space:  global
        .offset:         48
        .size:           8
        .value_kind:     global_buffer
      - .offset:         56
        .size:           8
        .value_kind:     by_value
      - .offset:         64
        .size:           8
        .value_kind:     by_value
      - .address_space:  global
        .offset:         72
        .size:           8
        .value_kind:     global_buffer
      - .address_space:  global
        .offset:         80
        .size:           8
        .value_kind:     global_buffer
      - .offset:         88
        .size:           8
        .value_kind:     by_value
      - .offset:         96
        .size:           8
        .value_kind:     by_value
      - .offset:         104
        .size:           4
        .value_kind:     by_value
    .group_segment_fixed_size: 4096
    .kernarg_segment_align: 8
    .kernarg_segment_size: 108
    .language:       OpenCL C
    .language_version:
      - 2
      - 0
    .max_flat_workgroup_size: 256
    .name:           _ZL29rocblas_internal_gemmt_kernelIlLi16ELi32ELi8ELc78ELc78ELc85ELb0ELb0E19rocblas_complex_numIfEPKS1_PKS3_PKPS1_EviT_T9_T10_S9_lSB_S9_lSA_T11_S9_li
    .private_segment_fixed_size: 0
    .sgpr_count:     43
    .sgpr_spill_count: 0
    .symbol:         _ZL29rocblas_internal_gemmt_kernelIlLi16ELi32ELi8ELc78ELc78ELc85ELb0ELb0E19rocblas_complex_numIfEPKS1_PKS3_PKPS1_EviT_T9_T10_S9_lSB_S9_lSA_T11_S9_li.kd
    .uniform_work_group_size: 1
    .uses_dynamic_stack: false
    .vgpr_count:     72
    .vgpr_spill_count: 0
    .wavefront_size: 32
  - .args:
      - .offset:         0
        .size:           4
        .value_kind:     by_value
      - .offset:         8
        .size:           8
        .value_kind:     by_value
      - .address_space:  global
        .offset:         16
        .size:           8
        .value_kind:     global_buffer
      - .address_space:  global
        .offset:         24
        .size:           8
        .value_kind:     global_buffer
      - .offset:         32
        .size:           8
        .value_kind:     by_value
      - .offset:         40
        .size:           8
        .value_kind:     by_value
      - .address_space:  global
        .offset:         48
        .size:           8
        .value_kind:     global_buffer
      - .offset:         56
        .size:           8
        .value_kind:     by_value
      - .offset:         64
        .size:           8
        .value_kind:     by_value
      - .address_space:  global
        .offset:         72
        .size:           8
        .value_kind:     global_buffer
      - .address_space:  global
        .offset:         80
        .size:           8
        .value_kind:     global_buffer
      - .offset:         88
        .size:           8
        .value_kind:     by_value
      - .offset:         96
        .size:           8
        .value_kind:     by_value
      - .offset:         104
        .size:           4
        .value_kind:     by_value
    .group_segment_fixed_size: 4096
    .kernarg_segment_align: 8
    .kernarg_segment_size: 108
    .language:       OpenCL C
    .language_version:
      - 2
      - 0
    .max_flat_workgroup_size: 256
    .name:           _ZL29rocblas_internal_gemmt_kernelIlLi16ELi32ELi8ELc78ELc84ELc85ELb0ELb0E19rocblas_complex_numIfEPKS1_PKS3_PKPS1_EviT_T9_T10_S9_lSB_S9_lSA_T11_S9_li
    .private_segment_fixed_size: 0
    .sgpr_count:     44
    .sgpr_spill_count: 0
    .symbol:         _ZL29rocblas_internal_gemmt_kernelIlLi16ELi32ELi8ELc78ELc84ELc85ELb0ELb0E19rocblas_complex_numIfEPKS1_PKS3_PKPS1_EviT_T9_T10_S9_lSB_S9_lSA_T11_S9_li.kd
    .uniform_work_group_size: 1
    .uses_dynamic_stack: false
    .vgpr_count:     72
    .vgpr_spill_count: 0
    .wavefront_size: 32
  - .args:
      - .offset:         0
        .size:           4
        .value_kind:     by_value
      - .offset:         8
        .size:           8
        .value_kind:     by_value
      - .address_space:  global
        .offset:         16
        .size:           8
        .value_kind:     global_buffer
      - .address_space:  global
        .offset:         24
        .size:           8
        .value_kind:     global_buffer
      - .offset:         32
        .size:           8
        .value_kind:     by_value
      - .offset:         40
        .size:           8
        .value_kind:     by_value
      - .address_space:  global
        .offset:         48
        .size:           8
        .value_kind:     global_buffer
      - .offset:         56
        .size:           8
        .value_kind:     by_value
      - .offset:         64
        .size:           8
        .value_kind:     by_value
      - .address_space:  global
        .offset:         72
        .size:           8
        .value_kind:     global_buffer
      - .address_space:  global
        .offset:         80
        .size:           8
        .value_kind:     global_buffer
      - .offset:         88
        .size:           8
        .value_kind:     by_value
      - .offset:         96
        .size:           8
        .value_kind:     by_value
      - .offset:         104
        .size:           4
        .value_kind:     by_value
    .group_segment_fixed_size: 4096
    .kernarg_segment_align: 8
    .kernarg_segment_size: 108
    .language:       OpenCL C
    .language_version:
      - 2
      - 0
    .max_flat_workgroup_size: 256
    .name:           _ZL29rocblas_internal_gemmt_kernelIlLi16ELi32ELi8ELc78ELc67ELc85ELb0ELb1E19rocblas_complex_numIfEPKS1_PKS3_PKPS1_EviT_T9_T10_S9_lSB_S9_lSA_T11_S9_li
    .private_segment_fixed_size: 0
    .sgpr_count:     44
    .sgpr_spill_count: 0
    .symbol:         _ZL29rocblas_internal_gemmt_kernelIlLi16ELi32ELi8ELc78ELc67ELc85ELb0ELb1E19rocblas_complex_numIfEPKS1_PKS3_PKPS1_EviT_T9_T10_S9_lSB_S9_lSA_T11_S9_li.kd
    .uniform_work_group_size: 1
    .uses_dynamic_stack: false
    .vgpr_count:     72
    .vgpr_spill_count: 0
    .wavefront_size: 32
  - .args:
      - .offset:         0
        .size:           4
        .value_kind:     by_value
      - .offset:         8
        .size:           8
        .value_kind:     by_value
      - .address_space:  global
        .offset:         16
        .size:           8
        .value_kind:     global_buffer
      - .address_space:  global
        .offset:         24
        .size:           8
        .value_kind:     global_buffer
      - .offset:         32
        .size:           8
        .value_kind:     by_value
      - .offset:         40
        .size:           8
        .value_kind:     by_value
      - .address_space:  global
        .offset:         48
        .size:           8
        .value_kind:     global_buffer
      - .offset:         56
        .size:           8
        .value_kind:     by_value
      - .offset:         64
        .size:           8
        .value_kind:     by_value
      - .address_space:  global
        .offset:         72
        .size:           8
        .value_kind:     global_buffer
      - .address_space:  global
        .offset:         80
        .size:           8
        .value_kind:     global_buffer
      - .offset:         88
        .size:           8
        .value_kind:     by_value
      - .offset:         96
        .size:           8
        .value_kind:     by_value
      - .offset:         104
        .size:           4
        .value_kind:     by_value
    .group_segment_fixed_size: 4096
    .kernarg_segment_align: 8
    .kernarg_segment_size: 108
    .language:       OpenCL C
    .language_version:
      - 2
      - 0
    .max_flat_workgroup_size: 256
    .name:           _ZL29rocblas_internal_gemmt_kernelIlLi16ELi32ELi8ELc84ELc78ELc85ELb0ELb0E19rocblas_complex_numIfEPKS1_PKS3_PKPS1_EviT_T9_T10_S9_lSB_S9_lSA_T11_S9_li
    .private_segment_fixed_size: 0
    .sgpr_count:     41
    .sgpr_spill_count: 0
    .symbol:         _ZL29rocblas_internal_gemmt_kernelIlLi16ELi32ELi8ELc84ELc78ELc85ELb0ELb0E19rocblas_complex_numIfEPKS1_PKS3_PKPS1_EviT_T9_T10_S9_lSB_S9_lSA_T11_S9_li.kd
    .uniform_work_group_size: 1
    .uses_dynamic_stack: false
    .vgpr_count:     72
    .vgpr_spill_count: 0
    .wavefront_size: 32
  - .args:
      - .offset:         0
        .size:           4
        .value_kind:     by_value
      - .offset:         8
        .size:           8
        .value_kind:     by_value
      - .address_space:  global
        .offset:         16
        .size:           8
        .value_kind:     global_buffer
      - .address_space:  global
        .offset:         24
        .size:           8
        .value_kind:     global_buffer
      - .offset:         32
        .size:           8
        .value_kind:     by_value
      - .offset:         40
        .size:           8
        .value_kind:     by_value
      - .address_space:  global
        .offset:         48
        .size:           8
        .value_kind:     global_buffer
      - .offset:         56
        .size:           8
        .value_kind:     by_value
      - .offset:         64
        .size:           8
        .value_kind:     by_value
      - .address_space:  global
        .offset:         72
        .size:           8
        .value_kind:     global_buffer
      - .address_space:  global
        .offset:         80
        .size:           8
        .value_kind:     global_buffer
      - .offset:         88
        .size:           8
        .value_kind:     by_value
      - .offset:         96
        .size:           8
        .value_kind:     by_value
      - .offset:         104
        .size:           4
        .value_kind:     by_value
    .group_segment_fixed_size: 4096
    .kernarg_segment_align: 8
    .kernarg_segment_size: 108
    .language:       OpenCL C
    .language_version:
      - 2
      - 0
    .max_flat_workgroup_size: 256
    .name:           _ZL29rocblas_internal_gemmt_kernelIlLi16ELi32ELi8ELc84ELc84ELc85ELb0ELb0E19rocblas_complex_numIfEPKS1_PKS3_PKPS1_EviT_T9_T10_S9_lSB_S9_lSA_T11_S9_li
    .private_segment_fixed_size: 0
    .sgpr_count:     43
    .sgpr_spill_count: 0
    .symbol:         _ZL29rocblas_internal_gemmt_kernelIlLi16ELi32ELi8ELc84ELc84ELc85ELb0ELb0E19rocblas_complex_numIfEPKS1_PKS3_PKPS1_EviT_T9_T10_S9_lSB_S9_lSA_T11_S9_li.kd
    .uniform_work_group_size: 1
    .uses_dynamic_stack: false
    .vgpr_count:     72
    .vgpr_spill_count: 0
    .wavefront_size: 32
  - .args:
      - .offset:         0
        .size:           4
        .value_kind:     by_value
      - .offset:         8
        .size:           8
        .value_kind:     by_value
      - .address_space:  global
        .offset:         16
        .size:           8
        .value_kind:     global_buffer
      - .address_space:  global
        .offset:         24
        .size:           8
        .value_kind:     global_buffer
      - .offset:         32
        .size:           8
        .value_kind:     by_value
      - .offset:         40
        .size:           8
        .value_kind:     by_value
      - .address_space:  global
        .offset:         48
        .size:           8
        .value_kind:     global_buffer
      - .offset:         56
        .size:           8
        .value_kind:     by_value
      - .offset:         64
        .size:           8
        .value_kind:     by_value
      - .address_space:  global
        .offset:         72
        .size:           8
        .value_kind:     global_buffer
      - .address_space:  global
        .offset:         80
        .size:           8
        .value_kind:     global_buffer
      - .offset:         88
        .size:           8
        .value_kind:     by_value
      - .offset:         96
        .size:           8
        .value_kind:     by_value
      - .offset:         104
        .size:           4
        .value_kind:     by_value
    .group_segment_fixed_size: 4096
    .kernarg_segment_align: 8
    .kernarg_segment_size: 108
    .language:       OpenCL C
    .language_version:
      - 2
      - 0
    .max_flat_workgroup_size: 256
    .name:           _ZL29rocblas_internal_gemmt_kernelIlLi16ELi32ELi8ELc84ELc67ELc85ELb0ELb1E19rocblas_complex_numIfEPKS1_PKS3_PKPS1_EviT_T9_T10_S9_lSB_S9_lSA_T11_S9_li
    .private_segment_fixed_size: 0
    .sgpr_count:     42
    .sgpr_spill_count: 0
    .symbol:         _ZL29rocblas_internal_gemmt_kernelIlLi16ELi32ELi8ELc84ELc67ELc85ELb0ELb1E19rocblas_complex_numIfEPKS1_PKS3_PKPS1_EviT_T9_T10_S9_lSB_S9_lSA_T11_S9_li.kd
    .uniform_work_group_size: 1
    .uses_dynamic_stack: false
    .vgpr_count:     72
    .vgpr_spill_count: 0
    .wavefront_size: 32
  - .args:
      - .offset:         0
        .size:           4
        .value_kind:     by_value
      - .offset:         8
        .size:           8
        .value_kind:     by_value
      - .address_space:  global
        .offset:         16
        .size:           8
        .value_kind:     global_buffer
      - .address_space:  global
        .offset:         24
        .size:           8
        .value_kind:     global_buffer
      - .offset:         32
        .size:           8
        .value_kind:     by_value
      - .offset:         40
        .size:           8
        .value_kind:     by_value
      - .address_space:  global
        .offset:         48
        .size:           8
        .value_kind:     global_buffer
      - .offset:         56
        .size:           8
        .value_kind:     by_value
      - .offset:         64
        .size:           8
        .value_kind:     by_value
      - .address_space:  global
        .offset:         72
        .size:           8
        .value_kind:     global_buffer
      - .address_space:  global
        .offset:         80
        .size:           8
        .value_kind:     global_buffer
      - .offset:         88
        .size:           8
        .value_kind:     by_value
      - .offset:         96
        .size:           8
        .value_kind:     by_value
      - .offset:         104
        .size:           4
        .value_kind:     by_value
    .group_segment_fixed_size: 4096
    .kernarg_segment_align: 8
    .kernarg_segment_size: 108
    .language:       OpenCL C
    .language_version:
      - 2
      - 0
    .max_flat_workgroup_size: 256
    .name:           _ZL29rocblas_internal_gemmt_kernelIlLi16ELi32ELi8ELc67ELc78ELc85ELb1ELb0E19rocblas_complex_numIfEPKS1_PKS3_PKPS1_EviT_T9_T10_S9_lSB_S9_lSA_T11_S9_li
    .private_segment_fixed_size: 0
    .sgpr_count:     43
    .sgpr_spill_count: 0
    .symbol:         _ZL29rocblas_internal_gemmt_kernelIlLi16ELi32ELi8ELc67ELc78ELc85ELb1ELb0E19rocblas_complex_numIfEPKS1_PKS3_PKPS1_EviT_T9_T10_S9_lSB_S9_lSA_T11_S9_li.kd
    .uniform_work_group_size: 1
    .uses_dynamic_stack: false
    .vgpr_count:     74
    .vgpr_spill_count: 0
    .wavefront_size: 32
  - .args:
      - .offset:         0
        .size:           4
        .value_kind:     by_value
      - .offset:         8
        .size:           8
        .value_kind:     by_value
      - .address_space:  global
        .offset:         16
        .size:           8
        .value_kind:     global_buffer
      - .address_space:  global
        .offset:         24
        .size:           8
        .value_kind:     global_buffer
      - .offset:         32
        .size:           8
        .value_kind:     by_value
      - .offset:         40
        .size:           8
        .value_kind:     by_value
      - .address_space:  global
        .offset:         48
        .size:           8
        .value_kind:     global_buffer
      - .offset:         56
        .size:           8
        .value_kind:     by_value
      - .offset:         64
        .size:           8
        .value_kind:     by_value
      - .address_space:  global
        .offset:         72
        .size:           8
        .value_kind:     global_buffer
      - .address_space:  global
        .offset:         80
        .size:           8
        .value_kind:     global_buffer
      - .offset:         88
        .size:           8
        .value_kind:     by_value
      - .offset:         96
        .size:           8
        .value_kind:     by_value
      - .offset:         104
        .size:           4
        .value_kind:     by_value
    .group_segment_fixed_size: 4096
    .kernarg_segment_align: 8
    .kernarg_segment_size: 108
    .language:       OpenCL C
    .language_version:
      - 2
      - 0
    .max_flat_workgroup_size: 256
    .name:           _ZL29rocblas_internal_gemmt_kernelIlLi16ELi32ELi8ELc67ELc84ELc85ELb1ELb0E19rocblas_complex_numIfEPKS1_PKS3_PKPS1_EviT_T9_T10_S9_lSB_S9_lSA_T11_S9_li
    .private_segment_fixed_size: 0
    .sgpr_count:     45
    .sgpr_spill_count: 0
    .symbol:         _ZL29rocblas_internal_gemmt_kernelIlLi16ELi32ELi8ELc67ELc84ELc85ELb1ELb0E19rocblas_complex_numIfEPKS1_PKS3_PKPS1_EviT_T9_T10_S9_lSB_S9_lSA_T11_S9_li.kd
    .uniform_work_group_size: 1
    .uses_dynamic_stack: false
    .vgpr_count:     74
    .vgpr_spill_count: 0
    .wavefront_size: 32
  - .args:
      - .offset:         0
        .size:           4
        .value_kind:     by_value
      - .offset:         8
        .size:           8
        .value_kind:     by_value
      - .address_space:  global
        .offset:         16
        .size:           8
        .value_kind:     global_buffer
      - .address_space:  global
        .offset:         24
        .size:           8
        .value_kind:     global_buffer
      - .offset:         32
        .size:           8
        .value_kind:     by_value
      - .offset:         40
        .size:           8
        .value_kind:     by_value
      - .address_space:  global
        .offset:         48
        .size:           8
        .value_kind:     global_buffer
      - .offset:         56
        .size:           8
        .value_kind:     by_value
      - .offset:         64
        .size:           8
        .value_kind:     by_value
      - .address_space:  global
        .offset:         72
        .size:           8
        .value_kind:     global_buffer
      - .address_space:  global
        .offset:         80
        .size:           8
        .value_kind:     global_buffer
      - .offset:         88
        .size:           8
        .value_kind:     by_value
      - .offset:         96
        .size:           8
        .value_kind:     by_value
      - .offset:         104
        .size:           4
        .value_kind:     by_value
    .group_segment_fixed_size: 4096
    .kernarg_segment_align: 8
    .kernarg_segment_size: 108
    .language:       OpenCL C
    .language_version:
      - 2
      - 0
    .max_flat_workgroup_size: 256
    .name:           _ZL29rocblas_internal_gemmt_kernelIlLi16ELi32ELi8ELc67ELc67ELc85ELb1ELb1E19rocblas_complex_numIfEPKS1_PKS3_PKPS1_EviT_T9_T10_S9_lSB_S9_lSA_T11_S9_li
    .private_segment_fixed_size: 0
    .sgpr_count:     45
    .sgpr_spill_count: 0
    .symbol:         _ZL29rocblas_internal_gemmt_kernelIlLi16ELi32ELi8ELc67ELc67ELc85ELb1ELb1E19rocblas_complex_numIfEPKS1_PKS3_PKPS1_EviT_T9_T10_S9_lSB_S9_lSA_T11_S9_li.kd
    .uniform_work_group_size: 1
    .uses_dynamic_stack: false
    .vgpr_count:     74
    .vgpr_spill_count: 0
    .wavefront_size: 32
  - .args:
      - .offset:         0
        .size:           4
        .value_kind:     by_value
      - .offset:         8
        .size:           8
        .value_kind:     by_value
      - .address_space:  global
        .offset:         16
        .size:           8
        .value_kind:     global_buffer
      - .address_space:  global
        .offset:         24
        .size:           8
        .value_kind:     global_buffer
      - .offset:         32
        .size:           8
        .value_kind:     by_value
      - .offset:         40
        .size:           8
        .value_kind:     by_value
      - .address_space:  global
        .offset:         48
        .size:           8
        .value_kind:     global_buffer
      - .offset:         56
        .size:           8
        .value_kind:     by_value
      - .offset:         64
        .size:           8
        .value_kind:     by_value
      - .address_space:  global
        .offset:         72
        .size:           8
        .value_kind:     global_buffer
      - .address_space:  global
        .offset:         80
        .size:           8
        .value_kind:     global_buffer
      - .offset:         88
        .size:           8
        .value_kind:     by_value
      - .offset:         96
        .size:           8
        .value_kind:     by_value
      - .offset:         104
        .size:           4
        .value_kind:     by_value
    .group_segment_fixed_size: 4096
    .kernarg_segment_align: 8
    .kernarg_segment_size: 108
    .language:       OpenCL C
    .language_version:
      - 2
      - 0
    .max_flat_workgroup_size: 256
    .name:           _ZL29rocblas_internal_gemmt_kernelIlLi16ELi32ELi8ELc78ELc78ELc76ELb0ELb0E19rocblas_complex_numIfEPKS1_PKS3_PKPS1_EviT_T9_T10_S9_lSB_S9_lSA_T11_S9_li
    .private_segment_fixed_size: 0
    .sgpr_count:     43
    .sgpr_spill_count: 0
    .symbol:         _ZL29rocblas_internal_gemmt_kernelIlLi16ELi32ELi8ELc78ELc78ELc76ELb0ELb0E19rocblas_complex_numIfEPKS1_PKS3_PKPS1_EviT_T9_T10_S9_lSB_S9_lSA_T11_S9_li.kd
    .uniform_work_group_size: 1
    .uses_dynamic_stack: false
    .vgpr_count:     72
    .vgpr_spill_count: 0
    .wavefront_size: 32
  - .args:
      - .offset:         0
        .size:           4
        .value_kind:     by_value
      - .offset:         8
        .size:           8
        .value_kind:     by_value
      - .address_space:  global
        .offset:         16
        .size:           8
        .value_kind:     global_buffer
      - .address_space:  global
        .offset:         24
        .size:           8
        .value_kind:     global_buffer
      - .offset:         32
        .size:           8
        .value_kind:     by_value
      - .offset:         40
        .size:           8
        .value_kind:     by_value
      - .address_space:  global
        .offset:         48
        .size:           8
        .value_kind:     global_buffer
      - .offset:         56
        .size:           8
        .value_kind:     by_value
      - .offset:         64
        .size:           8
        .value_kind:     by_value
      - .address_space:  global
        .offset:         72
        .size:           8
        .value_kind:     global_buffer
      - .address_space:  global
        .offset:         80
        .size:           8
        .value_kind:     global_buffer
      - .offset:         88
        .size:           8
        .value_kind:     by_value
      - .offset:         96
        .size:           8
        .value_kind:     by_value
      - .offset:         104
        .size:           4
        .value_kind:     by_value
    .group_segment_fixed_size: 4096
    .kernarg_segment_align: 8
    .kernarg_segment_size: 108
    .language:       OpenCL C
    .language_version:
      - 2
      - 0
    .max_flat_workgroup_size: 256
    .name:           _ZL29rocblas_internal_gemmt_kernelIlLi16ELi32ELi8ELc78ELc84ELc76ELb0ELb0E19rocblas_complex_numIfEPKS1_PKS3_PKPS1_EviT_T9_T10_S9_lSB_S9_lSA_T11_S9_li
    .private_segment_fixed_size: 0
    .sgpr_count:     44
    .sgpr_spill_count: 0
    .symbol:         _ZL29rocblas_internal_gemmt_kernelIlLi16ELi32ELi8ELc78ELc84ELc76ELb0ELb0E19rocblas_complex_numIfEPKS1_PKS3_PKPS1_EviT_T9_T10_S9_lSB_S9_lSA_T11_S9_li.kd
    .uniform_work_group_size: 1
    .uses_dynamic_stack: false
    .vgpr_count:     72
    .vgpr_spill_count: 0
    .wavefront_size: 32
  - .args:
      - .offset:         0
        .size:           4
        .value_kind:     by_value
      - .offset:         8
        .size:           8
        .value_kind:     by_value
      - .address_space:  global
        .offset:         16
        .size:           8
        .value_kind:     global_buffer
      - .address_space:  global
        .offset:         24
        .size:           8
        .value_kind:     global_buffer
      - .offset:         32
        .size:           8
        .value_kind:     by_value
      - .offset:         40
        .size:           8
        .value_kind:     by_value
      - .address_space:  global
        .offset:         48
        .size:           8
        .value_kind:     global_buffer
      - .offset:         56
        .size:           8
        .value_kind:     by_value
      - .offset:         64
        .size:           8
        .value_kind:     by_value
      - .address_space:  global
        .offset:         72
        .size:           8
        .value_kind:     global_buffer
      - .address_space:  global
        .offset:         80
        .size:           8
        .value_kind:     global_buffer
      - .offset:         88
        .size:           8
        .value_kind:     by_value
      - .offset:         96
        .size:           8
        .value_kind:     by_value
      - .offset:         104
        .size:           4
        .value_kind:     by_value
    .group_segment_fixed_size: 4096
    .kernarg_segment_align: 8
    .kernarg_segment_size: 108
    .language:       OpenCL C
    .language_version:
      - 2
      - 0
    .max_flat_workgroup_size: 256
    .name:           _ZL29rocblas_internal_gemmt_kernelIlLi16ELi32ELi8ELc78ELc67ELc76ELb0ELb1E19rocblas_complex_numIfEPKS1_PKS3_PKPS1_EviT_T9_T10_S9_lSB_S9_lSA_T11_S9_li
    .private_segment_fixed_size: 0
    .sgpr_count:     44
    .sgpr_spill_count: 0
    .symbol:         _ZL29rocblas_internal_gemmt_kernelIlLi16ELi32ELi8ELc78ELc67ELc76ELb0ELb1E19rocblas_complex_numIfEPKS1_PKS3_PKPS1_EviT_T9_T10_S9_lSB_S9_lSA_T11_S9_li.kd
    .uniform_work_group_size: 1
    .uses_dynamic_stack: false
    .vgpr_count:     72
    .vgpr_spill_count: 0
    .wavefront_size: 32
  - .args:
      - .offset:         0
        .size:           4
        .value_kind:     by_value
      - .offset:         8
        .size:           8
        .value_kind:     by_value
      - .address_space:  global
        .offset:         16
        .size:           8
        .value_kind:     global_buffer
      - .address_space:  global
        .offset:         24
        .size:           8
        .value_kind:     global_buffer
      - .offset:         32
        .size:           8
        .value_kind:     by_value
      - .offset:         40
        .size:           8
        .value_kind:     by_value
      - .address_space:  global
        .offset:         48
        .size:           8
        .value_kind:     global_buffer
      - .offset:         56
        .size:           8
        .value_kind:     by_value
      - .offset:         64
        .size:           8
        .value_kind:     by_value
      - .address_space:  global
        .offset:         72
        .size:           8
        .value_kind:     global_buffer
      - .address_space:  global
        .offset:         80
        .size:           8
        .value_kind:     global_buffer
      - .offset:         88
        .size:           8
        .value_kind:     by_value
      - .offset:         96
        .size:           8
        .value_kind:     by_value
      - .offset:         104
        .size:           4
        .value_kind:     by_value
    .group_segment_fixed_size: 4096
    .kernarg_segment_align: 8
    .kernarg_segment_size: 108
    .language:       OpenCL C
    .language_version:
      - 2
      - 0
    .max_flat_workgroup_size: 256
    .name:           _ZL29rocblas_internal_gemmt_kernelIlLi16ELi32ELi8ELc84ELc78ELc76ELb0ELb0E19rocblas_complex_numIfEPKS1_PKS3_PKPS1_EviT_T9_T10_S9_lSB_S9_lSA_T11_S9_li
    .private_segment_fixed_size: 0
    .sgpr_count:     41
    .sgpr_spill_count: 0
    .symbol:         _ZL29rocblas_internal_gemmt_kernelIlLi16ELi32ELi8ELc84ELc78ELc76ELb0ELb0E19rocblas_complex_numIfEPKS1_PKS3_PKPS1_EviT_T9_T10_S9_lSB_S9_lSA_T11_S9_li.kd
    .uniform_work_group_size: 1
    .uses_dynamic_stack: false
    .vgpr_count:     72
    .vgpr_spill_count: 0
    .wavefront_size: 32
  - .args:
      - .offset:         0
        .size:           4
        .value_kind:     by_value
      - .offset:         8
        .size:           8
        .value_kind:     by_value
      - .address_space:  global
        .offset:         16
        .size:           8
        .value_kind:     global_buffer
      - .address_space:  global
        .offset:         24
        .size:           8
        .value_kind:     global_buffer
      - .offset:         32
        .size:           8
        .value_kind:     by_value
      - .offset:         40
        .size:           8
        .value_kind:     by_value
      - .address_space:  global
        .offset:         48
        .size:           8
        .value_kind:     global_buffer
      - .offset:         56
        .size:           8
        .value_kind:     by_value
      - .offset:         64
        .size:           8
        .value_kind:     by_value
      - .address_space:  global
        .offset:         72
        .size:           8
        .value_kind:     global_buffer
      - .address_space:  global
        .offset:         80
        .size:           8
        .value_kind:     global_buffer
      - .offset:         88
        .size:           8
        .value_kind:     by_value
      - .offset:         96
        .size:           8
        .value_kind:     by_value
      - .offset:         104
        .size:           4
        .value_kind:     by_value
    .group_segment_fixed_size: 4096
    .kernarg_segment_align: 8
    .kernarg_segment_size: 108
    .language:       OpenCL C
    .language_version:
      - 2
      - 0
    .max_flat_workgroup_size: 256
    .name:           _ZL29rocblas_internal_gemmt_kernelIlLi16ELi32ELi8ELc84ELc84ELc76ELb0ELb0E19rocblas_complex_numIfEPKS1_PKS3_PKPS1_EviT_T9_T10_S9_lSB_S9_lSA_T11_S9_li
    .private_segment_fixed_size: 0
    .sgpr_count:     43
    .sgpr_spill_count: 0
    .symbol:         _ZL29rocblas_internal_gemmt_kernelIlLi16ELi32ELi8ELc84ELc84ELc76ELb0ELb0E19rocblas_complex_numIfEPKS1_PKS3_PKPS1_EviT_T9_T10_S9_lSB_S9_lSA_T11_S9_li.kd
    .uniform_work_group_size: 1
    .uses_dynamic_stack: false
    .vgpr_count:     72
    .vgpr_spill_count: 0
    .wavefront_size: 32
  - .args:
      - .offset:         0
        .size:           4
        .value_kind:     by_value
      - .offset:         8
        .size:           8
        .value_kind:     by_value
      - .address_space:  global
        .offset:         16
        .size:           8
        .value_kind:     global_buffer
      - .address_space:  global
        .offset:         24
        .size:           8
        .value_kind:     global_buffer
      - .offset:         32
        .size:           8
        .value_kind:     by_value
      - .offset:         40
        .size:           8
        .value_kind:     by_value
      - .address_space:  global
        .offset:         48
        .size:           8
        .value_kind:     global_buffer
      - .offset:         56
        .size:           8
        .value_kind:     by_value
      - .offset:         64
        .size:           8
        .value_kind:     by_value
      - .address_space:  global
        .offset:         72
        .size:           8
        .value_kind:     global_buffer
      - .address_space:  global
        .offset:         80
        .size:           8
        .value_kind:     global_buffer
      - .offset:         88
        .size:           8
        .value_kind:     by_value
      - .offset:         96
        .size:           8
        .value_kind:     by_value
      - .offset:         104
        .size:           4
        .value_kind:     by_value
    .group_segment_fixed_size: 4096
    .kernarg_segment_align: 8
    .kernarg_segment_size: 108
    .language:       OpenCL C
    .language_version:
      - 2
      - 0
    .max_flat_workgroup_size: 256
    .name:           _ZL29rocblas_internal_gemmt_kernelIlLi16ELi32ELi8ELc84ELc67ELc76ELb0ELb1E19rocblas_complex_numIfEPKS1_PKS3_PKPS1_EviT_T9_T10_S9_lSB_S9_lSA_T11_S9_li
    .private_segment_fixed_size: 0
    .sgpr_count:     42
    .sgpr_spill_count: 0
    .symbol:         _ZL29rocblas_internal_gemmt_kernelIlLi16ELi32ELi8ELc84ELc67ELc76ELb0ELb1E19rocblas_complex_numIfEPKS1_PKS3_PKPS1_EviT_T9_T10_S9_lSB_S9_lSA_T11_S9_li.kd
    .uniform_work_group_size: 1
    .uses_dynamic_stack: false
    .vgpr_count:     72
    .vgpr_spill_count: 0
    .wavefront_size: 32
  - .args:
      - .offset:         0
        .size:           4
        .value_kind:     by_value
      - .offset:         8
        .size:           8
        .value_kind:     by_value
      - .address_space:  global
        .offset:         16
        .size:           8
        .value_kind:     global_buffer
      - .address_space:  global
        .offset:         24
        .size:           8
        .value_kind:     global_buffer
      - .offset:         32
        .size:           8
        .value_kind:     by_value
      - .offset:         40
        .size:           8
        .value_kind:     by_value
      - .address_space:  global
        .offset:         48
        .size:           8
        .value_kind:     global_buffer
      - .offset:         56
        .size:           8
        .value_kind:     by_value
      - .offset:         64
        .size:           8
        .value_kind:     by_value
      - .address_space:  global
        .offset:         72
        .size:           8
        .value_kind:     global_buffer
      - .address_space:  global
        .offset:         80
        .size:           8
        .value_kind:     global_buffer
      - .offset:         88
        .size:           8
        .value_kind:     by_value
      - .offset:         96
        .size:           8
        .value_kind:     by_value
      - .offset:         104
        .size:           4
        .value_kind:     by_value
    .group_segment_fixed_size: 4096
    .kernarg_segment_align: 8
    .kernarg_segment_size: 108
    .language:       OpenCL C
    .language_version:
      - 2
      - 0
    .max_flat_workgroup_size: 256
    .name:           _ZL29rocblas_internal_gemmt_kernelIlLi16ELi32ELi8ELc67ELc78ELc76ELb1ELb0E19rocblas_complex_numIfEPKS1_PKS3_PKPS1_EviT_T9_T10_S9_lSB_S9_lSA_T11_S9_li
    .private_segment_fixed_size: 0
    .sgpr_count:     43
    .sgpr_spill_count: 0
    .symbol:         _ZL29rocblas_internal_gemmt_kernelIlLi16ELi32ELi8ELc67ELc78ELc76ELb1ELb0E19rocblas_complex_numIfEPKS1_PKS3_PKPS1_EviT_T9_T10_S9_lSB_S9_lSA_T11_S9_li.kd
    .uniform_work_group_size: 1
    .uses_dynamic_stack: false
    .vgpr_count:     74
    .vgpr_spill_count: 0
    .wavefront_size: 32
  - .args:
      - .offset:         0
        .size:           4
        .value_kind:     by_value
      - .offset:         8
        .size:           8
        .value_kind:     by_value
      - .address_space:  global
        .offset:         16
        .size:           8
        .value_kind:     global_buffer
      - .address_space:  global
        .offset:         24
        .size:           8
        .value_kind:     global_buffer
      - .offset:         32
        .size:           8
        .value_kind:     by_value
      - .offset:         40
        .size:           8
        .value_kind:     by_value
      - .address_space:  global
        .offset:         48
        .size:           8
        .value_kind:     global_buffer
      - .offset:         56
        .size:           8
        .value_kind:     by_value
      - .offset:         64
        .size:           8
        .value_kind:     by_value
      - .address_space:  global
        .offset:         72
        .size:           8
        .value_kind:     global_buffer
      - .address_space:  global
        .offset:         80
        .size:           8
        .value_kind:     global_buffer
      - .offset:         88
        .size:           8
        .value_kind:     by_value
      - .offset:         96
        .size:           8
        .value_kind:     by_value
      - .offset:         104
        .size:           4
        .value_kind:     by_value
    .group_segment_fixed_size: 4096
    .kernarg_segment_align: 8
    .kernarg_segment_size: 108
    .language:       OpenCL C
    .language_version:
      - 2
      - 0
    .max_flat_workgroup_size: 256
    .name:           _ZL29rocblas_internal_gemmt_kernelIlLi16ELi32ELi8ELc67ELc84ELc76ELb1ELb0E19rocblas_complex_numIfEPKS1_PKS3_PKPS1_EviT_T9_T10_S9_lSB_S9_lSA_T11_S9_li
    .private_segment_fixed_size: 0
    .sgpr_count:     45
    .sgpr_spill_count: 0
    .symbol:         _ZL29rocblas_internal_gemmt_kernelIlLi16ELi32ELi8ELc67ELc84ELc76ELb1ELb0E19rocblas_complex_numIfEPKS1_PKS3_PKPS1_EviT_T9_T10_S9_lSB_S9_lSA_T11_S9_li.kd
    .uniform_work_group_size: 1
    .uses_dynamic_stack: false
    .vgpr_count:     74
    .vgpr_spill_count: 0
    .wavefront_size: 32
  - .args:
      - .offset:         0
        .size:           4
        .value_kind:     by_value
      - .offset:         8
        .size:           8
        .value_kind:     by_value
      - .address_space:  global
        .offset:         16
        .size:           8
        .value_kind:     global_buffer
      - .address_space:  global
        .offset:         24
        .size:           8
        .value_kind:     global_buffer
      - .offset:         32
        .size:           8
        .value_kind:     by_value
      - .offset:         40
        .size:           8
        .value_kind:     by_value
      - .address_space:  global
        .offset:         48
        .size:           8
        .value_kind:     global_buffer
      - .offset:         56
        .size:           8
        .value_kind:     by_value
      - .offset:         64
        .size:           8
        .value_kind:     by_value
      - .address_space:  global
        .offset:         72
        .size:           8
        .value_kind:     global_buffer
      - .address_space:  global
        .offset:         80
        .size:           8
        .value_kind:     global_buffer
      - .offset:         88
        .size:           8
        .value_kind:     by_value
      - .offset:         96
        .size:           8
        .value_kind:     by_value
      - .offset:         104
        .size:           4
        .value_kind:     by_value
    .group_segment_fixed_size: 4096
    .kernarg_segment_align: 8
    .kernarg_segment_size: 108
    .language:       OpenCL C
    .language_version:
      - 2
      - 0
    .max_flat_workgroup_size: 256
    .name:           _ZL29rocblas_internal_gemmt_kernelIlLi16ELi32ELi8ELc67ELc67ELc76ELb1ELb1E19rocblas_complex_numIfEPKS1_PKS3_PKPS1_EviT_T9_T10_S9_lSB_S9_lSA_T11_S9_li
    .private_segment_fixed_size: 0
    .sgpr_count:     45
    .sgpr_spill_count: 0
    .symbol:         _ZL29rocblas_internal_gemmt_kernelIlLi16ELi32ELi8ELc67ELc67ELc76ELb1ELb1E19rocblas_complex_numIfEPKS1_PKS3_PKPS1_EviT_T9_T10_S9_lSB_S9_lSA_T11_S9_li.kd
    .uniform_work_group_size: 1
    .uses_dynamic_stack: false
    .vgpr_count:     74
    .vgpr_spill_count: 0
    .wavefront_size: 32
  - .args:
      - .offset:         0
        .size:           4
        .value_kind:     by_value
      - .offset:         8
        .size:           8
        .value_kind:     by_value
      - .offset:         16
        .size:           8
        .value_kind:     by_value
      - .address_space:  global
        .offset:         24
        .size:           8
        .value_kind:     global_buffer
      - .offset:         32
        .size:           8
        .value_kind:     by_value
      - .offset:         40
        .size:           8
        .value_kind:     by_value
      - .address_space:  global
        .offset:         48
        .size:           8
        .value_kind:     global_buffer
      - .offset:         56
        .size:           8
        .value_kind:     by_value
      - .offset:         64
        .size:           8
        .value_kind:     by_value
      - .offset:         72
        .size:           8
        .value_kind:     by_value
      - .address_space:  global
        .offset:         80
        .size:           8
        .value_kind:     global_buffer
      - .offset:         88
        .size:           8
        .value_kind:     by_value
      - .offset:         96
        .size:           8
        .value_kind:     by_value
      - .offset:         104
        .size:           4
        .value_kind:     by_value
    .group_segment_fixed_size: 4096
    .kernarg_segment_align: 8
    .kernarg_segment_size: 108
    .language:       OpenCL C
    .language_version:
      - 2
      - 0
    .max_flat_workgroup_size: 256
    .name:           _ZL29rocblas_internal_gemmt_kernelIlLi16ELi32ELi8ELc78ELc78ELc85ELb0ELb0E19rocblas_complex_numIfES1_PKPKS1_PKPS1_EviT_T9_T10_S9_lSB_S9_lSA_T11_S9_li
    .private_segment_fixed_size: 0
    .sgpr_count:     42
    .sgpr_spill_count: 0
    .symbol:         _ZL29rocblas_internal_gemmt_kernelIlLi16ELi32ELi8ELc78ELc78ELc85ELb0ELb0E19rocblas_complex_numIfES1_PKPKS1_PKPS1_EviT_T9_T10_S9_lSB_S9_lSA_T11_S9_li.kd
    .uniform_work_group_size: 1
    .uses_dynamic_stack: false
    .vgpr_count:     72
    .vgpr_spill_count: 0
    .wavefront_size: 32
  - .args:
      - .offset:         0
        .size:           4
        .value_kind:     by_value
      - .offset:         8
        .size:           8
        .value_kind:     by_value
      - .offset:         16
        .size:           8
        .value_kind:     by_value
      - .address_space:  global
        .offset:         24
        .size:           8
        .value_kind:     global_buffer
      - .offset:         32
        .size:           8
        .value_kind:     by_value
      - .offset:         40
        .size:           8
        .value_kind:     by_value
      - .address_space:  global
        .offset:         48
        .size:           8
        .value_kind:     global_buffer
      - .offset:         56
        .size:           8
        .value_kind:     by_value
      - .offset:         64
        .size:           8
        .value_kind:     by_value
      - .offset:         72
        .size:           8
        .value_kind:     by_value
      - .address_space:  global
        .offset:         80
        .size:           8
        .value_kind:     global_buffer
      - .offset:         88
        .size:           8
        .value_kind:     by_value
      - .offset:         96
        .size:           8
        .value_kind:     by_value
      - .offset:         104
        .size:           4
        .value_kind:     by_value
    .group_segment_fixed_size: 4096
    .kernarg_segment_align: 8
    .kernarg_segment_size: 108
    .language:       OpenCL C
    .language_version:
      - 2
      - 0
    .max_flat_workgroup_size: 256
    .name:           _ZL29rocblas_internal_gemmt_kernelIlLi16ELi32ELi8ELc78ELc84ELc85ELb0ELb0E19rocblas_complex_numIfES1_PKPKS1_PKPS1_EviT_T9_T10_S9_lSB_S9_lSA_T11_S9_li
    .private_segment_fixed_size: 0
    .sgpr_count:     44
    .sgpr_spill_count: 0
    .symbol:         _ZL29rocblas_internal_gemmt_kernelIlLi16ELi32ELi8ELc78ELc84ELc85ELb0ELb0E19rocblas_complex_numIfES1_PKPKS1_PKPS1_EviT_T9_T10_S9_lSB_S9_lSA_T11_S9_li.kd
    .uniform_work_group_size: 1
    .uses_dynamic_stack: false
    .vgpr_count:     72
    .vgpr_spill_count: 0
    .wavefront_size: 32
  - .args:
      - .offset:         0
        .size:           4
        .value_kind:     by_value
      - .offset:         8
        .size:           8
        .value_kind:     by_value
      - .offset:         16
        .size:           8
        .value_kind:     by_value
      - .address_space:  global
        .offset:         24
        .size:           8
        .value_kind:     global_buffer
      - .offset:         32
        .size:           8
        .value_kind:     by_value
      - .offset:         40
        .size:           8
        .value_kind:     by_value
      - .address_space:  global
        .offset:         48
        .size:           8
        .value_kind:     global_buffer
      - .offset:         56
        .size:           8
        .value_kind:     by_value
      - .offset:         64
        .size:           8
        .value_kind:     by_value
      - .offset:         72
        .size:           8
        .value_kind:     by_value
      - .address_space:  global
        .offset:         80
        .size:           8
        .value_kind:     global_buffer
      - .offset:         88
        .size:           8
        .value_kind:     by_value
      - .offset:         96
        .size:           8
        .value_kind:     by_value
      - .offset:         104
        .size:           4
        .value_kind:     by_value
    .group_segment_fixed_size: 4096
    .kernarg_segment_align: 8
    .kernarg_segment_size: 108
    .language:       OpenCL C
    .language_version:
      - 2
      - 0
    .max_flat_workgroup_size: 256
    .name:           _ZL29rocblas_internal_gemmt_kernelIlLi16ELi32ELi8ELc78ELc67ELc85ELb0ELb1E19rocblas_complex_numIfES1_PKPKS1_PKPS1_EviT_T9_T10_S9_lSB_S9_lSA_T11_S9_li
    .private_segment_fixed_size: 0
    .sgpr_count:     44
    .sgpr_spill_count: 0
    .symbol:         _ZL29rocblas_internal_gemmt_kernelIlLi16ELi32ELi8ELc78ELc67ELc85ELb0ELb1E19rocblas_complex_numIfES1_PKPKS1_PKPS1_EviT_T9_T10_S9_lSB_S9_lSA_T11_S9_li.kd
    .uniform_work_group_size: 1
    .uses_dynamic_stack: false
    .vgpr_count:     72
    .vgpr_spill_count: 0
    .wavefront_size: 32
  - .args:
      - .offset:         0
        .size:           4
        .value_kind:     by_value
      - .offset:         8
        .size:           8
        .value_kind:     by_value
      - .offset:         16
        .size:           8
        .value_kind:     by_value
      - .address_space:  global
        .offset:         24
        .size:           8
        .value_kind:     global_buffer
      - .offset:         32
        .size:           8
        .value_kind:     by_value
      - .offset:         40
        .size:           8
        .value_kind:     by_value
      - .address_space:  global
        .offset:         48
        .size:           8
        .value_kind:     global_buffer
      - .offset:         56
        .size:           8
        .value_kind:     by_value
      - .offset:         64
        .size:           8
        .value_kind:     by_value
      - .offset:         72
        .size:           8
        .value_kind:     by_value
      - .address_space:  global
        .offset:         80
        .size:           8
        .value_kind:     global_buffer
      - .offset:         88
        .size:           8
        .value_kind:     by_value
      - .offset:         96
        .size:           8
        .value_kind:     by_value
      - .offset:         104
        .size:           4
        .value_kind:     by_value
    .group_segment_fixed_size: 4096
    .kernarg_segment_align: 8
    .kernarg_segment_size: 108
    .language:       OpenCL C
    .language_version:
      - 2
      - 0
    .max_flat_workgroup_size: 256
    .name:           _ZL29rocblas_internal_gemmt_kernelIlLi16ELi32ELi8ELc84ELc78ELc85ELb0ELb0E19rocblas_complex_numIfES1_PKPKS1_PKPS1_EviT_T9_T10_S9_lSB_S9_lSA_T11_S9_li
    .private_segment_fixed_size: 0
    .sgpr_count:     41
    .sgpr_spill_count: 0
    .symbol:         _ZL29rocblas_internal_gemmt_kernelIlLi16ELi32ELi8ELc84ELc78ELc85ELb0ELb0E19rocblas_complex_numIfES1_PKPKS1_PKPS1_EviT_T9_T10_S9_lSB_S9_lSA_T11_S9_li.kd
    .uniform_work_group_size: 1
    .uses_dynamic_stack: false
    .vgpr_count:     72
    .vgpr_spill_count: 0
    .wavefront_size: 32
  - .args:
      - .offset:         0
        .size:           4
        .value_kind:     by_value
      - .offset:         8
        .size:           8
        .value_kind:     by_value
      - .offset:         16
        .size:           8
        .value_kind:     by_value
      - .address_space:  global
        .offset:         24
        .size:           8
        .value_kind:     global_buffer
      - .offset:         32
        .size:           8
        .value_kind:     by_value
      - .offset:         40
        .size:           8
        .value_kind:     by_value
      - .address_space:  global
        .offset:         48
        .size:           8
        .value_kind:     global_buffer
      - .offset:         56
        .size:           8
        .value_kind:     by_value
      - .offset:         64
        .size:           8
        .value_kind:     by_value
      - .offset:         72
        .size:           8
        .value_kind:     by_value
      - .address_space:  global
        .offset:         80
        .size:           8
        .value_kind:     global_buffer
      - .offset:         88
        .size:           8
        .value_kind:     by_value
      - .offset:         96
        .size:           8
        .value_kind:     by_value
      - .offset:         104
        .size:           4
        .value_kind:     by_value
    .group_segment_fixed_size: 4096
    .kernarg_segment_align: 8
    .kernarg_segment_size: 108
    .language:       OpenCL C
    .language_version:
      - 2
      - 0
    .max_flat_workgroup_size: 256
    .name:           _ZL29rocblas_internal_gemmt_kernelIlLi16ELi32ELi8ELc84ELc84ELc85ELb0ELb0E19rocblas_complex_numIfES1_PKPKS1_PKPS1_EviT_T9_T10_S9_lSB_S9_lSA_T11_S9_li
    .private_segment_fixed_size: 0
    .sgpr_count:     43
    .sgpr_spill_count: 0
    .symbol:         _ZL29rocblas_internal_gemmt_kernelIlLi16ELi32ELi8ELc84ELc84ELc85ELb0ELb0E19rocblas_complex_numIfES1_PKPKS1_PKPS1_EviT_T9_T10_S9_lSB_S9_lSA_T11_S9_li.kd
    .uniform_work_group_size: 1
    .uses_dynamic_stack: false
    .vgpr_count:     72
    .vgpr_spill_count: 0
    .wavefront_size: 32
  - .args:
      - .offset:         0
        .size:           4
        .value_kind:     by_value
      - .offset:         8
        .size:           8
        .value_kind:     by_value
      - .offset:         16
        .size:           8
        .value_kind:     by_value
      - .address_space:  global
        .offset:         24
        .size:           8
        .value_kind:     global_buffer
      - .offset:         32
        .size:           8
        .value_kind:     by_value
      - .offset:         40
        .size:           8
        .value_kind:     by_value
      - .address_space:  global
        .offset:         48
        .size:           8
        .value_kind:     global_buffer
      - .offset:         56
        .size:           8
        .value_kind:     by_value
      - .offset:         64
        .size:           8
        .value_kind:     by_value
      - .offset:         72
        .size:           8
        .value_kind:     by_value
      - .address_space:  global
        .offset:         80
        .size:           8
        .value_kind:     global_buffer
      - .offset:         88
        .size:           8
        .value_kind:     by_value
      - .offset:         96
        .size:           8
        .value_kind:     by_value
      - .offset:         104
        .size:           4
        .value_kind:     by_value
    .group_segment_fixed_size: 4096
    .kernarg_segment_align: 8
    .kernarg_segment_size: 108
    .language:       OpenCL C
    .language_version:
      - 2
      - 0
    .max_flat_workgroup_size: 256
    .name:           _ZL29rocblas_internal_gemmt_kernelIlLi16ELi32ELi8ELc84ELc67ELc85ELb0ELb1E19rocblas_complex_numIfES1_PKPKS1_PKPS1_EviT_T9_T10_S9_lSB_S9_lSA_T11_S9_li
    .private_segment_fixed_size: 0
    .sgpr_count:     42
    .sgpr_spill_count: 0
    .symbol:         _ZL29rocblas_internal_gemmt_kernelIlLi16ELi32ELi8ELc84ELc67ELc85ELb0ELb1E19rocblas_complex_numIfES1_PKPKS1_PKPS1_EviT_T9_T10_S9_lSB_S9_lSA_T11_S9_li.kd
    .uniform_work_group_size: 1
    .uses_dynamic_stack: false
    .vgpr_count:     72
    .vgpr_spill_count: 0
    .wavefront_size: 32
  - .args:
      - .offset:         0
        .size:           4
        .value_kind:     by_value
      - .offset:         8
        .size:           8
        .value_kind:     by_value
      - .offset:         16
        .size:           8
        .value_kind:     by_value
      - .address_space:  global
        .offset:         24
        .size:           8
        .value_kind:     global_buffer
      - .offset:         32
        .size:           8
        .value_kind:     by_value
      - .offset:         40
        .size:           8
        .value_kind:     by_value
      - .address_space:  global
        .offset:         48
        .size:           8
        .value_kind:     global_buffer
      - .offset:         56
        .size:           8
        .value_kind:     by_value
      - .offset:         64
        .size:           8
        .value_kind:     by_value
      - .offset:         72
        .size:           8
        .value_kind:     by_value
      - .address_space:  global
        .offset:         80
        .size:           8
        .value_kind:     global_buffer
      - .offset:         88
        .size:           8
        .value_kind:     by_value
      - .offset:         96
        .size:           8
        .value_kind:     by_value
      - .offset:         104
        .size:           4
        .value_kind:     by_value
    .group_segment_fixed_size: 4096
    .kernarg_segment_align: 8
    .kernarg_segment_size: 108
    .language:       OpenCL C
    .language_version:
      - 2
      - 0
    .max_flat_workgroup_size: 256
    .name:           _ZL29rocblas_internal_gemmt_kernelIlLi16ELi32ELi8ELc67ELc78ELc85ELb1ELb0E19rocblas_complex_numIfES1_PKPKS1_PKPS1_EviT_T9_T10_S9_lSB_S9_lSA_T11_S9_li
    .private_segment_fixed_size: 0
    .sgpr_count:     43
    .sgpr_spill_count: 0
    .symbol:         _ZL29rocblas_internal_gemmt_kernelIlLi16ELi32ELi8ELc67ELc78ELc85ELb1ELb0E19rocblas_complex_numIfES1_PKPKS1_PKPS1_EviT_T9_T10_S9_lSB_S9_lSA_T11_S9_li.kd
    .uniform_work_group_size: 1
    .uses_dynamic_stack: false
    .vgpr_count:     74
    .vgpr_spill_count: 0
    .wavefront_size: 32
  - .args:
      - .offset:         0
        .size:           4
        .value_kind:     by_value
      - .offset:         8
        .size:           8
        .value_kind:     by_value
      - .offset:         16
        .size:           8
        .value_kind:     by_value
      - .address_space:  global
        .offset:         24
        .size:           8
        .value_kind:     global_buffer
      - .offset:         32
        .size:           8
        .value_kind:     by_value
      - .offset:         40
        .size:           8
        .value_kind:     by_value
      - .address_space:  global
        .offset:         48
        .size:           8
        .value_kind:     global_buffer
      - .offset:         56
        .size:           8
        .value_kind:     by_value
      - .offset:         64
        .size:           8
        .value_kind:     by_value
      - .offset:         72
        .size:           8
        .value_kind:     by_value
      - .address_space:  global
        .offset:         80
        .size:           8
        .value_kind:     global_buffer
      - .offset:         88
        .size:           8
        .value_kind:     by_value
      - .offset:         96
        .size:           8
        .value_kind:     by_value
      - .offset:         104
        .size:           4
        .value_kind:     by_value
    .group_segment_fixed_size: 4096
    .kernarg_segment_align: 8
    .kernarg_segment_size: 108
    .language:       OpenCL C
    .language_version:
      - 2
      - 0
    .max_flat_workgroup_size: 256
    .name:           _ZL29rocblas_internal_gemmt_kernelIlLi16ELi32ELi8ELc67ELc84ELc85ELb1ELb0E19rocblas_complex_numIfES1_PKPKS1_PKPS1_EviT_T9_T10_S9_lSB_S9_lSA_T11_S9_li
    .private_segment_fixed_size: 0
    .sgpr_count:     45
    .sgpr_spill_count: 0
    .symbol:         _ZL29rocblas_internal_gemmt_kernelIlLi16ELi32ELi8ELc67ELc84ELc85ELb1ELb0E19rocblas_complex_numIfES1_PKPKS1_PKPS1_EviT_T9_T10_S9_lSB_S9_lSA_T11_S9_li.kd
    .uniform_work_group_size: 1
    .uses_dynamic_stack: false
    .vgpr_count:     74
    .vgpr_spill_count: 0
    .wavefront_size: 32
  - .args:
      - .offset:         0
        .size:           4
        .value_kind:     by_value
      - .offset:         8
        .size:           8
        .value_kind:     by_value
      - .offset:         16
        .size:           8
        .value_kind:     by_value
      - .address_space:  global
        .offset:         24
        .size:           8
        .value_kind:     global_buffer
      - .offset:         32
        .size:           8
        .value_kind:     by_value
      - .offset:         40
        .size:           8
        .value_kind:     by_value
      - .address_space:  global
        .offset:         48
        .size:           8
        .value_kind:     global_buffer
      - .offset:         56
        .size:           8
        .value_kind:     by_value
      - .offset:         64
        .size:           8
        .value_kind:     by_value
      - .offset:         72
        .size:           8
        .value_kind:     by_value
      - .address_space:  global
        .offset:         80
        .size:           8
        .value_kind:     global_buffer
      - .offset:         88
        .size:           8
        .value_kind:     by_value
      - .offset:         96
        .size:           8
        .value_kind:     by_value
      - .offset:         104
        .size:           4
        .value_kind:     by_value
    .group_segment_fixed_size: 4096
    .kernarg_segment_align: 8
    .kernarg_segment_size: 108
    .language:       OpenCL C
    .language_version:
      - 2
      - 0
    .max_flat_workgroup_size: 256
    .name:           _ZL29rocblas_internal_gemmt_kernelIlLi16ELi32ELi8ELc67ELc67ELc85ELb1ELb1E19rocblas_complex_numIfES1_PKPKS1_PKPS1_EviT_T9_T10_S9_lSB_S9_lSA_T11_S9_li
    .private_segment_fixed_size: 0
    .sgpr_count:     45
    .sgpr_spill_count: 0
    .symbol:         _ZL29rocblas_internal_gemmt_kernelIlLi16ELi32ELi8ELc67ELc67ELc85ELb1ELb1E19rocblas_complex_numIfES1_PKPKS1_PKPS1_EviT_T9_T10_S9_lSB_S9_lSA_T11_S9_li.kd
    .uniform_work_group_size: 1
    .uses_dynamic_stack: false
    .vgpr_count:     74
    .vgpr_spill_count: 0
    .wavefront_size: 32
  - .args:
      - .offset:         0
        .size:           4
        .value_kind:     by_value
      - .offset:         8
        .size:           8
        .value_kind:     by_value
      - .offset:         16
        .size:           8
        .value_kind:     by_value
      - .address_space:  global
        .offset:         24
        .size:           8
        .value_kind:     global_buffer
      - .offset:         32
        .size:           8
        .value_kind:     by_value
      - .offset:         40
        .size:           8
        .value_kind:     by_value
      - .address_space:  global
        .offset:         48
        .size:           8
        .value_kind:     global_buffer
      - .offset:         56
        .size:           8
        .value_kind:     by_value
      - .offset:         64
        .size:           8
        .value_kind:     by_value
      - .offset:         72
        .size:           8
        .value_kind:     by_value
      - .address_space:  global
        .offset:         80
        .size:           8
        .value_kind:     global_buffer
      - .offset:         88
        .size:           8
        .value_kind:     by_value
      - .offset:         96
        .size:           8
        .value_kind:     by_value
      - .offset:         104
        .size:           4
        .value_kind:     by_value
    .group_segment_fixed_size: 4096
    .kernarg_segment_align: 8
    .kernarg_segment_size: 108
    .language:       OpenCL C
    .language_version:
      - 2
      - 0
    .max_flat_workgroup_size: 256
    .name:           _ZL29rocblas_internal_gemmt_kernelIlLi16ELi32ELi8ELc78ELc78ELc76ELb0ELb0E19rocblas_complex_numIfES1_PKPKS1_PKPS1_EviT_T9_T10_S9_lSB_S9_lSA_T11_S9_li
    .private_segment_fixed_size: 0
    .sgpr_count:     42
    .sgpr_spill_count: 0
    .symbol:         _ZL29rocblas_internal_gemmt_kernelIlLi16ELi32ELi8ELc78ELc78ELc76ELb0ELb0E19rocblas_complex_numIfES1_PKPKS1_PKPS1_EviT_T9_T10_S9_lSB_S9_lSA_T11_S9_li.kd
    .uniform_work_group_size: 1
    .uses_dynamic_stack: false
    .vgpr_count:     72
    .vgpr_spill_count: 0
    .wavefront_size: 32
  - .args:
      - .offset:         0
        .size:           4
        .value_kind:     by_value
      - .offset:         8
        .size:           8
        .value_kind:     by_value
      - .offset:         16
        .size:           8
        .value_kind:     by_value
      - .address_space:  global
        .offset:         24
        .size:           8
        .value_kind:     global_buffer
      - .offset:         32
        .size:           8
        .value_kind:     by_value
      - .offset:         40
        .size:           8
        .value_kind:     by_value
      - .address_space:  global
        .offset:         48
        .size:           8
        .value_kind:     global_buffer
      - .offset:         56
        .size:           8
        .value_kind:     by_value
      - .offset:         64
        .size:           8
        .value_kind:     by_value
      - .offset:         72
        .size:           8
        .value_kind:     by_value
      - .address_space:  global
        .offset:         80
        .size:           8
        .value_kind:     global_buffer
      - .offset:         88
        .size:           8
        .value_kind:     by_value
      - .offset:         96
        .size:           8
        .value_kind:     by_value
      - .offset:         104
        .size:           4
        .value_kind:     by_value
    .group_segment_fixed_size: 4096
    .kernarg_segment_align: 8
    .kernarg_segment_size: 108
    .language:       OpenCL C
    .language_version:
      - 2
      - 0
    .max_flat_workgroup_size: 256
    .name:           _ZL29rocblas_internal_gemmt_kernelIlLi16ELi32ELi8ELc78ELc84ELc76ELb0ELb0E19rocblas_complex_numIfES1_PKPKS1_PKPS1_EviT_T9_T10_S9_lSB_S9_lSA_T11_S9_li
    .private_segment_fixed_size: 0
    .sgpr_count:     44
    .sgpr_spill_count: 0
    .symbol:         _ZL29rocblas_internal_gemmt_kernelIlLi16ELi32ELi8ELc78ELc84ELc76ELb0ELb0E19rocblas_complex_numIfES1_PKPKS1_PKPS1_EviT_T9_T10_S9_lSB_S9_lSA_T11_S9_li.kd
    .uniform_work_group_size: 1
    .uses_dynamic_stack: false
    .vgpr_count:     72
    .vgpr_spill_count: 0
    .wavefront_size: 32
  - .args:
      - .offset:         0
        .size:           4
        .value_kind:     by_value
      - .offset:         8
        .size:           8
        .value_kind:     by_value
      - .offset:         16
        .size:           8
        .value_kind:     by_value
      - .address_space:  global
        .offset:         24
        .size:           8
        .value_kind:     global_buffer
      - .offset:         32
        .size:           8
        .value_kind:     by_value
      - .offset:         40
        .size:           8
        .value_kind:     by_value
      - .address_space:  global
        .offset:         48
        .size:           8
        .value_kind:     global_buffer
      - .offset:         56
        .size:           8
        .value_kind:     by_value
      - .offset:         64
        .size:           8
        .value_kind:     by_value
      - .offset:         72
        .size:           8
        .value_kind:     by_value
      - .address_space:  global
        .offset:         80
        .size:           8
        .value_kind:     global_buffer
      - .offset:         88
        .size:           8
        .value_kind:     by_value
      - .offset:         96
        .size:           8
        .value_kind:     by_value
      - .offset:         104
        .size:           4
        .value_kind:     by_value
    .group_segment_fixed_size: 4096
    .kernarg_segment_align: 8
    .kernarg_segment_size: 108
    .language:       OpenCL C
    .language_version:
      - 2
      - 0
    .max_flat_workgroup_size: 256
    .name:           _ZL29rocblas_internal_gemmt_kernelIlLi16ELi32ELi8ELc78ELc67ELc76ELb0ELb1E19rocblas_complex_numIfES1_PKPKS1_PKPS1_EviT_T9_T10_S9_lSB_S9_lSA_T11_S9_li
    .private_segment_fixed_size: 0
    .sgpr_count:     44
    .sgpr_spill_count: 0
    .symbol:         _ZL29rocblas_internal_gemmt_kernelIlLi16ELi32ELi8ELc78ELc67ELc76ELb0ELb1E19rocblas_complex_numIfES1_PKPKS1_PKPS1_EviT_T9_T10_S9_lSB_S9_lSA_T11_S9_li.kd
    .uniform_work_group_size: 1
    .uses_dynamic_stack: false
    .vgpr_count:     72
    .vgpr_spill_count: 0
    .wavefront_size: 32
  - .args:
      - .offset:         0
        .size:           4
        .value_kind:     by_value
      - .offset:         8
        .size:           8
        .value_kind:     by_value
      - .offset:         16
        .size:           8
        .value_kind:     by_value
      - .address_space:  global
        .offset:         24
        .size:           8
        .value_kind:     global_buffer
      - .offset:         32
        .size:           8
        .value_kind:     by_value
      - .offset:         40
        .size:           8
        .value_kind:     by_value
      - .address_space:  global
        .offset:         48
        .size:           8
        .value_kind:     global_buffer
      - .offset:         56
        .size:           8
        .value_kind:     by_value
      - .offset:         64
        .size:           8
        .value_kind:     by_value
      - .offset:         72
        .size:           8
        .value_kind:     by_value
      - .address_space:  global
        .offset:         80
        .size:           8
        .value_kind:     global_buffer
      - .offset:         88
        .size:           8
        .value_kind:     by_value
      - .offset:         96
        .size:           8
        .value_kind:     by_value
      - .offset:         104
        .size:           4
        .value_kind:     by_value
    .group_segment_fixed_size: 4096
    .kernarg_segment_align: 8
    .kernarg_segment_size: 108
    .language:       OpenCL C
    .language_version:
      - 2
      - 0
    .max_flat_workgroup_size: 256
    .name:           _ZL29rocblas_internal_gemmt_kernelIlLi16ELi32ELi8ELc84ELc78ELc76ELb0ELb0E19rocblas_complex_numIfES1_PKPKS1_PKPS1_EviT_T9_T10_S9_lSB_S9_lSA_T11_S9_li
    .private_segment_fixed_size: 0
    .sgpr_count:     41
    .sgpr_spill_count: 0
    .symbol:         _ZL29rocblas_internal_gemmt_kernelIlLi16ELi32ELi8ELc84ELc78ELc76ELb0ELb0E19rocblas_complex_numIfES1_PKPKS1_PKPS1_EviT_T9_T10_S9_lSB_S9_lSA_T11_S9_li.kd
    .uniform_work_group_size: 1
    .uses_dynamic_stack: false
    .vgpr_count:     72
    .vgpr_spill_count: 0
    .wavefront_size: 32
  - .args:
      - .offset:         0
        .size:           4
        .value_kind:     by_value
      - .offset:         8
        .size:           8
        .value_kind:     by_value
      - .offset:         16
        .size:           8
        .value_kind:     by_value
      - .address_space:  global
        .offset:         24
        .size:           8
        .value_kind:     global_buffer
      - .offset:         32
        .size:           8
        .value_kind:     by_value
      - .offset:         40
        .size:           8
        .value_kind:     by_value
      - .address_space:  global
        .offset:         48
        .size:           8
        .value_kind:     global_buffer
      - .offset:         56
        .size:           8
        .value_kind:     by_value
      - .offset:         64
        .size:           8
        .value_kind:     by_value
      - .offset:         72
        .size:           8
        .value_kind:     by_value
      - .address_space:  global
        .offset:         80
        .size:           8
        .value_kind:     global_buffer
      - .offset:         88
        .size:           8
        .value_kind:     by_value
      - .offset:         96
        .size:           8
        .value_kind:     by_value
      - .offset:         104
        .size:           4
        .value_kind:     by_value
    .group_segment_fixed_size: 4096
    .kernarg_segment_align: 8
    .kernarg_segment_size: 108
    .language:       OpenCL C
    .language_version:
      - 2
      - 0
    .max_flat_workgroup_size: 256
    .name:           _ZL29rocblas_internal_gemmt_kernelIlLi16ELi32ELi8ELc84ELc84ELc76ELb0ELb0E19rocblas_complex_numIfES1_PKPKS1_PKPS1_EviT_T9_T10_S9_lSB_S9_lSA_T11_S9_li
    .private_segment_fixed_size: 0
    .sgpr_count:     43
    .sgpr_spill_count: 0
    .symbol:         _ZL29rocblas_internal_gemmt_kernelIlLi16ELi32ELi8ELc84ELc84ELc76ELb0ELb0E19rocblas_complex_numIfES1_PKPKS1_PKPS1_EviT_T9_T10_S9_lSB_S9_lSA_T11_S9_li.kd
    .uniform_work_group_size: 1
    .uses_dynamic_stack: false
    .vgpr_count:     72
    .vgpr_spill_count: 0
    .wavefront_size: 32
  - .args:
      - .offset:         0
        .size:           4
        .value_kind:     by_value
      - .offset:         8
        .size:           8
        .value_kind:     by_value
      - .offset:         16
        .size:           8
        .value_kind:     by_value
      - .address_space:  global
        .offset:         24
        .size:           8
        .value_kind:     global_buffer
      - .offset:         32
        .size:           8
        .value_kind:     by_value
      - .offset:         40
        .size:           8
        .value_kind:     by_value
      - .address_space:  global
        .offset:         48
        .size:           8
        .value_kind:     global_buffer
      - .offset:         56
        .size:           8
        .value_kind:     by_value
      - .offset:         64
        .size:           8
        .value_kind:     by_value
      - .offset:         72
        .size:           8
        .value_kind:     by_value
      - .address_space:  global
        .offset:         80
        .size:           8
        .value_kind:     global_buffer
      - .offset:         88
        .size:           8
        .value_kind:     by_value
      - .offset:         96
        .size:           8
        .value_kind:     by_value
      - .offset:         104
        .size:           4
        .value_kind:     by_value
    .group_segment_fixed_size: 4096
    .kernarg_segment_align: 8
    .kernarg_segment_size: 108
    .language:       OpenCL C
    .language_version:
      - 2
      - 0
    .max_flat_workgroup_size: 256
    .name:           _ZL29rocblas_internal_gemmt_kernelIlLi16ELi32ELi8ELc84ELc67ELc76ELb0ELb1E19rocblas_complex_numIfES1_PKPKS1_PKPS1_EviT_T9_T10_S9_lSB_S9_lSA_T11_S9_li
    .private_segment_fixed_size: 0
    .sgpr_count:     42
    .sgpr_spill_count: 0
    .symbol:         _ZL29rocblas_internal_gemmt_kernelIlLi16ELi32ELi8ELc84ELc67ELc76ELb0ELb1E19rocblas_complex_numIfES1_PKPKS1_PKPS1_EviT_T9_T10_S9_lSB_S9_lSA_T11_S9_li.kd
    .uniform_work_group_size: 1
    .uses_dynamic_stack: false
    .vgpr_count:     72
    .vgpr_spill_count: 0
    .wavefront_size: 32
  - .args:
      - .offset:         0
        .size:           4
        .value_kind:     by_value
      - .offset:         8
        .size:           8
        .value_kind:     by_value
      - .offset:         16
        .size:           8
        .value_kind:     by_value
      - .address_space:  global
        .offset:         24
        .size:           8
        .value_kind:     global_buffer
      - .offset:         32
        .size:           8
        .value_kind:     by_value
      - .offset:         40
        .size:           8
        .value_kind:     by_value
      - .address_space:  global
        .offset:         48
        .size:           8
        .value_kind:     global_buffer
      - .offset:         56
        .size:           8
        .value_kind:     by_value
      - .offset:         64
        .size:           8
        .value_kind:     by_value
      - .offset:         72
        .size:           8
        .value_kind:     by_value
      - .address_space:  global
        .offset:         80
        .size:           8
        .value_kind:     global_buffer
      - .offset:         88
        .size:           8
        .value_kind:     by_value
      - .offset:         96
        .size:           8
        .value_kind:     by_value
      - .offset:         104
        .size:           4
        .value_kind:     by_value
    .group_segment_fixed_size: 4096
    .kernarg_segment_align: 8
    .kernarg_segment_size: 108
    .language:       OpenCL C
    .language_version:
      - 2
      - 0
    .max_flat_workgroup_size: 256
    .name:           _ZL29rocblas_internal_gemmt_kernelIlLi16ELi32ELi8ELc67ELc78ELc76ELb1ELb0E19rocblas_complex_numIfES1_PKPKS1_PKPS1_EviT_T9_T10_S9_lSB_S9_lSA_T11_S9_li
    .private_segment_fixed_size: 0
    .sgpr_count:     43
    .sgpr_spill_count: 0
    .symbol:         _ZL29rocblas_internal_gemmt_kernelIlLi16ELi32ELi8ELc67ELc78ELc76ELb1ELb0E19rocblas_complex_numIfES1_PKPKS1_PKPS1_EviT_T9_T10_S9_lSB_S9_lSA_T11_S9_li.kd
    .uniform_work_group_size: 1
    .uses_dynamic_stack: false
    .vgpr_count:     74
    .vgpr_spill_count: 0
    .wavefront_size: 32
  - .args:
      - .offset:         0
        .size:           4
        .value_kind:     by_value
      - .offset:         8
        .size:           8
        .value_kind:     by_value
      - .offset:         16
        .size:           8
        .value_kind:     by_value
      - .address_space:  global
        .offset:         24
        .size:           8
        .value_kind:     global_buffer
      - .offset:         32
        .size:           8
        .value_kind:     by_value
      - .offset:         40
        .size:           8
        .value_kind:     by_value
      - .address_space:  global
        .offset:         48
        .size:           8
        .value_kind:     global_buffer
      - .offset:         56
        .size:           8
        .value_kind:     by_value
      - .offset:         64
        .size:           8
        .value_kind:     by_value
      - .offset:         72
        .size:           8
        .value_kind:     by_value
      - .address_space:  global
        .offset:         80
        .size:           8
        .value_kind:     global_buffer
      - .offset:         88
        .size:           8
        .value_kind:     by_value
      - .offset:         96
        .size:           8
        .value_kind:     by_value
      - .offset:         104
        .size:           4
        .value_kind:     by_value
    .group_segment_fixed_size: 4096
    .kernarg_segment_align: 8
    .kernarg_segment_size: 108
    .language:       OpenCL C
    .language_version:
      - 2
      - 0
    .max_flat_workgroup_size: 256
    .name:           _ZL29rocblas_internal_gemmt_kernelIlLi16ELi32ELi8ELc67ELc84ELc76ELb1ELb0E19rocblas_complex_numIfES1_PKPKS1_PKPS1_EviT_T9_T10_S9_lSB_S9_lSA_T11_S9_li
    .private_segment_fixed_size: 0
    .sgpr_count:     45
    .sgpr_spill_count: 0
    .symbol:         _ZL29rocblas_internal_gemmt_kernelIlLi16ELi32ELi8ELc67ELc84ELc76ELb1ELb0E19rocblas_complex_numIfES1_PKPKS1_PKPS1_EviT_T9_T10_S9_lSB_S9_lSA_T11_S9_li.kd
    .uniform_work_group_size: 1
    .uses_dynamic_stack: false
    .vgpr_count:     74
    .vgpr_spill_count: 0
    .wavefront_size: 32
  - .args:
      - .offset:         0
        .size:           4
        .value_kind:     by_value
      - .offset:         8
        .size:           8
        .value_kind:     by_value
      - .offset:         16
        .size:           8
        .value_kind:     by_value
      - .address_space:  global
        .offset:         24
        .size:           8
        .value_kind:     global_buffer
      - .offset:         32
        .size:           8
        .value_kind:     by_value
      - .offset:         40
        .size:           8
        .value_kind:     by_value
      - .address_space:  global
        .offset:         48
        .size:           8
        .value_kind:     global_buffer
      - .offset:         56
        .size:           8
        .value_kind:     by_value
      - .offset:         64
        .size:           8
        .value_kind:     by_value
      - .offset:         72
        .size:           8
        .value_kind:     by_value
      - .address_space:  global
        .offset:         80
        .size:           8
        .value_kind:     global_buffer
      - .offset:         88
        .size:           8
        .value_kind:     by_value
      - .offset:         96
        .size:           8
        .value_kind:     by_value
      - .offset:         104
        .size:           4
        .value_kind:     by_value
    .group_segment_fixed_size: 4096
    .kernarg_segment_align: 8
    .kernarg_segment_size: 108
    .language:       OpenCL C
    .language_version:
      - 2
      - 0
    .max_flat_workgroup_size: 256
    .name:           _ZL29rocblas_internal_gemmt_kernelIlLi16ELi32ELi8ELc67ELc67ELc76ELb1ELb1E19rocblas_complex_numIfES1_PKPKS1_PKPS1_EviT_T9_T10_S9_lSB_S9_lSA_T11_S9_li
    .private_segment_fixed_size: 0
    .sgpr_count:     45
    .sgpr_spill_count: 0
    .symbol:         _ZL29rocblas_internal_gemmt_kernelIlLi16ELi32ELi8ELc67ELc67ELc76ELb1ELb1E19rocblas_complex_numIfES1_PKPKS1_PKPS1_EviT_T9_T10_S9_lSB_S9_lSA_T11_S9_li.kd
    .uniform_work_group_size: 1
    .uses_dynamic_stack: false
    .vgpr_count:     74
    .vgpr_spill_count: 0
    .wavefront_size: 32
  - .args:
      - .offset:         0
        .size:           4
        .value_kind:     by_value
      - .offset:         8
        .size:           8
        .value_kind:     by_value
      - .address_space:  global
        .offset:         16
        .size:           8
        .value_kind:     global_buffer
      - .address_space:  global
        .offset:         24
        .size:           8
        .value_kind:     global_buffer
      - .offset:         32
        .size:           8
        .value_kind:     by_value
      - .offset:         40
        .size:           8
        .value_kind:     by_value
      - .address_space:  global
        .offset:         48
        .size:           8
        .value_kind:     global_buffer
      - .offset:         56
        .size:           8
        .value_kind:     by_value
      - .offset:         64
        .size:           8
        .value_kind:     by_value
      - .address_space:  global
        .offset:         72
        .size:           8
        .value_kind:     global_buffer
      - .address_space:  global
        .offset:         80
        .size:           8
        .value_kind:     global_buffer
      - .offset:         88
        .size:           8
        .value_kind:     by_value
      - .offset:         96
        .size:           8
        .value_kind:     by_value
      - .offset:         104
        .size:           4
        .value_kind:     by_value
    .group_segment_fixed_size: 8192
    .kernarg_segment_align: 8
    .kernarg_segment_size: 108
    .language:       OpenCL C
    .language_version:
      - 2
      - 0
    .max_flat_workgroup_size: 256
    .name:           _ZL29rocblas_internal_gemmt_kernelIlLi16ELi32ELi8ELc78ELc78ELc85ELb0ELb0E19rocblas_complex_numIdEPKS1_PKS3_PKPS1_EviT_T9_T10_S9_lSB_S9_lSA_T11_S9_li
    .private_segment_fixed_size: 0
    .sgpr_count:     46
    .sgpr_spill_count: 0
    .symbol:         _ZL29rocblas_internal_gemmt_kernelIlLi16ELi32ELi8ELc78ELc78ELc85ELb0ELb0E19rocblas_complex_numIdEPKS1_PKS3_PKPS1_EviT_T9_T10_S9_lSB_S9_lSA_T11_S9_li.kd
    .uniform_work_group_size: 1
    .uses_dynamic_stack: false
    .vgpr_count:     134
    .vgpr_spill_count: 0
    .wavefront_size: 32
  - .args:
      - .offset:         0
        .size:           4
        .value_kind:     by_value
      - .offset:         8
        .size:           8
        .value_kind:     by_value
      - .address_space:  global
        .offset:         16
        .size:           8
        .value_kind:     global_buffer
      - .address_space:  global
        .offset:         24
        .size:           8
        .value_kind:     global_buffer
      - .offset:         32
        .size:           8
        .value_kind:     by_value
      - .offset:         40
        .size:           8
        .value_kind:     by_value
      - .address_space:  global
        .offset:         48
        .size:           8
        .value_kind:     global_buffer
      - .offset:         56
        .size:           8
        .value_kind:     by_value
      - .offset:         64
        .size:           8
        .value_kind:     by_value
      - .address_space:  global
        .offset:         72
        .size:           8
        .value_kind:     global_buffer
      - .address_space:  global
        .offset:         80
        .size:           8
        .value_kind:     global_buffer
      - .offset:         88
        .size:           8
        .value_kind:     by_value
      - .offset:         96
        .size:           8
        .value_kind:     by_value
      - .offset:         104
        .size:           4
        .value_kind:     by_value
    .group_segment_fixed_size: 8192
    .kernarg_segment_align: 8
    .kernarg_segment_size: 108
    .language:       OpenCL C
    .language_version:
      - 2
      - 0
    .max_flat_workgroup_size: 256
    .name:           _ZL29rocblas_internal_gemmt_kernelIlLi16ELi32ELi8ELc78ELc84ELc85ELb0ELb0E19rocblas_complex_numIdEPKS1_PKS3_PKPS1_EviT_T9_T10_S9_lSB_S9_lSA_T11_S9_li
    .private_segment_fixed_size: 0
    .sgpr_count:     47
    .sgpr_spill_count: 0
    .symbol:         _ZL29rocblas_internal_gemmt_kernelIlLi16ELi32ELi8ELc78ELc84ELc85ELb0ELb0E19rocblas_complex_numIdEPKS1_PKS3_PKPS1_EviT_T9_T10_S9_lSB_S9_lSA_T11_S9_li.kd
    .uniform_work_group_size: 1
    .uses_dynamic_stack: false
    .vgpr_count:     134
    .vgpr_spill_count: 0
    .wavefront_size: 32
  - .args:
      - .offset:         0
        .size:           4
        .value_kind:     by_value
      - .offset:         8
        .size:           8
        .value_kind:     by_value
      - .address_space:  global
        .offset:         16
        .size:           8
        .value_kind:     global_buffer
      - .address_space:  global
        .offset:         24
        .size:           8
        .value_kind:     global_buffer
      - .offset:         32
        .size:           8
        .value_kind:     by_value
      - .offset:         40
        .size:           8
        .value_kind:     by_value
      - .address_space:  global
        .offset:         48
        .size:           8
        .value_kind:     global_buffer
      - .offset:         56
        .size:           8
        .value_kind:     by_value
      - .offset:         64
        .size:           8
        .value_kind:     by_value
      - .address_space:  global
        .offset:         72
        .size:           8
        .value_kind:     global_buffer
      - .address_space:  global
        .offset:         80
        .size:           8
        .value_kind:     global_buffer
      - .offset:         88
        .size:           8
        .value_kind:     by_value
      - .offset:         96
        .size:           8
        .value_kind:     by_value
      - .offset:         104
        .size:           4
        .value_kind:     by_value
    .group_segment_fixed_size: 8192
    .kernarg_segment_align: 8
    .kernarg_segment_size: 108
    .language:       OpenCL C
    .language_version:
      - 2
      - 0
    .max_flat_workgroup_size: 256
    .name:           _ZL29rocblas_internal_gemmt_kernelIlLi16ELi32ELi8ELc78ELc67ELc85ELb0ELb1E19rocblas_complex_numIdEPKS1_PKS3_PKPS1_EviT_T9_T10_S9_lSB_S9_lSA_T11_S9_li
    .private_segment_fixed_size: 0
    .sgpr_count:     47
    .sgpr_spill_count: 0
    .symbol:         _ZL29rocblas_internal_gemmt_kernelIlLi16ELi32ELi8ELc78ELc67ELc85ELb0ELb1E19rocblas_complex_numIdEPKS1_PKS3_PKPS1_EviT_T9_T10_S9_lSB_S9_lSA_T11_S9_li.kd
    .uniform_work_group_size: 1
    .uses_dynamic_stack: false
    .vgpr_count:     134
    .vgpr_spill_count: 0
    .wavefront_size: 32
  - .args:
      - .offset:         0
        .size:           4
        .value_kind:     by_value
      - .offset:         8
        .size:           8
        .value_kind:     by_value
      - .address_space:  global
        .offset:         16
        .size:           8
        .value_kind:     global_buffer
      - .address_space:  global
        .offset:         24
        .size:           8
        .value_kind:     global_buffer
      - .offset:         32
        .size:           8
        .value_kind:     by_value
      - .offset:         40
        .size:           8
        .value_kind:     by_value
      - .address_space:  global
        .offset:         48
        .size:           8
        .value_kind:     global_buffer
      - .offset:         56
        .size:           8
        .value_kind:     by_value
      - .offset:         64
        .size:           8
        .value_kind:     by_value
      - .address_space:  global
        .offset:         72
        .size:           8
        .value_kind:     global_buffer
      - .address_space:  global
        .offset:         80
        .size:           8
        .value_kind:     global_buffer
      - .offset:         88
        .size:           8
        .value_kind:     by_value
      - .offset:         96
        .size:           8
        .value_kind:     by_value
      - .offset:         104
        .size:           4
        .value_kind:     by_value
    .group_segment_fixed_size: 8192
    .kernarg_segment_align: 8
    .kernarg_segment_size: 108
    .language:       OpenCL C
    .language_version:
      - 2
      - 0
    .max_flat_workgroup_size: 256
    .name:           _ZL29rocblas_internal_gemmt_kernelIlLi16ELi32ELi8ELc84ELc78ELc85ELb0ELb0E19rocblas_complex_numIdEPKS1_PKS3_PKPS1_EviT_T9_T10_S9_lSB_S9_lSA_T11_S9_li
    .private_segment_fixed_size: 0
    .sgpr_count:     46
    .sgpr_spill_count: 0
    .symbol:         _ZL29rocblas_internal_gemmt_kernelIlLi16ELi32ELi8ELc84ELc78ELc85ELb0ELb0E19rocblas_complex_numIdEPKS1_PKS3_PKPS1_EviT_T9_T10_S9_lSB_S9_lSA_T11_S9_li.kd
    .uniform_work_group_size: 1
    .uses_dynamic_stack: false
    .vgpr_count:     134
    .vgpr_spill_count: 0
    .wavefront_size: 32
  - .args:
      - .offset:         0
        .size:           4
        .value_kind:     by_value
      - .offset:         8
        .size:           8
        .value_kind:     by_value
      - .address_space:  global
        .offset:         16
        .size:           8
        .value_kind:     global_buffer
      - .address_space:  global
        .offset:         24
        .size:           8
        .value_kind:     global_buffer
      - .offset:         32
        .size:           8
        .value_kind:     by_value
      - .offset:         40
        .size:           8
        .value_kind:     by_value
      - .address_space:  global
        .offset:         48
        .size:           8
        .value_kind:     global_buffer
      - .offset:         56
        .size:           8
        .value_kind:     by_value
      - .offset:         64
        .size:           8
        .value_kind:     by_value
      - .address_space:  global
        .offset:         72
        .size:           8
        .value_kind:     global_buffer
      - .address_space:  global
        .offset:         80
        .size:           8
        .value_kind:     global_buffer
      - .offset:         88
        .size:           8
        .value_kind:     by_value
      - .offset:         96
        .size:           8
        .value_kind:     by_value
      - .offset:         104
        .size:           4
        .value_kind:     by_value
    .group_segment_fixed_size: 8192
    .kernarg_segment_align: 8
    .kernarg_segment_size: 108
    .language:       OpenCL C
    .language_version:
      - 2
      - 0
    .max_flat_workgroup_size: 256
    .name:           _ZL29rocblas_internal_gemmt_kernelIlLi16ELi32ELi8ELc84ELc84ELc85ELb0ELb0E19rocblas_complex_numIdEPKS1_PKS3_PKPS1_EviT_T9_T10_S9_lSB_S9_lSA_T11_S9_li
    .private_segment_fixed_size: 0
    .sgpr_count:     46
    .sgpr_spill_count: 0
    .symbol:         _ZL29rocblas_internal_gemmt_kernelIlLi16ELi32ELi8ELc84ELc84ELc85ELb0ELb0E19rocblas_complex_numIdEPKS1_PKS3_PKPS1_EviT_T9_T10_S9_lSB_S9_lSA_T11_S9_li.kd
    .uniform_work_group_size: 1
    .uses_dynamic_stack: false
    .vgpr_count:     134
    .vgpr_spill_count: 0
    .wavefront_size: 32
  - .args:
      - .offset:         0
        .size:           4
        .value_kind:     by_value
      - .offset:         8
        .size:           8
        .value_kind:     by_value
      - .address_space:  global
        .offset:         16
        .size:           8
        .value_kind:     global_buffer
      - .address_space:  global
        .offset:         24
        .size:           8
        .value_kind:     global_buffer
      - .offset:         32
        .size:           8
        .value_kind:     by_value
      - .offset:         40
        .size:           8
        .value_kind:     by_value
      - .address_space:  global
        .offset:         48
        .size:           8
        .value_kind:     global_buffer
      - .offset:         56
        .size:           8
        .value_kind:     by_value
      - .offset:         64
        .size:           8
        .value_kind:     by_value
      - .address_space:  global
        .offset:         72
        .size:           8
        .value_kind:     global_buffer
      - .address_space:  global
        .offset:         80
        .size:           8
        .value_kind:     global_buffer
      - .offset:         88
        .size:           8
        .value_kind:     by_value
      - .offset:         96
        .size:           8
        .value_kind:     by_value
      - .offset:         104
        .size:           4
        .value_kind:     by_value
    .group_segment_fixed_size: 8192
    .kernarg_segment_align: 8
    .kernarg_segment_size: 108
    .language:       OpenCL C
    .language_version:
      - 2
      - 0
    .max_flat_workgroup_size: 256
    .name:           _ZL29rocblas_internal_gemmt_kernelIlLi16ELi32ELi8ELc84ELc67ELc85ELb0ELb1E19rocblas_complex_numIdEPKS1_PKS3_PKPS1_EviT_T9_T10_S9_lSB_S9_lSA_T11_S9_li
    .private_segment_fixed_size: 0
    .sgpr_count:     47
    .sgpr_spill_count: 0
    .symbol:         _ZL29rocblas_internal_gemmt_kernelIlLi16ELi32ELi8ELc84ELc67ELc85ELb0ELb1E19rocblas_complex_numIdEPKS1_PKS3_PKPS1_EviT_T9_T10_S9_lSB_S9_lSA_T11_S9_li.kd
    .uniform_work_group_size: 1
    .uses_dynamic_stack: false
    .vgpr_count:     134
    .vgpr_spill_count: 0
    .wavefront_size: 32
  - .args:
      - .offset:         0
        .size:           4
        .value_kind:     by_value
      - .offset:         8
        .size:           8
        .value_kind:     by_value
      - .address_space:  global
        .offset:         16
        .size:           8
        .value_kind:     global_buffer
      - .address_space:  global
        .offset:         24
        .size:           8
        .value_kind:     global_buffer
      - .offset:         32
        .size:           8
        .value_kind:     by_value
      - .offset:         40
        .size:           8
        .value_kind:     by_value
      - .address_space:  global
        .offset:         48
        .size:           8
        .value_kind:     global_buffer
      - .offset:         56
        .size:           8
        .value_kind:     by_value
      - .offset:         64
        .size:           8
        .value_kind:     by_value
      - .address_space:  global
        .offset:         72
        .size:           8
        .value_kind:     global_buffer
      - .address_space:  global
        .offset:         80
        .size:           8
        .value_kind:     global_buffer
      - .offset:         88
        .size:           8
        .value_kind:     by_value
      - .offset:         96
        .size:           8
        .value_kind:     by_value
      - .offset:         104
        .size:           4
        .value_kind:     by_value
    .group_segment_fixed_size: 8192
    .kernarg_segment_align: 8
    .kernarg_segment_size: 108
    .language:       OpenCL C
    .language_version:
      - 2
      - 0
    .max_flat_workgroup_size: 256
    .name:           _ZL29rocblas_internal_gemmt_kernelIlLi16ELi32ELi8ELc67ELc78ELc85ELb1ELb0E19rocblas_complex_numIdEPKS1_PKS3_PKPS1_EviT_T9_T10_S9_lSB_S9_lSA_T11_S9_li
    .private_segment_fixed_size: 0
    .sgpr_count:     46
    .sgpr_spill_count: 0
    .symbol:         _ZL29rocblas_internal_gemmt_kernelIlLi16ELi32ELi8ELc67ELc78ELc85ELb1ELb0E19rocblas_complex_numIdEPKS1_PKS3_PKPS1_EviT_T9_T10_S9_lSB_S9_lSA_T11_S9_li.kd
    .uniform_work_group_size: 1
    .uses_dynamic_stack: false
    .vgpr_count:     132
    .vgpr_spill_count: 0
    .wavefront_size: 32
  - .args:
      - .offset:         0
        .size:           4
        .value_kind:     by_value
      - .offset:         8
        .size:           8
        .value_kind:     by_value
      - .address_space:  global
        .offset:         16
        .size:           8
        .value_kind:     global_buffer
      - .address_space:  global
        .offset:         24
        .size:           8
        .value_kind:     global_buffer
      - .offset:         32
        .size:           8
        .value_kind:     by_value
      - .offset:         40
        .size:           8
        .value_kind:     by_value
      - .address_space:  global
        .offset:         48
        .size:           8
        .value_kind:     global_buffer
      - .offset:         56
        .size:           8
        .value_kind:     by_value
      - .offset:         64
        .size:           8
        .value_kind:     by_value
      - .address_space:  global
        .offset:         72
        .size:           8
        .value_kind:     global_buffer
      - .address_space:  global
        .offset:         80
        .size:           8
        .value_kind:     global_buffer
      - .offset:         88
        .size:           8
        .value_kind:     by_value
      - .offset:         96
        .size:           8
        .value_kind:     by_value
      - .offset:         104
        .size:           4
        .value_kind:     by_value
    .group_segment_fixed_size: 8192
    .kernarg_segment_align: 8
    .kernarg_segment_size: 108
    .language:       OpenCL C
    .language_version:
      - 2
      - 0
    .max_flat_workgroup_size: 256
    .name:           _ZL29rocblas_internal_gemmt_kernelIlLi16ELi32ELi8ELc67ELc84ELc85ELb1ELb0E19rocblas_complex_numIdEPKS1_PKS3_PKPS1_EviT_T9_T10_S9_lSB_S9_lSA_T11_S9_li
    .private_segment_fixed_size: 0
    .sgpr_count:     46
    .sgpr_spill_count: 0
    .symbol:         _ZL29rocblas_internal_gemmt_kernelIlLi16ELi32ELi8ELc67ELc84ELc85ELb1ELb0E19rocblas_complex_numIdEPKS1_PKS3_PKPS1_EviT_T9_T10_S9_lSB_S9_lSA_T11_S9_li.kd
    .uniform_work_group_size: 1
    .uses_dynamic_stack: false
    .vgpr_count:     132
    .vgpr_spill_count: 0
    .wavefront_size: 32
  - .args:
      - .offset:         0
        .size:           4
        .value_kind:     by_value
      - .offset:         8
        .size:           8
        .value_kind:     by_value
      - .address_space:  global
        .offset:         16
        .size:           8
        .value_kind:     global_buffer
      - .address_space:  global
        .offset:         24
        .size:           8
        .value_kind:     global_buffer
      - .offset:         32
        .size:           8
        .value_kind:     by_value
      - .offset:         40
        .size:           8
        .value_kind:     by_value
      - .address_space:  global
        .offset:         48
        .size:           8
        .value_kind:     global_buffer
      - .offset:         56
        .size:           8
        .value_kind:     by_value
      - .offset:         64
        .size:           8
        .value_kind:     by_value
      - .address_space:  global
        .offset:         72
        .size:           8
        .value_kind:     global_buffer
      - .address_space:  global
        .offset:         80
        .size:           8
        .value_kind:     global_buffer
      - .offset:         88
        .size:           8
        .value_kind:     by_value
      - .offset:         96
        .size:           8
        .value_kind:     by_value
      - .offset:         104
        .size:           4
        .value_kind:     by_value
    .group_segment_fixed_size: 8192
    .kernarg_segment_align: 8
    .kernarg_segment_size: 108
    .language:       OpenCL C
    .language_version:
      - 2
      - 0
    .max_flat_workgroup_size: 256
    .name:           _ZL29rocblas_internal_gemmt_kernelIlLi16ELi32ELi8ELc67ELc67ELc85ELb1ELb1E19rocblas_complex_numIdEPKS1_PKS3_PKPS1_EviT_T9_T10_S9_lSB_S9_lSA_T11_S9_li
    .private_segment_fixed_size: 0
    .sgpr_count:     46
    .sgpr_spill_count: 0
    .symbol:         _ZL29rocblas_internal_gemmt_kernelIlLi16ELi32ELi8ELc67ELc67ELc85ELb1ELb1E19rocblas_complex_numIdEPKS1_PKS3_PKPS1_EviT_T9_T10_S9_lSB_S9_lSA_T11_S9_li.kd
    .uniform_work_group_size: 1
    .uses_dynamic_stack: false
    .vgpr_count:     132
    .vgpr_spill_count: 0
    .wavefront_size: 32
  - .args:
      - .offset:         0
        .size:           4
        .value_kind:     by_value
      - .offset:         8
        .size:           8
        .value_kind:     by_value
      - .address_space:  global
        .offset:         16
        .size:           8
        .value_kind:     global_buffer
      - .address_space:  global
        .offset:         24
        .size:           8
        .value_kind:     global_buffer
      - .offset:         32
        .size:           8
        .value_kind:     by_value
      - .offset:         40
        .size:           8
        .value_kind:     by_value
      - .address_space:  global
        .offset:         48
        .size:           8
        .value_kind:     global_buffer
      - .offset:         56
        .size:           8
        .value_kind:     by_value
      - .offset:         64
        .size:           8
        .value_kind:     by_value
      - .address_space:  global
        .offset:         72
        .size:           8
        .value_kind:     global_buffer
      - .address_space:  global
        .offset:         80
        .size:           8
        .value_kind:     global_buffer
      - .offset:         88
        .size:           8
        .value_kind:     by_value
      - .offset:         96
        .size:           8
        .value_kind:     by_value
      - .offset:         104
        .size:           4
        .value_kind:     by_value
    .group_segment_fixed_size: 8192
    .kernarg_segment_align: 8
    .kernarg_segment_size: 108
    .language:       OpenCL C
    .language_version:
      - 2
      - 0
    .max_flat_workgroup_size: 256
    .name:           _ZL29rocblas_internal_gemmt_kernelIlLi16ELi32ELi8ELc78ELc78ELc76ELb0ELb0E19rocblas_complex_numIdEPKS1_PKS3_PKPS1_EviT_T9_T10_S9_lSB_S9_lSA_T11_S9_li
    .private_segment_fixed_size: 0
    .sgpr_count:     46
    .sgpr_spill_count: 0
    .symbol:         _ZL29rocblas_internal_gemmt_kernelIlLi16ELi32ELi8ELc78ELc78ELc76ELb0ELb0E19rocblas_complex_numIdEPKS1_PKS3_PKPS1_EviT_T9_T10_S9_lSB_S9_lSA_T11_S9_li.kd
    .uniform_work_group_size: 1
    .uses_dynamic_stack: false
    .vgpr_count:     134
    .vgpr_spill_count: 0
    .wavefront_size: 32
  - .args:
      - .offset:         0
        .size:           4
        .value_kind:     by_value
      - .offset:         8
        .size:           8
        .value_kind:     by_value
      - .address_space:  global
        .offset:         16
        .size:           8
        .value_kind:     global_buffer
      - .address_space:  global
        .offset:         24
        .size:           8
        .value_kind:     global_buffer
      - .offset:         32
        .size:           8
        .value_kind:     by_value
      - .offset:         40
        .size:           8
        .value_kind:     by_value
      - .address_space:  global
        .offset:         48
        .size:           8
        .value_kind:     global_buffer
      - .offset:         56
        .size:           8
        .value_kind:     by_value
      - .offset:         64
        .size:           8
        .value_kind:     by_value
      - .address_space:  global
        .offset:         72
        .size:           8
        .value_kind:     global_buffer
      - .address_space:  global
        .offset:         80
        .size:           8
        .value_kind:     global_buffer
      - .offset:         88
        .size:           8
        .value_kind:     by_value
      - .offset:         96
        .size:           8
        .value_kind:     by_value
      - .offset:         104
        .size:           4
        .value_kind:     by_value
    .group_segment_fixed_size: 8192
    .kernarg_segment_align: 8
    .kernarg_segment_size: 108
    .language:       OpenCL C
    .language_version:
      - 2
      - 0
    .max_flat_workgroup_size: 256
    .name:           _ZL29rocblas_internal_gemmt_kernelIlLi16ELi32ELi8ELc78ELc84ELc76ELb0ELb0E19rocblas_complex_numIdEPKS1_PKS3_PKPS1_EviT_T9_T10_S9_lSB_S9_lSA_T11_S9_li
    .private_segment_fixed_size: 0
    .sgpr_count:     47
    .sgpr_spill_count: 0
    .symbol:         _ZL29rocblas_internal_gemmt_kernelIlLi16ELi32ELi8ELc78ELc84ELc76ELb0ELb0E19rocblas_complex_numIdEPKS1_PKS3_PKPS1_EviT_T9_T10_S9_lSB_S9_lSA_T11_S9_li.kd
    .uniform_work_group_size: 1
    .uses_dynamic_stack: false
    .vgpr_count:     134
    .vgpr_spill_count: 0
    .wavefront_size: 32
  - .args:
      - .offset:         0
        .size:           4
        .value_kind:     by_value
      - .offset:         8
        .size:           8
        .value_kind:     by_value
      - .address_space:  global
        .offset:         16
        .size:           8
        .value_kind:     global_buffer
      - .address_space:  global
        .offset:         24
        .size:           8
        .value_kind:     global_buffer
      - .offset:         32
        .size:           8
        .value_kind:     by_value
      - .offset:         40
        .size:           8
        .value_kind:     by_value
      - .address_space:  global
        .offset:         48
        .size:           8
        .value_kind:     global_buffer
      - .offset:         56
        .size:           8
        .value_kind:     by_value
      - .offset:         64
        .size:           8
        .value_kind:     by_value
      - .address_space:  global
        .offset:         72
        .size:           8
        .value_kind:     global_buffer
      - .address_space:  global
        .offset:         80
        .size:           8
        .value_kind:     global_buffer
      - .offset:         88
        .size:           8
        .value_kind:     by_value
      - .offset:         96
        .size:           8
        .value_kind:     by_value
      - .offset:         104
        .size:           4
        .value_kind:     by_value
    .group_segment_fixed_size: 8192
    .kernarg_segment_align: 8
    .kernarg_segment_size: 108
    .language:       OpenCL C
    .language_version:
      - 2
      - 0
    .max_flat_workgroup_size: 256
    .name:           _ZL29rocblas_internal_gemmt_kernelIlLi16ELi32ELi8ELc78ELc67ELc76ELb0ELb1E19rocblas_complex_numIdEPKS1_PKS3_PKPS1_EviT_T9_T10_S9_lSB_S9_lSA_T11_S9_li
    .private_segment_fixed_size: 0
    .sgpr_count:     48
    .sgpr_spill_count: 0
    .symbol:         _ZL29rocblas_internal_gemmt_kernelIlLi16ELi32ELi8ELc78ELc67ELc76ELb0ELb1E19rocblas_complex_numIdEPKS1_PKS3_PKPS1_EviT_T9_T10_S9_lSB_S9_lSA_T11_S9_li.kd
    .uniform_work_group_size: 1
    .uses_dynamic_stack: false
    .vgpr_count:     134
    .vgpr_spill_count: 0
    .wavefront_size: 32
  - .args:
      - .offset:         0
        .size:           4
        .value_kind:     by_value
      - .offset:         8
        .size:           8
        .value_kind:     by_value
      - .address_space:  global
        .offset:         16
        .size:           8
        .value_kind:     global_buffer
      - .address_space:  global
        .offset:         24
        .size:           8
        .value_kind:     global_buffer
      - .offset:         32
        .size:           8
        .value_kind:     by_value
      - .offset:         40
        .size:           8
        .value_kind:     by_value
      - .address_space:  global
        .offset:         48
        .size:           8
        .value_kind:     global_buffer
      - .offset:         56
        .size:           8
        .value_kind:     by_value
      - .offset:         64
        .size:           8
        .value_kind:     by_value
      - .address_space:  global
        .offset:         72
        .size:           8
        .value_kind:     global_buffer
      - .address_space:  global
        .offset:         80
        .size:           8
        .value_kind:     global_buffer
      - .offset:         88
        .size:           8
        .value_kind:     by_value
      - .offset:         96
        .size:           8
        .value_kind:     by_value
      - .offset:         104
        .size:           4
        .value_kind:     by_value
    .group_segment_fixed_size: 8192
    .kernarg_segment_align: 8
    .kernarg_segment_size: 108
    .language:       OpenCL C
    .language_version:
      - 2
      - 0
    .max_flat_workgroup_size: 256
    .name:           _ZL29rocblas_internal_gemmt_kernelIlLi16ELi32ELi8ELc84ELc78ELc76ELb0ELb0E19rocblas_complex_numIdEPKS1_PKS3_PKPS1_EviT_T9_T10_S9_lSB_S9_lSA_T11_S9_li
    .private_segment_fixed_size: 0
    .sgpr_count:     46
    .sgpr_spill_count: 0
    .symbol:         _ZL29rocblas_internal_gemmt_kernelIlLi16ELi32ELi8ELc84ELc78ELc76ELb0ELb0E19rocblas_complex_numIdEPKS1_PKS3_PKPS1_EviT_T9_T10_S9_lSB_S9_lSA_T11_S9_li.kd
    .uniform_work_group_size: 1
    .uses_dynamic_stack: false
    .vgpr_count:     134
    .vgpr_spill_count: 0
    .wavefront_size: 32
  - .args:
      - .offset:         0
        .size:           4
        .value_kind:     by_value
      - .offset:         8
        .size:           8
        .value_kind:     by_value
      - .address_space:  global
        .offset:         16
        .size:           8
        .value_kind:     global_buffer
      - .address_space:  global
        .offset:         24
        .size:           8
        .value_kind:     global_buffer
      - .offset:         32
        .size:           8
        .value_kind:     by_value
      - .offset:         40
        .size:           8
        .value_kind:     by_value
      - .address_space:  global
        .offset:         48
        .size:           8
        .value_kind:     global_buffer
      - .offset:         56
        .size:           8
        .value_kind:     by_value
      - .offset:         64
        .size:           8
        .value_kind:     by_value
      - .address_space:  global
        .offset:         72
        .size:           8
        .value_kind:     global_buffer
      - .address_space:  global
        .offset:         80
        .size:           8
        .value_kind:     global_buffer
      - .offset:         88
        .size:           8
        .value_kind:     by_value
      - .offset:         96
        .size:           8
        .value_kind:     by_value
      - .offset:         104
        .size:           4
        .value_kind:     by_value
    .group_segment_fixed_size: 8192
    .kernarg_segment_align: 8
    .kernarg_segment_size: 108
    .language:       OpenCL C
    .language_version:
      - 2
      - 0
    .max_flat_workgroup_size: 256
    .name:           _ZL29rocblas_internal_gemmt_kernelIlLi16ELi32ELi8ELc84ELc84ELc76ELb0ELb0E19rocblas_complex_numIdEPKS1_PKS3_PKPS1_EviT_T9_T10_S9_lSB_S9_lSA_T11_S9_li
    .private_segment_fixed_size: 0
    .sgpr_count:     47
    .sgpr_spill_count: 0
    .symbol:         _ZL29rocblas_internal_gemmt_kernelIlLi16ELi32ELi8ELc84ELc84ELc76ELb0ELb0E19rocblas_complex_numIdEPKS1_PKS3_PKPS1_EviT_T9_T10_S9_lSB_S9_lSA_T11_S9_li.kd
    .uniform_work_group_size: 1
    .uses_dynamic_stack: false
    .vgpr_count:     134
    .vgpr_spill_count: 0
    .wavefront_size: 32
  - .args:
      - .offset:         0
        .size:           4
        .value_kind:     by_value
      - .offset:         8
        .size:           8
        .value_kind:     by_value
      - .address_space:  global
        .offset:         16
        .size:           8
        .value_kind:     global_buffer
      - .address_space:  global
        .offset:         24
        .size:           8
        .value_kind:     global_buffer
      - .offset:         32
        .size:           8
        .value_kind:     by_value
      - .offset:         40
        .size:           8
        .value_kind:     by_value
      - .address_space:  global
        .offset:         48
        .size:           8
        .value_kind:     global_buffer
      - .offset:         56
        .size:           8
        .value_kind:     by_value
      - .offset:         64
        .size:           8
        .value_kind:     by_value
      - .address_space:  global
        .offset:         72
        .size:           8
        .value_kind:     global_buffer
      - .address_space:  global
        .offset:         80
        .size:           8
        .value_kind:     global_buffer
      - .offset:         88
        .size:           8
        .value_kind:     by_value
      - .offset:         96
        .size:           8
        .value_kind:     by_value
      - .offset:         104
        .size:           4
        .value_kind:     by_value
    .group_segment_fixed_size: 8192
    .kernarg_segment_align: 8
    .kernarg_segment_size: 108
    .language:       OpenCL C
    .language_version:
      - 2
      - 0
    .max_flat_workgroup_size: 256
    .name:           _ZL29rocblas_internal_gemmt_kernelIlLi16ELi32ELi8ELc84ELc67ELc76ELb0ELb1E19rocblas_complex_numIdEPKS1_PKS3_PKPS1_EviT_T9_T10_S9_lSB_S9_lSA_T11_S9_li
    .private_segment_fixed_size: 0
    .sgpr_count:     48
    .sgpr_spill_count: 0
    .symbol:         _ZL29rocblas_internal_gemmt_kernelIlLi16ELi32ELi8ELc84ELc67ELc76ELb0ELb1E19rocblas_complex_numIdEPKS1_PKS3_PKPS1_EviT_T9_T10_S9_lSB_S9_lSA_T11_S9_li.kd
    .uniform_work_group_size: 1
    .uses_dynamic_stack: false
    .vgpr_count:     134
    .vgpr_spill_count: 0
    .wavefront_size: 32
  - .args:
      - .offset:         0
        .size:           4
        .value_kind:     by_value
      - .offset:         8
        .size:           8
        .value_kind:     by_value
      - .address_space:  global
        .offset:         16
        .size:           8
        .value_kind:     global_buffer
      - .address_space:  global
        .offset:         24
        .size:           8
        .value_kind:     global_buffer
      - .offset:         32
        .size:           8
        .value_kind:     by_value
      - .offset:         40
        .size:           8
        .value_kind:     by_value
      - .address_space:  global
        .offset:         48
        .size:           8
        .value_kind:     global_buffer
      - .offset:         56
        .size:           8
        .value_kind:     by_value
      - .offset:         64
        .size:           8
        .value_kind:     by_value
      - .address_space:  global
        .offset:         72
        .size:           8
        .value_kind:     global_buffer
      - .address_space:  global
        .offset:         80
        .size:           8
        .value_kind:     global_buffer
      - .offset:         88
        .size:           8
        .value_kind:     by_value
      - .offset:         96
        .size:           8
        .value_kind:     by_value
      - .offset:         104
        .size:           4
        .value_kind:     by_value
    .group_segment_fixed_size: 8192
    .kernarg_segment_align: 8
    .kernarg_segment_size: 108
    .language:       OpenCL C
    .language_version:
      - 2
      - 0
    .max_flat_workgroup_size: 256
    .name:           _ZL29rocblas_internal_gemmt_kernelIlLi16ELi32ELi8ELc67ELc78ELc76ELb1ELb0E19rocblas_complex_numIdEPKS1_PKS3_PKPS1_EviT_T9_T10_S9_lSB_S9_lSA_T11_S9_li
    .private_segment_fixed_size: 0
    .sgpr_count:     46
    .sgpr_spill_count: 0
    .symbol:         _ZL29rocblas_internal_gemmt_kernelIlLi16ELi32ELi8ELc67ELc78ELc76ELb1ELb0E19rocblas_complex_numIdEPKS1_PKS3_PKPS1_EviT_T9_T10_S9_lSB_S9_lSA_T11_S9_li.kd
    .uniform_work_group_size: 1
    .uses_dynamic_stack: false
    .vgpr_count:     132
    .vgpr_spill_count: 0
    .wavefront_size: 32
  - .args:
      - .offset:         0
        .size:           4
        .value_kind:     by_value
      - .offset:         8
        .size:           8
        .value_kind:     by_value
      - .address_space:  global
        .offset:         16
        .size:           8
        .value_kind:     global_buffer
      - .address_space:  global
        .offset:         24
        .size:           8
        .value_kind:     global_buffer
      - .offset:         32
        .size:           8
        .value_kind:     by_value
      - .offset:         40
        .size:           8
        .value_kind:     by_value
      - .address_space:  global
        .offset:         48
        .size:           8
        .value_kind:     global_buffer
      - .offset:         56
        .size:           8
        .value_kind:     by_value
      - .offset:         64
        .size:           8
        .value_kind:     by_value
      - .address_space:  global
        .offset:         72
        .size:           8
        .value_kind:     global_buffer
      - .address_space:  global
        .offset:         80
        .size:           8
        .value_kind:     global_buffer
      - .offset:         88
        .size:           8
        .value_kind:     by_value
      - .offset:         96
        .size:           8
        .value_kind:     by_value
      - .offset:         104
        .size:           4
        .value_kind:     by_value
    .group_segment_fixed_size: 8192
    .kernarg_segment_align: 8
    .kernarg_segment_size: 108
    .language:       OpenCL C
    .language_version:
      - 2
      - 0
    .max_flat_workgroup_size: 256
    .name:           _ZL29rocblas_internal_gemmt_kernelIlLi16ELi32ELi8ELc67ELc84ELc76ELb1ELb0E19rocblas_complex_numIdEPKS1_PKS3_PKPS1_EviT_T9_T10_S9_lSB_S9_lSA_T11_S9_li
    .private_segment_fixed_size: 0
    .sgpr_count:     46
    .sgpr_spill_count: 0
    .symbol:         _ZL29rocblas_internal_gemmt_kernelIlLi16ELi32ELi8ELc67ELc84ELc76ELb1ELb0E19rocblas_complex_numIdEPKS1_PKS3_PKPS1_EviT_T9_T10_S9_lSB_S9_lSA_T11_S9_li.kd
    .uniform_work_group_size: 1
    .uses_dynamic_stack: false
    .vgpr_count:     132
    .vgpr_spill_count: 0
    .wavefront_size: 32
  - .args:
      - .offset:         0
        .size:           4
        .value_kind:     by_value
      - .offset:         8
        .size:           8
        .value_kind:     by_value
      - .address_space:  global
        .offset:         16
        .size:           8
        .value_kind:     global_buffer
      - .address_space:  global
        .offset:         24
        .size:           8
        .value_kind:     global_buffer
      - .offset:         32
        .size:           8
        .value_kind:     by_value
      - .offset:         40
        .size:           8
        .value_kind:     by_value
      - .address_space:  global
        .offset:         48
        .size:           8
        .value_kind:     global_buffer
      - .offset:         56
        .size:           8
        .value_kind:     by_value
      - .offset:         64
        .size:           8
        .value_kind:     by_value
      - .address_space:  global
        .offset:         72
        .size:           8
        .value_kind:     global_buffer
      - .address_space:  global
        .offset:         80
        .size:           8
        .value_kind:     global_buffer
      - .offset:         88
        .size:           8
        .value_kind:     by_value
      - .offset:         96
        .size:           8
        .value_kind:     by_value
      - .offset:         104
        .size:           4
        .value_kind:     by_value
    .group_segment_fixed_size: 8192
    .kernarg_segment_align: 8
    .kernarg_segment_size: 108
    .language:       OpenCL C
    .language_version:
      - 2
      - 0
    .max_flat_workgroup_size: 256
    .name:           _ZL29rocblas_internal_gemmt_kernelIlLi16ELi32ELi8ELc67ELc67ELc76ELb1ELb1E19rocblas_complex_numIdEPKS1_PKS3_PKPS1_EviT_T9_T10_S9_lSB_S9_lSA_T11_S9_li
    .private_segment_fixed_size: 0
    .sgpr_count:     47
    .sgpr_spill_count: 0
    .symbol:         _ZL29rocblas_internal_gemmt_kernelIlLi16ELi32ELi8ELc67ELc67ELc76ELb1ELb1E19rocblas_complex_numIdEPKS1_PKS3_PKPS1_EviT_T9_T10_S9_lSB_S9_lSA_T11_S9_li.kd
    .uniform_work_group_size: 1
    .uses_dynamic_stack: false
    .vgpr_count:     132
    .vgpr_spill_count: 0
    .wavefront_size: 32
  - .args:
      - .offset:         0
        .size:           4
        .value_kind:     by_value
      - .offset:         8
        .size:           8
        .value_kind:     by_value
      - .offset:         16
        .size:           16
        .value_kind:     by_value
      - .address_space:  global
        .offset:         32
        .size:           8
        .value_kind:     global_buffer
      - .offset:         40
        .size:           8
        .value_kind:     by_value
      - .offset:         48
        .size:           8
        .value_kind:     by_value
      - .address_space:  global
        .offset:         56
        .size:           8
        .value_kind:     global_buffer
      - .offset:         64
        .size:           8
        .value_kind:     by_value
      - .offset:         72
        .size:           8
        .value_kind:     by_value
      - .offset:         80
        .size:           16
        .value_kind:     by_value
      - .address_space:  global
        .offset:         96
        .size:           8
        .value_kind:     global_buffer
      - .offset:         104
        .size:           8
        .value_kind:     by_value
      - .offset:         112
        .size:           8
        .value_kind:     by_value
      - .offset:         120
        .size:           4
        .value_kind:     by_value
    .group_segment_fixed_size: 8192
    .kernarg_segment_align: 8
    .kernarg_segment_size: 124
    .language:       OpenCL C
    .language_version:
      - 2
      - 0
    .max_flat_workgroup_size: 256
    .name:           _ZL29rocblas_internal_gemmt_kernelIlLi16ELi32ELi8ELc78ELc78ELc85ELb0ELb0E19rocblas_complex_numIdES1_PKPKS1_PKPS1_EviT_T9_T10_S9_lSB_S9_lSA_T11_S9_li
    .private_segment_fixed_size: 0
    .sgpr_count:     45
    .sgpr_spill_count: 0
    .symbol:         _ZL29rocblas_internal_gemmt_kernelIlLi16ELi32ELi8ELc78ELc78ELc85ELb0ELb0E19rocblas_complex_numIdES1_PKPKS1_PKPS1_EviT_T9_T10_S9_lSB_S9_lSA_T11_S9_li.kd
    .uniform_work_group_size: 1
    .uses_dynamic_stack: false
    .vgpr_count:     134
    .vgpr_spill_count: 0
    .wavefront_size: 32
  - .args:
      - .offset:         0
        .size:           4
        .value_kind:     by_value
      - .offset:         8
        .size:           8
        .value_kind:     by_value
      - .offset:         16
        .size:           16
        .value_kind:     by_value
      - .address_space:  global
        .offset:         32
        .size:           8
        .value_kind:     global_buffer
      - .offset:         40
        .size:           8
        .value_kind:     by_value
      - .offset:         48
        .size:           8
        .value_kind:     by_value
      - .address_space:  global
        .offset:         56
        .size:           8
        .value_kind:     global_buffer
      - .offset:         64
        .size:           8
        .value_kind:     by_value
      - .offset:         72
        .size:           8
        .value_kind:     by_value
      - .offset:         80
        .size:           16
        .value_kind:     by_value
      - .address_space:  global
        .offset:         96
        .size:           8
        .value_kind:     global_buffer
      - .offset:         104
        .size:           8
        .value_kind:     by_value
      - .offset:         112
        .size:           8
        .value_kind:     by_value
      - .offset:         120
        .size:           4
        .value_kind:     by_value
    .group_segment_fixed_size: 8192
    .kernarg_segment_align: 8
    .kernarg_segment_size: 124
    .language:       OpenCL C
    .language_version:
      - 2
      - 0
    .max_flat_workgroup_size: 256
    .name:           _ZL29rocblas_internal_gemmt_kernelIlLi16ELi32ELi8ELc78ELc84ELc85ELb0ELb0E19rocblas_complex_numIdES1_PKPKS1_PKPS1_EviT_T9_T10_S9_lSB_S9_lSA_T11_S9_li
    .private_segment_fixed_size: 0
    .sgpr_count:     47
    .sgpr_spill_count: 0
    .symbol:         _ZL29rocblas_internal_gemmt_kernelIlLi16ELi32ELi8ELc78ELc84ELc85ELb0ELb0E19rocblas_complex_numIdES1_PKPKS1_PKPS1_EviT_T9_T10_S9_lSB_S9_lSA_T11_S9_li.kd
    .uniform_work_group_size: 1
    .uses_dynamic_stack: false
    .vgpr_count:     134
    .vgpr_spill_count: 0
    .wavefront_size: 32
  - .args:
      - .offset:         0
        .size:           4
        .value_kind:     by_value
      - .offset:         8
        .size:           8
        .value_kind:     by_value
      - .offset:         16
        .size:           16
        .value_kind:     by_value
      - .address_space:  global
        .offset:         32
        .size:           8
        .value_kind:     global_buffer
      - .offset:         40
        .size:           8
        .value_kind:     by_value
      - .offset:         48
        .size:           8
        .value_kind:     by_value
      - .address_space:  global
        .offset:         56
        .size:           8
        .value_kind:     global_buffer
      - .offset:         64
        .size:           8
        .value_kind:     by_value
      - .offset:         72
        .size:           8
        .value_kind:     by_value
      - .offset:         80
        .size:           16
        .value_kind:     by_value
      - .address_space:  global
        .offset:         96
        .size:           8
        .value_kind:     global_buffer
      - .offset:         104
        .size:           8
        .value_kind:     by_value
      - .offset:         112
        .size:           8
        .value_kind:     by_value
      - .offset:         120
        .size:           4
        .value_kind:     by_value
    .group_segment_fixed_size: 8192
    .kernarg_segment_align: 8
    .kernarg_segment_size: 124
    .language:       OpenCL C
    .language_version:
      - 2
      - 0
    .max_flat_workgroup_size: 256
    .name:           _ZL29rocblas_internal_gemmt_kernelIlLi16ELi32ELi8ELc78ELc67ELc85ELb0ELb1E19rocblas_complex_numIdES1_PKPKS1_PKPS1_EviT_T9_T10_S9_lSB_S9_lSA_T11_S9_li
    .private_segment_fixed_size: 0
    .sgpr_count:     47
    .sgpr_spill_count: 0
    .symbol:         _ZL29rocblas_internal_gemmt_kernelIlLi16ELi32ELi8ELc78ELc67ELc85ELb0ELb1E19rocblas_complex_numIdES1_PKPKS1_PKPS1_EviT_T9_T10_S9_lSB_S9_lSA_T11_S9_li.kd
    .uniform_work_group_size: 1
    .uses_dynamic_stack: false
    .vgpr_count:     134
    .vgpr_spill_count: 0
    .wavefront_size: 32
  - .args:
      - .offset:         0
        .size:           4
        .value_kind:     by_value
      - .offset:         8
        .size:           8
        .value_kind:     by_value
      - .offset:         16
        .size:           16
        .value_kind:     by_value
      - .address_space:  global
        .offset:         32
        .size:           8
        .value_kind:     global_buffer
      - .offset:         40
        .size:           8
        .value_kind:     by_value
      - .offset:         48
        .size:           8
        .value_kind:     by_value
      - .address_space:  global
        .offset:         56
        .size:           8
        .value_kind:     global_buffer
      - .offset:         64
        .size:           8
        .value_kind:     by_value
      - .offset:         72
        .size:           8
        .value_kind:     by_value
      - .offset:         80
        .size:           16
        .value_kind:     by_value
      - .address_space:  global
        .offset:         96
        .size:           8
        .value_kind:     global_buffer
      - .offset:         104
        .size:           8
        .value_kind:     by_value
      - .offset:         112
        .size:           8
        .value_kind:     by_value
      - .offset:         120
        .size:           4
        .value_kind:     by_value
    .group_segment_fixed_size: 8192
    .kernarg_segment_align: 8
    .kernarg_segment_size: 124
    .language:       OpenCL C
    .language_version:
      - 2
      - 0
    .max_flat_workgroup_size: 256
    .name:           _ZL29rocblas_internal_gemmt_kernelIlLi16ELi32ELi8ELc84ELc78ELc85ELb0ELb0E19rocblas_complex_numIdES1_PKPKS1_PKPS1_EviT_T9_T10_S9_lSB_S9_lSA_T11_S9_li
    .private_segment_fixed_size: 0
    .sgpr_count:     45
    .sgpr_spill_count: 0
    .symbol:         _ZL29rocblas_internal_gemmt_kernelIlLi16ELi32ELi8ELc84ELc78ELc85ELb0ELb0E19rocblas_complex_numIdES1_PKPKS1_PKPS1_EviT_T9_T10_S9_lSB_S9_lSA_T11_S9_li.kd
    .uniform_work_group_size: 1
    .uses_dynamic_stack: false
    .vgpr_count:     134
    .vgpr_spill_count: 0
    .wavefront_size: 32
  - .args:
      - .offset:         0
        .size:           4
        .value_kind:     by_value
      - .offset:         8
        .size:           8
        .value_kind:     by_value
      - .offset:         16
        .size:           16
        .value_kind:     by_value
      - .address_space:  global
        .offset:         32
        .size:           8
        .value_kind:     global_buffer
      - .offset:         40
        .size:           8
        .value_kind:     by_value
      - .offset:         48
        .size:           8
        .value_kind:     by_value
      - .address_space:  global
        .offset:         56
        .size:           8
        .value_kind:     global_buffer
      - .offset:         64
        .size:           8
        .value_kind:     by_value
      - .offset:         72
        .size:           8
        .value_kind:     by_value
      - .offset:         80
        .size:           16
        .value_kind:     by_value
      - .address_space:  global
        .offset:         96
        .size:           8
        .value_kind:     global_buffer
      - .offset:         104
        .size:           8
        .value_kind:     by_value
      - .offset:         112
        .size:           8
        .value_kind:     by_value
      - .offset:         120
        .size:           4
        .value_kind:     by_value
    .group_segment_fixed_size: 8192
    .kernarg_segment_align: 8
    .kernarg_segment_size: 124
    .language:       OpenCL C
    .language_version:
      - 2
      - 0
    .max_flat_workgroup_size: 256
    .name:           _ZL29rocblas_internal_gemmt_kernelIlLi16ELi32ELi8ELc84ELc84ELc85ELb0ELb0E19rocblas_complex_numIdES1_PKPKS1_PKPS1_EviT_T9_T10_S9_lSB_S9_lSA_T11_S9_li
    .private_segment_fixed_size: 0
    .sgpr_count:     45
    .sgpr_spill_count: 0
    .symbol:         _ZL29rocblas_internal_gemmt_kernelIlLi16ELi32ELi8ELc84ELc84ELc85ELb0ELb0E19rocblas_complex_numIdES1_PKPKS1_PKPS1_EviT_T9_T10_S9_lSB_S9_lSA_T11_S9_li.kd
    .uniform_work_group_size: 1
    .uses_dynamic_stack: false
    .vgpr_count:     134
    .vgpr_spill_count: 0
    .wavefront_size: 32
  - .args:
      - .offset:         0
        .size:           4
        .value_kind:     by_value
      - .offset:         8
        .size:           8
        .value_kind:     by_value
      - .offset:         16
        .size:           16
        .value_kind:     by_value
      - .address_space:  global
        .offset:         32
        .size:           8
        .value_kind:     global_buffer
      - .offset:         40
        .size:           8
        .value_kind:     by_value
      - .offset:         48
        .size:           8
        .value_kind:     by_value
      - .address_space:  global
        .offset:         56
        .size:           8
        .value_kind:     global_buffer
      - .offset:         64
        .size:           8
        .value_kind:     by_value
      - .offset:         72
        .size:           8
        .value_kind:     by_value
      - .offset:         80
        .size:           16
        .value_kind:     by_value
      - .address_space:  global
        .offset:         96
        .size:           8
        .value_kind:     global_buffer
      - .offset:         104
        .size:           8
        .value_kind:     by_value
      - .offset:         112
        .size:           8
        .value_kind:     by_value
      - .offset:         120
        .size:           4
        .value_kind:     by_value
    .group_segment_fixed_size: 8192
    .kernarg_segment_align: 8
    .kernarg_segment_size: 124
    .language:       OpenCL C
    .language_version:
      - 2
      - 0
    .max_flat_workgroup_size: 256
    .name:           _ZL29rocblas_internal_gemmt_kernelIlLi16ELi32ELi8ELc84ELc67ELc85ELb0ELb1E19rocblas_complex_numIdES1_PKPKS1_PKPS1_EviT_T9_T10_S9_lSB_S9_lSA_T11_S9_li
    .private_segment_fixed_size: 0
    .sgpr_count:     46
    .sgpr_spill_count: 0
    .symbol:         _ZL29rocblas_internal_gemmt_kernelIlLi16ELi32ELi8ELc84ELc67ELc85ELb0ELb1E19rocblas_complex_numIdES1_PKPKS1_PKPS1_EviT_T9_T10_S9_lSB_S9_lSA_T11_S9_li.kd
    .uniform_work_group_size: 1
    .uses_dynamic_stack: false
    .vgpr_count:     134
    .vgpr_spill_count: 0
    .wavefront_size: 32
  - .args:
      - .offset:         0
        .size:           4
        .value_kind:     by_value
      - .offset:         8
        .size:           8
        .value_kind:     by_value
      - .offset:         16
        .size:           16
        .value_kind:     by_value
      - .address_space:  global
        .offset:         32
        .size:           8
        .value_kind:     global_buffer
      - .offset:         40
        .size:           8
        .value_kind:     by_value
      - .offset:         48
        .size:           8
        .value_kind:     by_value
      - .address_space:  global
        .offset:         56
        .size:           8
        .value_kind:     global_buffer
      - .offset:         64
        .size:           8
        .value_kind:     by_value
      - .offset:         72
        .size:           8
        .value_kind:     by_value
      - .offset:         80
        .size:           16
        .value_kind:     by_value
      - .address_space:  global
        .offset:         96
        .size:           8
        .value_kind:     global_buffer
      - .offset:         104
        .size:           8
        .value_kind:     by_value
      - .offset:         112
        .size:           8
        .value_kind:     by_value
      - .offset:         120
        .size:           4
        .value_kind:     by_value
    .group_segment_fixed_size: 8192
    .kernarg_segment_align: 8
    .kernarg_segment_size: 124
    .language:       OpenCL C
    .language_version:
      - 2
      - 0
    .max_flat_workgroup_size: 256
    .name:           _ZL29rocblas_internal_gemmt_kernelIlLi16ELi32ELi8ELc67ELc78ELc85ELb1ELb0E19rocblas_complex_numIdES1_PKPKS1_PKPS1_EviT_T9_T10_S9_lSB_S9_lSA_T11_S9_li
    .private_segment_fixed_size: 0
    .sgpr_count:     45
    .sgpr_spill_count: 0
    .symbol:         _ZL29rocblas_internal_gemmt_kernelIlLi16ELi32ELi8ELc67ELc78ELc85ELb1ELb0E19rocblas_complex_numIdES1_PKPKS1_PKPS1_EviT_T9_T10_S9_lSB_S9_lSA_T11_S9_li.kd
    .uniform_work_group_size: 1
    .uses_dynamic_stack: false
    .vgpr_count:     132
    .vgpr_spill_count: 0
    .wavefront_size: 32
  - .args:
      - .offset:         0
        .size:           4
        .value_kind:     by_value
      - .offset:         8
        .size:           8
        .value_kind:     by_value
      - .offset:         16
        .size:           16
        .value_kind:     by_value
      - .address_space:  global
        .offset:         32
        .size:           8
        .value_kind:     global_buffer
      - .offset:         40
        .size:           8
        .value_kind:     by_value
      - .offset:         48
        .size:           8
        .value_kind:     by_value
      - .address_space:  global
        .offset:         56
        .size:           8
        .value_kind:     global_buffer
      - .offset:         64
        .size:           8
        .value_kind:     by_value
      - .offset:         72
        .size:           8
        .value_kind:     by_value
      - .offset:         80
        .size:           16
        .value_kind:     by_value
      - .address_space:  global
        .offset:         96
        .size:           8
        .value_kind:     global_buffer
      - .offset:         104
        .size:           8
        .value_kind:     by_value
      - .offset:         112
        .size:           8
        .value_kind:     by_value
      - .offset:         120
        .size:           4
        .value_kind:     by_value
    .group_segment_fixed_size: 8192
    .kernarg_segment_align: 8
    .kernarg_segment_size: 124
    .language:       OpenCL C
    .language_version:
      - 2
      - 0
    .max_flat_workgroup_size: 256
    .name:           _ZL29rocblas_internal_gemmt_kernelIlLi16ELi32ELi8ELc67ELc84ELc85ELb1ELb0E19rocblas_complex_numIdES1_PKPKS1_PKPS1_EviT_T9_T10_S9_lSB_S9_lSA_T11_S9_li
    .private_segment_fixed_size: 0
    .sgpr_count:     45
    .sgpr_spill_count: 0
    .symbol:         _ZL29rocblas_internal_gemmt_kernelIlLi16ELi32ELi8ELc67ELc84ELc85ELb1ELb0E19rocblas_complex_numIdES1_PKPKS1_PKPS1_EviT_T9_T10_S9_lSB_S9_lSA_T11_S9_li.kd
    .uniform_work_group_size: 1
    .uses_dynamic_stack: false
    .vgpr_count:     132
    .vgpr_spill_count: 0
    .wavefront_size: 32
  - .args:
      - .offset:         0
        .size:           4
        .value_kind:     by_value
      - .offset:         8
        .size:           8
        .value_kind:     by_value
      - .offset:         16
        .size:           16
        .value_kind:     by_value
      - .address_space:  global
        .offset:         32
        .size:           8
        .value_kind:     global_buffer
      - .offset:         40
        .size:           8
        .value_kind:     by_value
      - .offset:         48
        .size:           8
        .value_kind:     by_value
      - .address_space:  global
        .offset:         56
        .size:           8
        .value_kind:     global_buffer
      - .offset:         64
        .size:           8
        .value_kind:     by_value
      - .offset:         72
        .size:           8
        .value_kind:     by_value
      - .offset:         80
        .size:           16
        .value_kind:     by_value
      - .address_space:  global
        .offset:         96
        .size:           8
        .value_kind:     global_buffer
      - .offset:         104
        .size:           8
        .value_kind:     by_value
      - .offset:         112
        .size:           8
        .value_kind:     by_value
      - .offset:         120
        .size:           4
        .value_kind:     by_value
    .group_segment_fixed_size: 8192
    .kernarg_segment_align: 8
    .kernarg_segment_size: 124
    .language:       OpenCL C
    .language_version:
      - 2
      - 0
    .max_flat_workgroup_size: 256
    .name:           _ZL29rocblas_internal_gemmt_kernelIlLi16ELi32ELi8ELc67ELc67ELc85ELb1ELb1E19rocblas_complex_numIdES1_PKPKS1_PKPS1_EviT_T9_T10_S9_lSB_S9_lSA_T11_S9_li
    .private_segment_fixed_size: 0
    .sgpr_count:     45
    .sgpr_spill_count: 0
    .symbol:         _ZL29rocblas_internal_gemmt_kernelIlLi16ELi32ELi8ELc67ELc67ELc85ELb1ELb1E19rocblas_complex_numIdES1_PKPKS1_PKPS1_EviT_T9_T10_S9_lSB_S9_lSA_T11_S9_li.kd
    .uniform_work_group_size: 1
    .uses_dynamic_stack: false
    .vgpr_count:     132
    .vgpr_spill_count: 0
    .wavefront_size: 32
  - .args:
      - .offset:         0
        .size:           4
        .value_kind:     by_value
      - .offset:         8
        .size:           8
        .value_kind:     by_value
      - .offset:         16
        .size:           16
        .value_kind:     by_value
      - .address_space:  global
        .offset:         32
        .size:           8
        .value_kind:     global_buffer
      - .offset:         40
        .size:           8
        .value_kind:     by_value
      - .offset:         48
        .size:           8
        .value_kind:     by_value
      - .address_space:  global
        .offset:         56
        .size:           8
        .value_kind:     global_buffer
      - .offset:         64
        .size:           8
        .value_kind:     by_value
      - .offset:         72
        .size:           8
        .value_kind:     by_value
      - .offset:         80
        .size:           16
        .value_kind:     by_value
      - .address_space:  global
        .offset:         96
        .size:           8
        .value_kind:     global_buffer
      - .offset:         104
        .size:           8
        .value_kind:     by_value
      - .offset:         112
        .size:           8
        .value_kind:     by_value
      - .offset:         120
        .size:           4
        .value_kind:     by_value
    .group_segment_fixed_size: 8192
    .kernarg_segment_align: 8
    .kernarg_segment_size: 124
    .language:       OpenCL C
    .language_version:
      - 2
      - 0
    .max_flat_workgroup_size: 256
    .name:           _ZL29rocblas_internal_gemmt_kernelIlLi16ELi32ELi8ELc78ELc78ELc76ELb0ELb0E19rocblas_complex_numIdES1_PKPKS1_PKPS1_EviT_T9_T10_S9_lSB_S9_lSA_T11_S9_li
    .private_segment_fixed_size: 0
    .sgpr_count:     45
    .sgpr_spill_count: 0
    .symbol:         _ZL29rocblas_internal_gemmt_kernelIlLi16ELi32ELi8ELc78ELc78ELc76ELb0ELb0E19rocblas_complex_numIdES1_PKPKS1_PKPS1_EviT_T9_T10_S9_lSB_S9_lSA_T11_S9_li.kd
    .uniform_work_group_size: 1
    .uses_dynamic_stack: false
    .vgpr_count:     134
    .vgpr_spill_count: 0
    .wavefront_size: 32
  - .args:
      - .offset:         0
        .size:           4
        .value_kind:     by_value
      - .offset:         8
        .size:           8
        .value_kind:     by_value
      - .offset:         16
        .size:           16
        .value_kind:     by_value
      - .address_space:  global
        .offset:         32
        .size:           8
        .value_kind:     global_buffer
      - .offset:         40
        .size:           8
        .value_kind:     by_value
      - .offset:         48
        .size:           8
        .value_kind:     by_value
      - .address_space:  global
        .offset:         56
        .size:           8
        .value_kind:     global_buffer
      - .offset:         64
        .size:           8
        .value_kind:     by_value
      - .offset:         72
        .size:           8
        .value_kind:     by_value
      - .offset:         80
        .size:           16
        .value_kind:     by_value
      - .address_space:  global
        .offset:         96
        .size:           8
        .value_kind:     global_buffer
      - .offset:         104
        .size:           8
        .value_kind:     by_value
      - .offset:         112
        .size:           8
        .value_kind:     by_value
      - .offset:         120
        .size:           4
        .value_kind:     by_value
    .group_segment_fixed_size: 8192
    .kernarg_segment_align: 8
    .kernarg_segment_size: 124
    .language:       OpenCL C
    .language_version:
      - 2
      - 0
    .max_flat_workgroup_size: 256
    .name:           _ZL29rocblas_internal_gemmt_kernelIlLi16ELi32ELi8ELc78ELc84ELc76ELb0ELb0E19rocblas_complex_numIdES1_PKPKS1_PKPS1_EviT_T9_T10_S9_lSB_S9_lSA_T11_S9_li
    .private_segment_fixed_size: 0
    .sgpr_count:     47
    .sgpr_spill_count: 0
    .symbol:         _ZL29rocblas_internal_gemmt_kernelIlLi16ELi32ELi8ELc78ELc84ELc76ELb0ELb0E19rocblas_complex_numIdES1_PKPKS1_PKPS1_EviT_T9_T10_S9_lSB_S9_lSA_T11_S9_li.kd
    .uniform_work_group_size: 1
    .uses_dynamic_stack: false
    .vgpr_count:     134
    .vgpr_spill_count: 0
    .wavefront_size: 32
  - .args:
      - .offset:         0
        .size:           4
        .value_kind:     by_value
      - .offset:         8
        .size:           8
        .value_kind:     by_value
      - .offset:         16
        .size:           16
        .value_kind:     by_value
      - .address_space:  global
        .offset:         32
        .size:           8
        .value_kind:     global_buffer
      - .offset:         40
        .size:           8
        .value_kind:     by_value
      - .offset:         48
        .size:           8
        .value_kind:     by_value
      - .address_space:  global
        .offset:         56
        .size:           8
        .value_kind:     global_buffer
      - .offset:         64
        .size:           8
        .value_kind:     by_value
      - .offset:         72
        .size:           8
        .value_kind:     by_value
      - .offset:         80
        .size:           16
        .value_kind:     by_value
      - .address_space:  global
        .offset:         96
        .size:           8
        .value_kind:     global_buffer
      - .offset:         104
        .size:           8
        .value_kind:     by_value
      - .offset:         112
        .size:           8
        .value_kind:     by_value
      - .offset:         120
        .size:           4
        .value_kind:     by_value
    .group_segment_fixed_size: 8192
    .kernarg_segment_align: 8
    .kernarg_segment_size: 124
    .language:       OpenCL C
    .language_version:
      - 2
      - 0
    .max_flat_workgroup_size: 256
    .name:           _ZL29rocblas_internal_gemmt_kernelIlLi16ELi32ELi8ELc78ELc67ELc76ELb0ELb1E19rocblas_complex_numIdES1_PKPKS1_PKPS1_EviT_T9_T10_S9_lSB_S9_lSA_T11_S9_li
    .private_segment_fixed_size: 0
    .sgpr_count:     47
    .sgpr_spill_count: 0
    .symbol:         _ZL29rocblas_internal_gemmt_kernelIlLi16ELi32ELi8ELc78ELc67ELc76ELb0ELb1E19rocblas_complex_numIdES1_PKPKS1_PKPS1_EviT_T9_T10_S9_lSB_S9_lSA_T11_S9_li.kd
    .uniform_work_group_size: 1
    .uses_dynamic_stack: false
    .vgpr_count:     134
    .vgpr_spill_count: 0
    .wavefront_size: 32
  - .args:
      - .offset:         0
        .size:           4
        .value_kind:     by_value
      - .offset:         8
        .size:           8
        .value_kind:     by_value
      - .offset:         16
        .size:           16
        .value_kind:     by_value
      - .address_space:  global
        .offset:         32
        .size:           8
        .value_kind:     global_buffer
      - .offset:         40
        .size:           8
        .value_kind:     by_value
      - .offset:         48
        .size:           8
        .value_kind:     by_value
      - .address_space:  global
        .offset:         56
        .size:           8
        .value_kind:     global_buffer
      - .offset:         64
        .size:           8
        .value_kind:     by_value
      - .offset:         72
        .size:           8
        .value_kind:     by_value
      - .offset:         80
        .size:           16
        .value_kind:     by_value
      - .address_space:  global
        .offset:         96
        .size:           8
        .value_kind:     global_buffer
      - .offset:         104
        .size:           8
        .value_kind:     by_value
      - .offset:         112
        .size:           8
        .value_kind:     by_value
      - .offset:         120
        .size:           4
        .value_kind:     by_value
    .group_segment_fixed_size: 8192
    .kernarg_segment_align: 8
    .kernarg_segment_size: 124
    .language:       OpenCL C
    .language_version:
      - 2
      - 0
    .max_flat_workgroup_size: 256
    .name:           _ZL29rocblas_internal_gemmt_kernelIlLi16ELi32ELi8ELc84ELc78ELc76ELb0ELb0E19rocblas_complex_numIdES1_PKPKS1_PKPS1_EviT_T9_T10_S9_lSB_S9_lSA_T11_S9_li
    .private_segment_fixed_size: 0
    .sgpr_count:     45
    .sgpr_spill_count: 0
    .symbol:         _ZL29rocblas_internal_gemmt_kernelIlLi16ELi32ELi8ELc84ELc78ELc76ELb0ELb0E19rocblas_complex_numIdES1_PKPKS1_PKPS1_EviT_T9_T10_S9_lSB_S9_lSA_T11_S9_li.kd
    .uniform_work_group_size: 1
    .uses_dynamic_stack: false
    .vgpr_count:     134
    .vgpr_spill_count: 0
    .wavefront_size: 32
  - .args:
      - .offset:         0
        .size:           4
        .value_kind:     by_value
      - .offset:         8
        .size:           8
        .value_kind:     by_value
      - .offset:         16
        .size:           16
        .value_kind:     by_value
      - .address_space:  global
        .offset:         32
        .size:           8
        .value_kind:     global_buffer
      - .offset:         40
        .size:           8
        .value_kind:     by_value
      - .offset:         48
        .size:           8
        .value_kind:     by_value
      - .address_space:  global
        .offset:         56
        .size:           8
        .value_kind:     global_buffer
      - .offset:         64
        .size:           8
        .value_kind:     by_value
      - .offset:         72
        .size:           8
        .value_kind:     by_value
      - .offset:         80
        .size:           16
        .value_kind:     by_value
      - .address_space:  global
        .offset:         96
        .size:           8
        .value_kind:     global_buffer
      - .offset:         104
        .size:           8
        .value_kind:     by_value
      - .offset:         112
        .size:           8
        .value_kind:     by_value
      - .offset:         120
        .size:           4
        .value_kind:     by_value
    .group_segment_fixed_size: 8192
    .kernarg_segment_align: 8
    .kernarg_segment_size: 124
    .language:       OpenCL C
    .language_version:
      - 2
      - 0
    .max_flat_workgroup_size: 256
    .name:           _ZL29rocblas_internal_gemmt_kernelIlLi16ELi32ELi8ELc84ELc84ELc76ELb0ELb0E19rocblas_complex_numIdES1_PKPKS1_PKPS1_EviT_T9_T10_S9_lSB_S9_lSA_T11_S9_li
    .private_segment_fixed_size: 0
    .sgpr_count:     45
    .sgpr_spill_count: 0
    .symbol:         _ZL29rocblas_internal_gemmt_kernelIlLi16ELi32ELi8ELc84ELc84ELc76ELb0ELb0E19rocblas_complex_numIdES1_PKPKS1_PKPS1_EviT_T9_T10_S9_lSB_S9_lSA_T11_S9_li.kd
    .uniform_work_group_size: 1
    .uses_dynamic_stack: false
    .vgpr_count:     134
    .vgpr_spill_count: 0
    .wavefront_size: 32
  - .args:
      - .offset:         0
        .size:           4
        .value_kind:     by_value
      - .offset:         8
        .size:           8
        .value_kind:     by_value
      - .offset:         16
        .size:           16
        .value_kind:     by_value
      - .address_space:  global
        .offset:         32
        .size:           8
        .value_kind:     global_buffer
      - .offset:         40
        .size:           8
        .value_kind:     by_value
      - .offset:         48
        .size:           8
        .value_kind:     by_value
      - .address_space:  global
        .offset:         56
        .size:           8
        .value_kind:     global_buffer
      - .offset:         64
        .size:           8
        .value_kind:     by_value
      - .offset:         72
        .size:           8
        .value_kind:     by_value
      - .offset:         80
        .size:           16
        .value_kind:     by_value
      - .address_space:  global
        .offset:         96
        .size:           8
        .value_kind:     global_buffer
      - .offset:         104
        .size:           8
        .value_kind:     by_value
      - .offset:         112
        .size:           8
        .value_kind:     by_value
      - .offset:         120
        .size:           4
        .value_kind:     by_value
    .group_segment_fixed_size: 8192
    .kernarg_segment_align: 8
    .kernarg_segment_size: 124
    .language:       OpenCL C
    .language_version:
      - 2
      - 0
    .max_flat_workgroup_size: 256
    .name:           _ZL29rocblas_internal_gemmt_kernelIlLi16ELi32ELi8ELc84ELc67ELc76ELb0ELb1E19rocblas_complex_numIdES1_PKPKS1_PKPS1_EviT_T9_T10_S9_lSB_S9_lSA_T11_S9_li
    .private_segment_fixed_size: 0
    .sgpr_count:     46
    .sgpr_spill_count: 0
    .symbol:         _ZL29rocblas_internal_gemmt_kernelIlLi16ELi32ELi8ELc84ELc67ELc76ELb0ELb1E19rocblas_complex_numIdES1_PKPKS1_PKPS1_EviT_T9_T10_S9_lSB_S9_lSA_T11_S9_li.kd
    .uniform_work_group_size: 1
    .uses_dynamic_stack: false
    .vgpr_count:     134
    .vgpr_spill_count: 0
    .wavefront_size: 32
  - .args:
      - .offset:         0
        .size:           4
        .value_kind:     by_value
      - .offset:         8
        .size:           8
        .value_kind:     by_value
      - .offset:         16
        .size:           16
        .value_kind:     by_value
      - .address_space:  global
        .offset:         32
        .size:           8
        .value_kind:     global_buffer
      - .offset:         40
        .size:           8
        .value_kind:     by_value
      - .offset:         48
        .size:           8
        .value_kind:     by_value
      - .address_space:  global
        .offset:         56
        .size:           8
        .value_kind:     global_buffer
      - .offset:         64
        .size:           8
        .value_kind:     by_value
      - .offset:         72
        .size:           8
        .value_kind:     by_value
      - .offset:         80
        .size:           16
        .value_kind:     by_value
      - .address_space:  global
        .offset:         96
        .size:           8
        .value_kind:     global_buffer
      - .offset:         104
        .size:           8
        .value_kind:     by_value
      - .offset:         112
        .size:           8
        .value_kind:     by_value
      - .offset:         120
        .size:           4
        .value_kind:     by_value
    .group_segment_fixed_size: 8192
    .kernarg_segment_align: 8
    .kernarg_segment_size: 124
    .language:       OpenCL C
    .language_version:
      - 2
      - 0
    .max_flat_workgroup_size: 256
    .name:           _ZL29rocblas_internal_gemmt_kernelIlLi16ELi32ELi8ELc67ELc78ELc76ELb1ELb0E19rocblas_complex_numIdES1_PKPKS1_PKPS1_EviT_T9_T10_S9_lSB_S9_lSA_T11_S9_li
    .private_segment_fixed_size: 0
    .sgpr_count:     45
    .sgpr_spill_count: 0
    .symbol:         _ZL29rocblas_internal_gemmt_kernelIlLi16ELi32ELi8ELc67ELc78ELc76ELb1ELb0E19rocblas_complex_numIdES1_PKPKS1_PKPS1_EviT_T9_T10_S9_lSB_S9_lSA_T11_S9_li.kd
    .uniform_work_group_size: 1
    .uses_dynamic_stack: false
    .vgpr_count:     132
    .vgpr_spill_count: 0
    .wavefront_size: 32
  - .args:
      - .offset:         0
        .size:           4
        .value_kind:     by_value
      - .offset:         8
        .size:           8
        .value_kind:     by_value
      - .offset:         16
        .size:           16
        .value_kind:     by_value
      - .address_space:  global
        .offset:         32
        .size:           8
        .value_kind:     global_buffer
      - .offset:         40
        .size:           8
        .value_kind:     by_value
      - .offset:         48
        .size:           8
        .value_kind:     by_value
      - .address_space:  global
        .offset:         56
        .size:           8
        .value_kind:     global_buffer
      - .offset:         64
        .size:           8
        .value_kind:     by_value
      - .offset:         72
        .size:           8
        .value_kind:     by_value
      - .offset:         80
        .size:           16
        .value_kind:     by_value
      - .address_space:  global
        .offset:         96
        .size:           8
        .value_kind:     global_buffer
      - .offset:         104
        .size:           8
        .value_kind:     by_value
      - .offset:         112
        .size:           8
        .value_kind:     by_value
      - .offset:         120
        .size:           4
        .value_kind:     by_value
    .group_segment_fixed_size: 8192
    .kernarg_segment_align: 8
    .kernarg_segment_size: 124
    .language:       OpenCL C
    .language_version:
      - 2
      - 0
    .max_flat_workgroup_size: 256
    .name:           _ZL29rocblas_internal_gemmt_kernelIlLi16ELi32ELi8ELc67ELc84ELc76ELb1ELb0E19rocblas_complex_numIdES1_PKPKS1_PKPS1_EviT_T9_T10_S9_lSB_S9_lSA_T11_S9_li
    .private_segment_fixed_size: 0
    .sgpr_count:     44
    .sgpr_spill_count: 0
    .symbol:         _ZL29rocblas_internal_gemmt_kernelIlLi16ELi32ELi8ELc67ELc84ELc76ELb1ELb0E19rocblas_complex_numIdES1_PKPKS1_PKPS1_EviT_T9_T10_S9_lSB_S9_lSA_T11_S9_li.kd
    .uniform_work_group_size: 1
    .uses_dynamic_stack: false
    .vgpr_count:     132
    .vgpr_spill_count: 0
    .wavefront_size: 32
  - .args:
      - .offset:         0
        .size:           4
        .value_kind:     by_value
      - .offset:         8
        .size:           8
        .value_kind:     by_value
      - .offset:         16
        .size:           16
        .value_kind:     by_value
      - .address_space:  global
        .offset:         32
        .size:           8
        .value_kind:     global_buffer
      - .offset:         40
        .size:           8
        .value_kind:     by_value
      - .offset:         48
        .size:           8
        .value_kind:     by_value
      - .address_space:  global
        .offset:         56
        .size:           8
        .value_kind:     global_buffer
      - .offset:         64
        .size:           8
        .value_kind:     by_value
      - .offset:         72
        .size:           8
        .value_kind:     by_value
      - .offset:         80
        .size:           16
        .value_kind:     by_value
      - .address_space:  global
        .offset:         96
        .size:           8
        .value_kind:     global_buffer
      - .offset:         104
        .size:           8
        .value_kind:     by_value
      - .offset:         112
        .size:           8
        .value_kind:     by_value
      - .offset:         120
        .size:           4
        .value_kind:     by_value
    .group_segment_fixed_size: 8192
    .kernarg_segment_align: 8
    .kernarg_segment_size: 124
    .language:       OpenCL C
    .language_version:
      - 2
      - 0
    .max_flat_workgroup_size: 256
    .name:           _ZL29rocblas_internal_gemmt_kernelIlLi16ELi32ELi8ELc67ELc67ELc76ELb1ELb1E19rocblas_complex_numIdES1_PKPKS1_PKPS1_EviT_T9_T10_S9_lSB_S9_lSA_T11_S9_li
    .private_segment_fixed_size: 0
    .sgpr_count:     45
    .sgpr_spill_count: 0
    .symbol:         _ZL29rocblas_internal_gemmt_kernelIlLi16ELi32ELi8ELc67ELc67ELc76ELb1ELb1E19rocblas_complex_numIdES1_PKPKS1_PKPS1_EviT_T9_T10_S9_lSB_S9_lSA_T11_S9_li.kd
    .uniform_work_group_size: 1
    .uses_dynamic_stack: false
    .vgpr_count:     132
    .vgpr_spill_count: 0
    .wavefront_size: 32
amdhsa.target:   amdgcn-amd-amdhsa--gfx1250
amdhsa.version:
  - 1
  - 2
...

	.end_amdgpu_metadata
